;; amdgpu-corpus repo=ROCm/rocSOLVER kind=compiled arch=gfx90a opt=O3
	.text
	.amdgcn_target "amdgcn-amd-amdhsa--gfx90a"
	.amdhsa_code_object_version 6
	.section	.text._ZN9rocsolver6v33100L6iota_nIfEEvPT_jS2_,"axG",@progbits,_ZN9rocsolver6v33100L6iota_nIfEEvPT_jS2_,comdat
	.globl	_ZN9rocsolver6v33100L6iota_nIfEEvPT_jS2_ ; -- Begin function _ZN9rocsolver6v33100L6iota_nIfEEvPT_jS2_
	.p2align	8
	.type	_ZN9rocsolver6v33100L6iota_nIfEEvPT_jS2_,@function
_ZN9rocsolver6v33100L6iota_nIfEEvPT_jS2_: ; @_ZN9rocsolver6v33100L6iota_nIfEEvPT_jS2_
; %bb.0:
	s_load_dwordx2 s[0:1], s[4:5], 0x8
	s_waitcnt lgkmcnt(0)
	v_cmp_gt_u32_e32 vcc, s0, v0
	s_and_saveexec_b64 s[2:3], vcc
	s_cbranch_execz .LBB0_2
; %bb.1:
	s_load_dwordx2 s[2:3], s[4:5], 0x0
	v_lshlrev_b32_e32 v1, 2, v0
	v_cvt_f32_ubyte0_e32 v0, v0
	v_add_f32_e32 v0, s1, v0
	s_waitcnt lgkmcnt(0)
	global_store_dword v1, v0, s[2:3]
.LBB0_2:
	s_endpgm
	.section	.rodata,"a",@progbits
	.p2align	6, 0x0
	.amdhsa_kernel _ZN9rocsolver6v33100L6iota_nIfEEvPT_jS2_
		.amdhsa_group_segment_fixed_size 0
		.amdhsa_private_segment_fixed_size 0
		.amdhsa_kernarg_size 16
		.amdhsa_user_sgpr_count 6
		.amdhsa_user_sgpr_private_segment_buffer 1
		.amdhsa_user_sgpr_dispatch_ptr 0
		.amdhsa_user_sgpr_queue_ptr 0
		.amdhsa_user_sgpr_kernarg_segment_ptr 1
		.amdhsa_user_sgpr_dispatch_id 0
		.amdhsa_user_sgpr_flat_scratch_init 0
		.amdhsa_user_sgpr_kernarg_preload_length 0
		.amdhsa_user_sgpr_kernarg_preload_offset 0
		.amdhsa_user_sgpr_private_segment_size 0
		.amdhsa_uses_dynamic_stack 0
		.amdhsa_system_sgpr_private_segment_wavefront_offset 0
		.amdhsa_system_sgpr_workgroup_id_x 1
		.amdhsa_system_sgpr_workgroup_id_y 0
		.amdhsa_system_sgpr_workgroup_id_z 0
		.amdhsa_system_sgpr_workgroup_info 0
		.amdhsa_system_vgpr_workitem_id 0
		.amdhsa_next_free_vgpr 2
		.amdhsa_next_free_sgpr 6
		.amdhsa_accum_offset 4
		.amdhsa_reserve_vcc 1
		.amdhsa_reserve_flat_scratch 0
		.amdhsa_float_round_mode_32 0
		.amdhsa_float_round_mode_16_64 0
		.amdhsa_float_denorm_mode_32 3
		.amdhsa_float_denorm_mode_16_64 3
		.amdhsa_dx10_clamp 1
		.amdhsa_ieee_mode 1
		.amdhsa_fp16_overflow 0
		.amdhsa_tg_split 0
		.amdhsa_exception_fp_ieee_invalid_op 0
		.amdhsa_exception_fp_denorm_src 0
		.amdhsa_exception_fp_ieee_div_zero 0
		.amdhsa_exception_fp_ieee_overflow 0
		.amdhsa_exception_fp_ieee_underflow 0
		.amdhsa_exception_fp_ieee_inexact 0
		.amdhsa_exception_int_div_zero 0
	.end_amdhsa_kernel
	.section	.text._ZN9rocsolver6v33100L6iota_nIfEEvPT_jS2_,"axG",@progbits,_ZN9rocsolver6v33100L6iota_nIfEEvPT_jS2_,comdat
.Lfunc_end0:
	.size	_ZN9rocsolver6v33100L6iota_nIfEEvPT_jS2_, .Lfunc_end0-_ZN9rocsolver6v33100L6iota_nIfEEvPT_jS2_
                                        ; -- End function
	.section	.AMDGPU.csdata,"",@progbits
; Kernel info:
; codeLenInByte = 60
; NumSgprs: 10
; NumVgprs: 2
; NumAgprs: 0
; TotalNumVgprs: 2
; ScratchSize: 0
; MemoryBound: 0
; FloatMode: 240
; IeeeMode: 1
; LDSByteSize: 0 bytes/workgroup (compile time only)
; SGPRBlocks: 1
; VGPRBlocks: 0
; NumSGPRsForWavesPerEU: 10
; NumVGPRsForWavesPerEU: 2
; AccumOffset: 4
; Occupancy: 8
; WaveLimiterHint : 0
; COMPUTE_PGM_RSRC2:SCRATCH_EN: 0
; COMPUTE_PGM_RSRC2:USER_SGPR: 6
; COMPUTE_PGM_RSRC2:TRAP_HANDLER: 0
; COMPUTE_PGM_RSRC2:TGID_X_EN: 1
; COMPUTE_PGM_RSRC2:TGID_Y_EN: 0
; COMPUTE_PGM_RSRC2:TGID_Z_EN: 0
; COMPUTE_PGM_RSRC2:TIDIG_COMP_CNT: 0
; COMPUTE_PGM_RSRC3_GFX90A:ACCUM_OFFSET: 0
; COMPUTE_PGM_RSRC3_GFX90A:TG_SPLIT: 0
	.section	.text._ZN9rocsolver6v33100L10reset_infoIfiiEEvPT_T0_T1_S4_,"axG",@progbits,_ZN9rocsolver6v33100L10reset_infoIfiiEEvPT_T0_T1_S4_,comdat
	.globl	_ZN9rocsolver6v33100L10reset_infoIfiiEEvPT_T0_T1_S4_ ; -- Begin function _ZN9rocsolver6v33100L10reset_infoIfiiEEvPT_T0_T1_S4_
	.p2align	8
	.type	_ZN9rocsolver6v33100L10reset_infoIfiiEEvPT_T0_T1_S4_,@function
_ZN9rocsolver6v33100L10reset_infoIfiiEEvPT_T0_T1_S4_: ; @_ZN9rocsolver6v33100L10reset_infoIfiiEEvPT_T0_T1_S4_
; %bb.0:
	s_load_dword s7, s[4:5], 0x24
	s_load_dwordx4 s[0:3], s[4:5], 0x8
	s_waitcnt lgkmcnt(0)
	s_and_b32 s3, s7, 0xffff
	s_mul_i32 s6, s6, s3
	v_add_u32_e32 v0, s6, v0
	v_cmp_gt_i32_e32 vcc, s0, v0
	s_and_saveexec_b64 s[6:7], vcc
	s_cbranch_execz .LBB1_2
; %bb.1:
	v_cvt_f32_i32_e32 v2, s1
	v_mul_lo_u32 v1, v0, s2
	s_load_dwordx2 s[0:1], s[4:5], 0x0
	v_cvt_f32_i32_e32 v3, v1
	v_ashrrev_i32_e32 v1, 31, v0
	v_lshlrev_b64 v[0:1], 2, v[0:1]
	v_add_f32_e32 v2, v2, v3
	s_waitcnt lgkmcnt(0)
	v_mov_b32_e32 v3, s1
	v_add_co_u32_e32 v0, vcc, s0, v0
	v_addc_co_u32_e32 v1, vcc, v3, v1, vcc
	global_store_dword v[0:1], v2, off
.LBB1_2:
	s_endpgm
	.section	.rodata,"a",@progbits
	.p2align	6, 0x0
	.amdhsa_kernel _ZN9rocsolver6v33100L10reset_infoIfiiEEvPT_T0_T1_S4_
		.amdhsa_group_segment_fixed_size 0
		.amdhsa_private_segment_fixed_size 0
		.amdhsa_kernarg_size 280
		.amdhsa_user_sgpr_count 6
		.amdhsa_user_sgpr_private_segment_buffer 1
		.amdhsa_user_sgpr_dispatch_ptr 0
		.amdhsa_user_sgpr_queue_ptr 0
		.amdhsa_user_sgpr_kernarg_segment_ptr 1
		.amdhsa_user_sgpr_dispatch_id 0
		.amdhsa_user_sgpr_flat_scratch_init 0
		.amdhsa_user_sgpr_kernarg_preload_length 0
		.amdhsa_user_sgpr_kernarg_preload_offset 0
		.amdhsa_user_sgpr_private_segment_size 0
		.amdhsa_uses_dynamic_stack 0
		.amdhsa_system_sgpr_private_segment_wavefront_offset 0
		.amdhsa_system_sgpr_workgroup_id_x 1
		.amdhsa_system_sgpr_workgroup_id_y 0
		.amdhsa_system_sgpr_workgroup_id_z 0
		.amdhsa_system_sgpr_workgroup_info 0
		.amdhsa_system_vgpr_workitem_id 0
		.amdhsa_next_free_vgpr 4
		.amdhsa_next_free_sgpr 8
		.amdhsa_accum_offset 4
		.amdhsa_reserve_vcc 1
		.amdhsa_reserve_flat_scratch 0
		.amdhsa_float_round_mode_32 0
		.amdhsa_float_round_mode_16_64 0
		.amdhsa_float_denorm_mode_32 3
		.amdhsa_float_denorm_mode_16_64 3
		.amdhsa_dx10_clamp 1
		.amdhsa_ieee_mode 1
		.amdhsa_fp16_overflow 0
		.amdhsa_tg_split 0
		.amdhsa_exception_fp_ieee_invalid_op 0
		.amdhsa_exception_fp_denorm_src 0
		.amdhsa_exception_fp_ieee_div_zero 0
		.amdhsa_exception_fp_ieee_overflow 0
		.amdhsa_exception_fp_ieee_underflow 0
		.amdhsa_exception_fp_ieee_inexact 0
		.amdhsa_exception_int_div_zero 0
	.end_amdhsa_kernel
	.section	.text._ZN9rocsolver6v33100L10reset_infoIfiiEEvPT_T0_T1_S4_,"axG",@progbits,_ZN9rocsolver6v33100L10reset_infoIfiiEEvPT_T0_T1_S4_,comdat
.Lfunc_end1:
	.size	_ZN9rocsolver6v33100L10reset_infoIfiiEEvPT_T0_T1_S4_, .Lfunc_end1-_ZN9rocsolver6v33100L10reset_infoIfiiEEvPT_T0_T1_S4_
                                        ; -- End function
	.section	.AMDGPU.csdata,"",@progbits
; Kernel info:
; codeLenInByte = 116
; NumSgprs: 12
; NumVgprs: 4
; NumAgprs: 0
; TotalNumVgprs: 4
; ScratchSize: 0
; MemoryBound: 0
; FloatMode: 240
; IeeeMode: 1
; LDSByteSize: 0 bytes/workgroup (compile time only)
; SGPRBlocks: 1
; VGPRBlocks: 0
; NumSGPRsForWavesPerEU: 12
; NumVGPRsForWavesPerEU: 4
; AccumOffset: 4
; Occupancy: 8
; WaveLimiterHint : 0
; COMPUTE_PGM_RSRC2:SCRATCH_EN: 0
; COMPUTE_PGM_RSRC2:USER_SGPR: 6
; COMPUTE_PGM_RSRC2:TRAP_HANDLER: 0
; COMPUTE_PGM_RSRC2:TGID_X_EN: 1
; COMPUTE_PGM_RSRC2:TGID_Y_EN: 0
; COMPUTE_PGM_RSRC2:TGID_Z_EN: 0
; COMPUTE_PGM_RSRC2:TIDIG_COMP_CNT: 0
; COMPUTE_PGM_RSRC3_GFX90A:ACCUM_OFFSET: 0
; COMPUTE_PGM_RSRC3_GFX90A:TG_SPLIT: 0
	.section	.text._ZN9rocsolver6v33100L10reset_infoIiiiEEvPT_T0_T1_S4_,"axG",@progbits,_ZN9rocsolver6v33100L10reset_infoIiiiEEvPT_T0_T1_S4_,comdat
	.globl	_ZN9rocsolver6v33100L10reset_infoIiiiEEvPT_T0_T1_S4_ ; -- Begin function _ZN9rocsolver6v33100L10reset_infoIiiiEEvPT_T0_T1_S4_
	.p2align	8
	.type	_ZN9rocsolver6v33100L10reset_infoIiiiEEvPT_T0_T1_S4_,@function
_ZN9rocsolver6v33100L10reset_infoIiiiEEvPT_T0_T1_S4_: ; @_ZN9rocsolver6v33100L10reset_infoIiiiEEvPT_T0_T1_S4_
; %bb.0:
	s_load_dword s7, s[4:5], 0x24
	s_load_dwordx4 s[0:3], s[4:5], 0x8
	s_waitcnt lgkmcnt(0)
	s_and_b32 s3, s7, 0xffff
	s_mul_i32 s6, s6, s3
	v_add_u32_e32 v0, s6, v0
	v_cmp_gt_i32_e32 vcc, s0, v0
	s_and_saveexec_b64 s[6:7], vcc
	s_cbranch_execz .LBB2_2
; %bb.1:
	s_load_dwordx2 s[4:5], s[4:5], 0x0
	v_ashrrev_i32_e32 v1, 31, v0
	v_lshlrev_b64 v[2:3], 2, v[0:1]
	v_mul_lo_u32 v0, v0, s2
	v_add_u32_e32 v0, s1, v0
	s_waitcnt lgkmcnt(0)
	v_mov_b32_e32 v1, s5
	v_add_co_u32_e32 v2, vcc, s4, v2
	v_addc_co_u32_e32 v3, vcc, v1, v3, vcc
	global_store_dword v[2:3], v0, off
.LBB2_2:
	s_endpgm
	.section	.rodata,"a",@progbits
	.p2align	6, 0x0
	.amdhsa_kernel _ZN9rocsolver6v33100L10reset_infoIiiiEEvPT_T0_T1_S4_
		.amdhsa_group_segment_fixed_size 0
		.amdhsa_private_segment_fixed_size 0
		.amdhsa_kernarg_size 280
		.amdhsa_user_sgpr_count 6
		.amdhsa_user_sgpr_private_segment_buffer 1
		.amdhsa_user_sgpr_dispatch_ptr 0
		.amdhsa_user_sgpr_queue_ptr 0
		.amdhsa_user_sgpr_kernarg_segment_ptr 1
		.amdhsa_user_sgpr_dispatch_id 0
		.amdhsa_user_sgpr_flat_scratch_init 0
		.amdhsa_user_sgpr_kernarg_preload_length 0
		.amdhsa_user_sgpr_kernarg_preload_offset 0
		.amdhsa_user_sgpr_private_segment_size 0
		.amdhsa_uses_dynamic_stack 0
		.amdhsa_system_sgpr_private_segment_wavefront_offset 0
		.amdhsa_system_sgpr_workgroup_id_x 1
		.amdhsa_system_sgpr_workgroup_id_y 0
		.amdhsa_system_sgpr_workgroup_id_z 0
		.amdhsa_system_sgpr_workgroup_info 0
		.amdhsa_system_vgpr_workitem_id 0
		.amdhsa_next_free_vgpr 4
		.amdhsa_next_free_sgpr 8
		.amdhsa_accum_offset 4
		.amdhsa_reserve_vcc 1
		.amdhsa_reserve_flat_scratch 0
		.amdhsa_float_round_mode_32 0
		.amdhsa_float_round_mode_16_64 0
		.amdhsa_float_denorm_mode_32 3
		.amdhsa_float_denorm_mode_16_64 3
		.amdhsa_dx10_clamp 1
		.amdhsa_ieee_mode 1
		.amdhsa_fp16_overflow 0
		.amdhsa_tg_split 0
		.amdhsa_exception_fp_ieee_invalid_op 0
		.amdhsa_exception_fp_denorm_src 0
		.amdhsa_exception_fp_ieee_div_zero 0
		.amdhsa_exception_fp_ieee_overflow 0
		.amdhsa_exception_fp_ieee_underflow 0
		.amdhsa_exception_fp_ieee_inexact 0
		.amdhsa_exception_int_div_zero 0
	.end_amdhsa_kernel
	.section	.text._ZN9rocsolver6v33100L10reset_infoIiiiEEvPT_T0_T1_S4_,"axG",@progbits,_ZN9rocsolver6v33100L10reset_infoIiiiEEvPT_T0_T1_S4_,comdat
.Lfunc_end2:
	.size	_ZN9rocsolver6v33100L10reset_infoIiiiEEvPT_T0_T1_S4_, .Lfunc_end2-_ZN9rocsolver6v33100L10reset_infoIiiiEEvPT_T0_T1_S4_
                                        ; -- End function
	.section	.AMDGPU.csdata,"",@progbits
; Kernel info:
; codeLenInByte = 108
; NumSgprs: 12
; NumVgprs: 4
; NumAgprs: 0
; TotalNumVgprs: 4
; ScratchSize: 0
; MemoryBound: 0
; FloatMode: 240
; IeeeMode: 1
; LDSByteSize: 0 bytes/workgroup (compile time only)
; SGPRBlocks: 1
; VGPRBlocks: 0
; NumSGPRsForWavesPerEU: 12
; NumVGPRsForWavesPerEU: 4
; AccumOffset: 4
; Occupancy: 8
; WaveLimiterHint : 0
; COMPUTE_PGM_RSRC2:SCRATCH_EN: 0
; COMPUTE_PGM_RSRC2:USER_SGPR: 6
; COMPUTE_PGM_RSRC2:TRAP_HANDLER: 0
; COMPUTE_PGM_RSRC2:TGID_X_EN: 1
; COMPUTE_PGM_RSRC2:TGID_Y_EN: 0
; COMPUTE_PGM_RSRC2:TGID_Z_EN: 0
; COMPUTE_PGM_RSRC2:TIDIG_COMP_CNT: 0
; COMPUTE_PGM_RSRC3_GFX90A:ACCUM_OFFSET: 0
; COMPUTE_PGM_RSRC3_GFX90A:TG_SPLIT: 0
	.section	.text._ZN9rocsolver6v33100L16syev_scalar_caseIfPfTnNSt9enable_ifIXnt18rocblas_is_complexIT_EEiE4typeELi0EEEv14rocblas_evect_T0_lPS4_li,"axG",@progbits,_ZN9rocsolver6v33100L16syev_scalar_caseIfPfTnNSt9enable_ifIXnt18rocblas_is_complexIT_EEiE4typeELi0EEEv14rocblas_evect_T0_lPS4_li,comdat
	.globl	_ZN9rocsolver6v33100L16syev_scalar_caseIfPfTnNSt9enable_ifIXnt18rocblas_is_complexIT_EEiE4typeELi0EEEv14rocblas_evect_T0_lPS4_li ; -- Begin function _ZN9rocsolver6v33100L16syev_scalar_caseIfPfTnNSt9enable_ifIXnt18rocblas_is_complexIT_EEiE4typeELi0EEEv14rocblas_evect_T0_lPS4_li
	.p2align	8
	.type	_ZN9rocsolver6v33100L16syev_scalar_caseIfPfTnNSt9enable_ifIXnt18rocblas_is_complexIT_EEiE4typeELi0EEEv14rocblas_evect_T0_lPS4_li,@function
_ZN9rocsolver6v33100L16syev_scalar_caseIfPfTnNSt9enable_ifIXnt18rocblas_is_complexIT_EEiE4typeELi0EEEv14rocblas_evect_T0_lPS4_li: ; @_ZN9rocsolver6v33100L16syev_scalar_caseIfPfTnNSt9enable_ifIXnt18rocblas_is_complexIT_EEiE4typeELi0EEEv14rocblas_evect_T0_lPS4_li
; %bb.0:
	s_load_dword s0, s[4:5], 0x3c
	s_load_dword s1, s[4:5], 0x28
	s_waitcnt lgkmcnt(0)
	s_and_b32 s0, s0, 0xffff
	s_mul_i32 s6, s6, s0
	v_add_u32_e32 v2, s6, v0
	v_cmp_gt_i32_e32 vcc, s1, v2
	s_and_saveexec_b64 s[0:1], vcc
	s_cbranch_execz .LBB3_3
; %bb.1:
	s_load_dwordx8 s[8:15], s[4:5], 0x8
	v_ashrrev_i32_e32 v3, 31, v2
	s_load_dword s2, s[4:5], 0x0
	s_waitcnt lgkmcnt(0)
	v_mul_lo_u32 v4, v2, s11
	v_mul_lo_u32 v5, v3, s10
	v_mad_u64_u32 v[0:1], s[0:1], v2, s10, 0
	v_add3_u32 v1, v1, v4, v5
	v_lshlrev_b64 v[0:1], 2, v[0:1]
	v_mov_b32_e32 v4, s9
	v_add_co_u32_e32 v0, vcc, s8, v0
	v_addc_co_u32_e32 v1, vcc, v4, v1, vcc
	global_load_dword v4, v[0:1], off
	v_mul_lo_u32 v5, v2, s15
	v_mul_lo_u32 v6, v3, s14
	v_mad_u64_u32 v[2:3], s[0:1], v2, s14, 0
	v_add3_u32 v3, v3, v5, v6
	v_lshlrev_b64 v[2:3], 2, v[2:3]
	v_mov_b32_e32 v5, s13
	v_add_co_u32_e32 v2, vcc, s12, v2
	v_addc_co_u32_e32 v3, vcc, v5, v3, vcc
	s_cmpk_lg_i32 s2, 0xd3
	s_waitcnt vmcnt(0)
	global_store_dword v[2:3], v4, off
	s_cbranch_scc1 .LBB3_3
; %bb.2:
	v_mov_b32_e32 v2, 1.0
	global_store_dword v[0:1], v2, off
.LBB3_3:
	s_endpgm
	.section	.rodata,"a",@progbits
	.p2align	6, 0x0
	.amdhsa_kernel _ZN9rocsolver6v33100L16syev_scalar_caseIfPfTnNSt9enable_ifIXnt18rocblas_is_complexIT_EEiE4typeELi0EEEv14rocblas_evect_T0_lPS4_li
		.amdhsa_group_segment_fixed_size 0
		.amdhsa_private_segment_fixed_size 0
		.amdhsa_kernarg_size 304
		.amdhsa_user_sgpr_count 6
		.amdhsa_user_sgpr_private_segment_buffer 1
		.amdhsa_user_sgpr_dispatch_ptr 0
		.amdhsa_user_sgpr_queue_ptr 0
		.amdhsa_user_sgpr_kernarg_segment_ptr 1
		.amdhsa_user_sgpr_dispatch_id 0
		.amdhsa_user_sgpr_flat_scratch_init 0
		.amdhsa_user_sgpr_kernarg_preload_length 0
		.amdhsa_user_sgpr_kernarg_preload_offset 0
		.amdhsa_user_sgpr_private_segment_size 0
		.amdhsa_uses_dynamic_stack 0
		.amdhsa_system_sgpr_private_segment_wavefront_offset 0
		.amdhsa_system_sgpr_workgroup_id_x 1
		.amdhsa_system_sgpr_workgroup_id_y 0
		.amdhsa_system_sgpr_workgroup_id_z 0
		.amdhsa_system_sgpr_workgroup_info 0
		.amdhsa_system_vgpr_workitem_id 0
		.amdhsa_next_free_vgpr 7
		.amdhsa_next_free_sgpr 16
		.amdhsa_accum_offset 8
		.amdhsa_reserve_vcc 1
		.amdhsa_reserve_flat_scratch 0
		.amdhsa_float_round_mode_32 0
		.amdhsa_float_round_mode_16_64 0
		.amdhsa_float_denorm_mode_32 3
		.amdhsa_float_denorm_mode_16_64 3
		.amdhsa_dx10_clamp 1
		.amdhsa_ieee_mode 1
		.amdhsa_fp16_overflow 0
		.amdhsa_tg_split 0
		.amdhsa_exception_fp_ieee_invalid_op 0
		.amdhsa_exception_fp_denorm_src 0
		.amdhsa_exception_fp_ieee_div_zero 0
		.amdhsa_exception_fp_ieee_overflow 0
		.amdhsa_exception_fp_ieee_underflow 0
		.amdhsa_exception_fp_ieee_inexact 0
		.amdhsa_exception_int_div_zero 0
	.end_amdhsa_kernel
	.section	.text._ZN9rocsolver6v33100L16syev_scalar_caseIfPfTnNSt9enable_ifIXnt18rocblas_is_complexIT_EEiE4typeELi0EEEv14rocblas_evect_T0_lPS4_li,"axG",@progbits,_ZN9rocsolver6v33100L16syev_scalar_caseIfPfTnNSt9enable_ifIXnt18rocblas_is_complexIT_EEiE4typeELi0EEEv14rocblas_evect_T0_lPS4_li,comdat
.Lfunc_end3:
	.size	_ZN9rocsolver6v33100L16syev_scalar_caseIfPfTnNSt9enable_ifIXnt18rocblas_is_complexIT_EEiE4typeELi0EEEv14rocblas_evect_T0_lPS4_li, .Lfunc_end3-_ZN9rocsolver6v33100L16syev_scalar_caseIfPfTnNSt9enable_ifIXnt18rocblas_is_complexIT_EEiE4typeELi0EEEv14rocblas_evect_T0_lPS4_li
                                        ; -- End function
	.section	.AMDGPU.csdata,"",@progbits
; Kernel info:
; codeLenInByte = 220
; NumSgprs: 20
; NumVgprs: 7
; NumAgprs: 0
; TotalNumVgprs: 7
; ScratchSize: 0
; MemoryBound: 0
; FloatMode: 240
; IeeeMode: 1
; LDSByteSize: 0 bytes/workgroup (compile time only)
; SGPRBlocks: 2
; VGPRBlocks: 0
; NumSGPRsForWavesPerEU: 20
; NumVGPRsForWavesPerEU: 7
; AccumOffset: 8
; Occupancy: 8
; WaveLimiterHint : 0
; COMPUTE_PGM_RSRC2:SCRATCH_EN: 0
; COMPUTE_PGM_RSRC2:USER_SGPR: 6
; COMPUTE_PGM_RSRC2:TRAP_HANDLER: 0
; COMPUTE_PGM_RSRC2:TGID_X_EN: 1
; COMPUTE_PGM_RSRC2:TGID_Y_EN: 0
; COMPUTE_PGM_RSRC2:TGID_Z_EN: 0
; COMPUTE_PGM_RSRC2:TIDIG_COMP_CNT: 0
; COMPUTE_PGM_RSRC3_GFX90A:ACCUM_OFFSET: 1
; COMPUTE_PGM_RSRC3_GFX90A:TG_SPLIT: 0
	.section	.text._ZN9rocsolver6v33100L18syevj_small_kernelIffPfEEv14rocblas_esort_14rocblas_evect_13rocblas_fill_iT1_iilT0_S7_PS7_iPiS8_lS9_PT_,"axG",@progbits,_ZN9rocsolver6v33100L18syevj_small_kernelIffPfEEv14rocblas_esort_14rocblas_evect_13rocblas_fill_iT1_iilT0_S7_PS7_iPiS8_lS9_PT_,comdat
	.globl	_ZN9rocsolver6v33100L18syevj_small_kernelIffPfEEv14rocblas_esort_14rocblas_evect_13rocblas_fill_iT1_iilT0_S7_PS7_iPiS8_lS9_PT_ ; -- Begin function _ZN9rocsolver6v33100L18syevj_small_kernelIffPfEEv14rocblas_esort_14rocblas_evect_13rocblas_fill_iT1_iilT0_S7_PS7_iPiS8_lS9_PT_
	.p2align	8
	.type	_ZN9rocsolver6v33100L18syevj_small_kernelIffPfEEv14rocblas_esort_14rocblas_evect_13rocblas_fill_iT1_iilT0_S7_PS7_iPiS8_lS9_PT_,@function
_ZN9rocsolver6v33100L18syevj_small_kernelIffPfEEv14rocblas_esort_14rocblas_evect_13rocblas_fill_iT1_iilT0_S7_PS7_iPiS8_lS9_PT_: ; @_ZN9rocsolver6v33100L18syevj_small_kernelIffPfEEv14rocblas_esort_14rocblas_evect_13rocblas_fill_iT1_iilT0_S7_PS7_iPiS8_lS9_PT_
; %bb.0:
	s_load_dwordx8 s[16:23], s[4:5], 0x0
	s_load_dwordx2 s[0:1], s[4:5], 0x20
	s_load_dwordx2 s[8:9], s[4:5], 0x60
	s_ashr_i32 s43, s7, 31
	s_mov_b32 s42, s7
	s_waitcnt lgkmcnt(0)
	s_lshr_b32 s2, s19, 31
	s_add_i32 s2, s19, s2
	s_and_b32 s2, s2, -2
	s_sub_i32 s54, s19, s2
	s_add_i32 s54, s54, s19
	s_mul_i32 s1, s7, s1
	s_mul_hi_u32 s6, s7, s0
	s_lshr_b32 s2, s54, 31
	s_add_i32 s1, s6, s1
	s_mul_i32 s6, s43, s0
	s_add_i32 s2, s54, s2
	s_add_i32 s1, s1, s6
	s_mul_i32 s0, s7, s0
	s_ashr_i32 s36, s2, 1
	s_ashr_i32 s3, s22, 31
	s_lshl_b64 s[6:7], s[0:1], 2
	s_mov_b32 s2, s22
	s_add_u32 s0, s20, s6
	s_addc_u32 s1, s21, s7
	s_lshl_b64 s[48:49], s[2:3], 2
	s_add_u32 s34, s0, s48
	s_mul_i32 s0, s42, s19
	s_mul_i32 s0, s0, s19
	s_addc_u32 s35, s1, s49
	s_ashr_i32 s1, s0, 31
	s_lshl_b64 s[10:11], s[0:1], 2
	s_add_u32 s40, s8, s10
	s_addc_u32 s41, s9, s11
	s_min_i32 s33, s36, 0x100
	s_abs_i32 s0, s33
	v_cvt_f32_u32_e32 v1, s0
	s_sub_i32 s1, 0, s0
	s_ashr_i32 s55, s33, 31
	s_load_dwordx8 s[24:31], s[4:5], 0x40
	v_rcp_iflag_f32_e32 v1, v1
	v_mul_f32_e32 v1, 0x4f7ffffe, v1
	v_cvt_u32_f32_e32 v1, v1
	v_readfirstlane_b32 s2, v1
	s_mul_i32 s1, s1, s2
	s_mul_hi_u32 s1, s2, s1
	s_add_i32 s2, s2, s1
	s_lshr_b32 s1, s2, 22
	s_mul_i32 s3, s1, s0
	v_mul_hi_u32 v1, v0, s2
	s_sub_i32 s3, 0x400, s3
	v_mul_lo_u32 v2, v1, s0
	s_add_i32 s12, s1, 1
	s_sub_i32 s13, s3, s0
	v_sub_u32_e32 v2, v0, v2
	s_cmp_ge_u32 s3, s0
	v_add_u32_e32 v3, 1, v1
	v_cmp_le_u32_e32 vcc, s0, v2
	s_cselect_b32 s1, s12, s1
	v_cndmask_b32_e32 v1, v1, v3, vcc
	v_subrev_u32_e32 v3, s0, v2
	s_cselect_b32 s3, s13, s3
	s_add_i32 s12, s1, 1
	v_cndmask_b32_e32 v2, v2, v3, vcc
	s_cmp_ge_u32 s3, s0
	v_add_u32_e32 v3, 1, v1
	v_cmp_le_u32_e32 vcc, s0, v2
	s_cselect_b32 s1, s12, s1
	v_cndmask_b32_e32 v1, v1, v3, vcc
	s_xor_b32 s1, s1, s55
	v_xor_b32_e32 v19, s55, v1
	s_sub_i32 s38, s1, s55
	v_subrev_u32_e32 v2, s55, v19
	s_min_i32 s22, s36, s38
	v_mul_lo_u32 v18, v2, s33
	s_lshl_b32 s57, s22, 2
	v_sub_u32_e32 v23, v0, v18
	s_add_i32 s56, s57, 0
	v_cmp_eq_u32_e64 s[0:1], 0, v23
	s_and_saveexec_b64 s[12:13], s[0:1]
	s_cbranch_execz .LBB4_32
; %bb.1:
	s_cmpk_eq_i32 s18, 0x79
	v_cmp_gt_i32_e64 s[2:3], s19, v2
	s_cbranch_scc1 .LBB4_13
; %bb.2:
	v_mov_b32_e32 v1, 0
	v_mov_b32_e32 v3, 0
	s_and_saveexec_b64 s[14:15], s[2:3]
	s_cbranch_execz .LBB4_15
; %bb.3:
	s_cmpk_lg_i32 s17, 0xd5
	s_cselect_b64 s[50:51], -1, 0
	s_add_u32 s58, s8, s10
	v_ashrrev_i32_e32 v3, 31, v2
	s_addc_u32 s37, s9, s11
	v_lshlrev_b64 v[8:9], 2, v[2:3]
	v_mov_b32_e32 v20, s37
	v_add_co_u32_e32 v6, vcc, s58, v8
	s_ashr_i32 s39, s38, 31
	v_addc_co_u32_e32 v7, vcc, v20, v9, vcc
	s_ashr_i32 s37, s36, 31
	v_pk_mov_b32 v[12:13], s[38:39], s[38:39] op_sel:[0,1]
	v_cmp_lt_i64_e32 vcc, s[36:37], v[12:13]
	s_and_b64 s[44:45], vcc, exec
	s_cselect_b32 s45, s37, s39
	s_cselect_b32 s44, s36, s38
	s_ashr_i32 s47, s19, 31
	s_mov_b32 s46, s19
	s_lshl_b64 s[44:45], s[44:45], 2
	s_lshl_b64 s[46:47], s[46:47], 2
	s_add_u32 s6, s6, s48
	s_addc_u32 s7, s7, s49
	s_add_u32 s6, s20, s6
	s_addc_u32 s7, s21, s7
	v_mov_b32_e32 v1, s7
	v_add_co_u32_e32 v8, vcc, s6, v8
	s_ashr_i32 s7, s23, 31
	s_mov_b32 s6, s23
	v_cndmask_b32_e64 v3, 0, 1, s[50:51]
	v_mul_lo_u32 v11, s23, v2
	s_mul_i32 s18, s23, s22
	v_mul_lo_u32 v4, s19, v2
	s_mul_i32 s59, s19, s22
	v_addc_co_u32_e32 v9, vcc, v1, v9, vcc
	s_lshl_b64 s[48:49], s[6:7], 2
	s_mov_b64 s[20:21], 0
	v_mov_b32_e32 v1, 0
	v_mov_b32_e32 v21, s35
	;; [unrolled: 1-line block ×3, first 2 shown]
	v_cmp_ne_u32_e64 s[6:7], 1, v3
	v_mov_b32_e32 v24, 1.0
	v_mov_b32_e32 v25, 0
	v_mov_b32_e32 v10, v2
	;; [unrolled: 1-line block ×3, first 2 shown]
	s_branch .LBB4_6
.LBB4_4:                                ;   in Loop: Header=BB4_6 Depth=1
	s_or_b64 exec, exec, s[52:53]
.LBB4_5:                                ;   in Loop: Header=BB4_6 Depth=1
	s_or_b64 exec, exec, s[50:51]
	v_mov_b32_e32 v5, s45
	v_add_co_u32_e32 v6, vcc, s44, v6
	v_add_u32_e32 v10, s22, v10
	v_addc_co_u32_e32 v7, vcc, v7, v5, vcc
	v_cmp_le_i32_e32 vcc, s19, v10
	s_or_b64 s[20:21], vcc, s[20:21]
	v_add_co_u32_e32 v8, vcc, s44, v8
	v_fmac_f32_e32 v3, v26, v26
	v_add_u32_e32 v11, s18, v11
	v_add_u32_e32 v4, s59, v4
	v_addc_co_u32_e32 v9, vcc, v9, v5, vcc
	s_andn2_b64 exec, exec, s[20:21]
	s_cbranch_execz .LBB4_14
.LBB4_6:                                ; =>This Loop Header: Depth=1
                                        ;     Child Loop BB4_11 Depth 2
	v_mad_u64_u32 v[12:13], s[50:51], v10, s23, v[10:11]
	v_ashrrev_i32_e32 v13, 31, v12
	v_lshlrev_b64 v[12:13], 2, v[12:13]
	v_add_co_u32_e32 v12, vcc, s34, v12
	v_addc_co_u32_e32 v13, vcc, v21, v13, vcc
	global_load_dword v26, v[12:13], off
	v_mad_u64_u32 v[14:15], s[50:51], v10, s19, v[10:11]
	v_ashrrev_i32_e32 v15, 31, v14
	v_lshlrev_b64 v[14:15], 2, v[14:15]
	v_add_co_u32_e32 v14, vcc, s40, v14
	v_addc_co_u32_e32 v15, vcc, v22, v15, vcc
	s_and_b64 vcc, exec, s[6:7]
	s_waitcnt vmcnt(0)
	global_store_dword v[14:15], v26, off
	s_cbranch_vccnz .LBB4_8
; %bb.7:                                ;   in Loop: Header=BB4_6 Depth=1
	global_store_dword v[12:13], v24, off
.LBB4_8:                                ;   in Loop: Header=BB4_6 Depth=1
	v_cmp_lt_i32_e32 vcc, 0, v10
	s_and_saveexec_b64 s[50:51], vcc
	s_cbranch_execz .LBB4_5
; %bb.9:                                ;   in Loop: Header=BB4_6 Depth=1
	v_ashrrev_i32_e32 v5, 31, v4
	v_lshlrev_b64 v[12:13], 2, v[4:5]
	v_add_co_u32_e32 v12, vcc, s58, v12
	v_addc_co_u32_e32 v13, vcc, v20, v13, vcc
	s_mov_b32 s37, 0
	s_mov_b64 s[52:53], 0
	v_pk_mov_b32 v[14:15], v[8:9], v[8:9] op_sel:[0,1]
	v_pk_mov_b32 v[16:17], v[6:7], v[6:7] op_sel:[0,1]
	s_branch .LBB4_11
.LBB4_10:                               ;   in Loop: Header=BB4_11 Depth=2
	v_add_co_u32_e32 v12, vcc, 4, v12
	v_mul_f32_e32 v5, v5, v5
	v_addc_co_u32_e32 v13, vcc, 0, v13, vcc
	v_fmac_f32_e32 v1, 2.0, v5
	v_mov_b32_e32 v5, s47
	v_add_co_u32_e32 v16, vcc, s46, v16
	s_add_i32 s37, s37, 1
	v_addc_co_u32_e32 v17, vcc, v17, v5, vcc
	v_cmp_ge_i32_e32 vcc, s37, v10
	v_mov_b32_e32 v5, s49
	s_or_b64 s[52:53], vcc, s[52:53]
	v_add_co_u32_e32 v14, vcc, s48, v14
	v_addc_co_u32_e32 v15, vcc, v15, v5, vcc
	s_andn2_b64 exec, exec, s[52:53]
	s_cbranch_execz .LBB4_4
.LBB4_11:                               ;   Parent Loop BB4_6 Depth=1
                                        ; =>  This Inner Loop Header: Depth=2
	global_load_dword v5, v[14:15], off
	s_and_b64 vcc, exec, s[6:7]
	s_waitcnt vmcnt(0)
	global_store_dword v[16:17], v5, off
	global_store_dword v[12:13], v5, off
	s_cbranch_vccnz .LBB4_10
; %bb.12:                               ;   in Loop: Header=BB4_11 Depth=2
	v_add_u32_e32 v28, s37, v11
	v_ashrrev_i32_e32 v29, 31, v28
	v_lshlrev_b64 v[28:29], 2, v[28:29]
	v_add_co_u32_e32 v28, vcc, s34, v28
	v_addc_co_u32_e32 v29, vcc, v21, v29, vcc
	global_store_dword v[14:15], v25, off
	global_store_dword v[28:29], v25, off
	s_branch .LBB4_10
.LBB4_13:
                                        ; implicit-def: $vgpr1
                                        ; implicit-def: $vgpr3
	s_branch .LBB4_16
.LBB4_14:
	s_or_b64 exec, exec, s[20:21]
.LBB4_15:
	s_or_b64 exec, exec, s[14:15]
	s_cbranch_execnz .LBB4_29
.LBB4_16:
	v_mov_b32_e32 v1, 0
	v_mov_b32_e32 v3, 0
	s_and_saveexec_b64 s[14:15], s[2:3]
	s_cbranch_execz .LBB4_28
; %bb.17:
	s_cmpk_lg_i32 s17, 0xd5
	s_cselect_b64 s[2:3], -1, 0
	s_add_i32 s18, s19, -1
	v_mul_lo_u32 v1, s19, v2
	s_mul_i32 s6, s19, s18
	v_add_u32_e32 v4, s18, v1
	v_add_u32_e32 v1, s6, v19
	s_mul_i32 s6, s23, s18
	s_add_u32 s39, s8, s10
	v_subrev_u32_e32 v16, s55, v1
	v_add_u32_e32 v1, s6, v19
	v_cndmask_b32_e64 v3, 0, 1, s[2:3]
	v_mul_lo_u32 v7, s23, v2
	s_mul_i32 s37, s23, s22
	s_addc_u32 s48, s9, s11
	s_mul_i32 s49, s19, s22
	v_subrev_u32_e32 v17, s55, v1
	s_mov_b64 s[20:21], 0
	v_mov_b32_e32 v1, 0
	v_mov_b32_e32 v20, s35
	;; [unrolled: 1-line block ×3, first 2 shown]
	v_cmp_ne_u32_e64 s[2:3], 1, v3
	v_mov_b32_e32 v22, 1.0
	v_mov_b32_e32 v24, 0
	v_mov_b32_e32 v6, v2
	;; [unrolled: 1-line block ×3, first 2 shown]
	s_branch .LBB4_20
.LBB4_18:                               ;   in Loop: Header=BB4_20 Depth=1
	s_or_b64 exec, exec, s[46:47]
.LBB4_19:                               ;   in Loop: Header=BB4_20 Depth=1
	s_or_b64 exec, exec, s[44:45]
	v_add_u32_e32 v6, s22, v6
	v_cmp_le_i32_e32 vcc, s19, v6
	v_fmac_f32_e32 v3, v25, v25
	v_add_u32_e32 v7, s37, v7
	v_add_u32_e32 v4, s49, v4
	;; [unrolled: 1-line block ×3, first 2 shown]
	s_or_b64 s[20:21], vcc, s[20:21]
	v_add_u32_e32 v17, s22, v17
	s_andn2_b64 exec, exec, s[20:21]
	s_cbranch_execz .LBB4_27
.LBB4_20:                               ; =>This Loop Header: Depth=1
                                        ;     Child Loop BB4_25 Depth 2
	v_mad_u64_u32 v[8:9], s[6:7], v6, s23, v[6:7]
	v_ashrrev_i32_e32 v9, 31, v8
	v_lshlrev_b64 v[8:9], 2, v[8:9]
	v_add_co_u32_e32 v8, vcc, s34, v8
	v_addc_co_u32_e32 v9, vcc, v20, v9, vcc
	global_load_dword v25, v[8:9], off
	v_mad_u64_u32 v[10:11], s[6:7], v6, s19, v[6:7]
	v_ashrrev_i32_e32 v11, 31, v10
	v_lshlrev_b64 v[10:11], 2, v[10:11]
	v_add_co_u32_e32 v10, vcc, s40, v10
	v_addc_co_u32_e32 v11, vcc, v21, v11, vcc
	s_and_b64 vcc, exec, s[2:3]
	s_waitcnt vmcnt(0)
	global_store_dword v[10:11], v25, off
	s_cbranch_vccnz .LBB4_22
; %bb.21:                               ;   in Loop: Header=BB4_20 Depth=1
	global_store_dword v[8:9], v22, off
.LBB4_22:                               ;   in Loop: Header=BB4_20 Depth=1
	v_cmp_gt_i32_e32 vcc, s18, v6
	s_and_saveexec_b64 s[44:45], vcc
	s_cbranch_execz .LBB4_19
; %bb.23:                               ;   in Loop: Header=BB4_20 Depth=1
	v_ashrrev_i32_e32 v5, 31, v4
	v_lshlrev_b64 v[8:9], 2, v[4:5]
	v_mov_b32_e32 v5, s48
	v_add_co_u32_e32 v8, vcc, s39, v8
	v_addc_co_u32_e32 v9, vcc, v5, v9, vcc
	s_mov_b64 s[46:47], 0
	v_mov_b32_e32 v10, v17
	v_mov_b32_e32 v12, v16
	s_mov_b32 s50, s18
	s_branch .LBB4_25
.LBB4_24:                               ;   in Loop: Header=BB4_25 Depth=2
	v_add_co_u32_e32 v8, vcc, -4, v8
	s_add_i32 s50, s50, -1
	v_addc_co_u32_e32 v9, vcc, -1, v9, vcc
	v_mul_f32_e32 v5, v5, v5
	v_cmp_le_i32_e32 vcc, s50, v6
	v_fmac_f32_e32 v1, 2.0, v5
	v_subrev_u32_e32 v12, s19, v12
	s_or_b64 s[46:47], vcc, s[46:47]
	v_subrev_u32_e32 v10, s23, v10
	s_andn2_b64 exec, exec, s[46:47]
	s_cbranch_execz .LBB4_18
.LBB4_25:                               ;   Parent Loop BB4_20 Depth=1
                                        ; =>  This Inner Loop Header: Depth=2
	v_ashrrev_i32_e32 v11, 31, v10
	v_lshlrev_b64 v[14:15], 2, v[10:11]
	v_add_co_u32_e32 v14, vcc, s34, v14
	v_addc_co_u32_e32 v15, vcc, v20, v15, vcc
	global_load_dword v5, v[14:15], off
	v_ashrrev_i32_e32 v13, 31, v12
	v_lshlrev_b64 v[26:27], 2, v[12:13]
	v_add_co_u32_e64 v26, s[6:7], s40, v26
	s_and_b64 vcc, exec, s[2:3]
	v_addc_co_u32_e64 v27, s[6:7], v21, v27, s[6:7]
	s_waitcnt vmcnt(0)
	global_store_dword v[26:27], v5, off
	global_store_dword v[8:9], v5, off
	s_cbranch_vccnz .LBB4_24
; %bb.26:                               ;   in Loop: Header=BB4_25 Depth=2
	v_add_u32_e32 v26, s50, v7
	v_ashrrev_i32_e32 v27, 31, v26
	v_lshlrev_b64 v[26:27], 2, v[26:27]
	v_add_co_u32_e32 v26, vcc, s34, v26
	v_addc_co_u32_e32 v27, vcc, v20, v27, vcc
	global_store_dword v[14:15], v24, off
	global_store_dword v[26:27], v24, off
	s_branch .LBB4_24
.LBB4_27:
	s_or_b64 exec, exec, s[20:21]
.LBB4_28:
	s_or_b64 exec, exec, s[14:15]
.LBB4_29:
	v_lshlrev_b32_e32 v4, 2, v2
	v_add_u32_e32 v5, 0, v4
	ds_write_b32 v5, v1
	v_add_u32_e32 v1, s56, v4
	v_cmp_gt_i32_e32 vcc, s36, v2
	ds_write_b32 v1, v3
	s_and_b64 exec, exec, vcc
	s_cbranch_execz .LBB4_32
; %bb.30:
	v_lshlrev_b32_e32 v1, 2, v19
	v_lshl_add_u32 v1, s22, 3, v1
	s_lshl_b32 s2, s55, 2
	v_subrev_u32_e32 v1, s2, v1
	v_lshlrev_b32_e32 v3, 1, v19
	s_lshl_b32 s2, s55, 1
	s_lshl_b32 s6, s36, 2
	v_add_u32_e32 v1, 0, v1
	v_subrev_u32_e32 v3, s2, v3
	s_lshl_b32 s7, s22, 1
	s_mov_b64 s[2:3], 0
	v_mov_b32_e32 v4, v2
.LBB4_31:                               ; =>This Inner Loop Header: Depth=1
	v_add_u32_e32 v4, s22, v4
	v_cmp_le_i32_e32 vcc, s36, v4
	ds_write_b32 v1, v3
	v_add_u32_e32 v5, 1, v3
	v_add_u32_e32 v6, s6, v1
	;; [unrolled: 1-line block ×4, first 2 shown]
	s_or_b64 s[2:3], vcc, s[2:3]
	ds_write_b32 v6, v5
	s_andn2_b64 exec, exec, s[2:3]
	s_cbranch_execnz .LBB4_31
.LBB4_32:
	s_or_b64 exec, exec, s[12:13]
	s_cmp_gt_i32 s22, 0
	s_mov_b32 s2, 0
	s_cselect_b64 s[20:21], -1, 0
	s_cmp_lt_i32 s22, 1
	v_mov_b32_e32 v5, 0
	v_mov_b32_e32 v4, 0
	s_waitcnt lgkmcnt(0)
	s_barrier
	s_cbranch_scc1 .LBB4_40
; %bb.33:
	s_cmp_lt_u32 s22, 8
	s_cbranch_scc1 .LBB4_37
; %bb.34:
	v_mov_b32_e32 v4, 0
	s_and_b32 s2, s22, 0x7ffffff8
	s_mov_b32 s3, 0
	s_mov_b32 s6, 0
	v_mov_b32_e32 v5, v4
.LBB4_35:                               ; =>This Inner Loop Header: Depth=1
	v_mov_b32_e32 v1, s3
	s_add_i32 s7, s3, s57
	ds_read2_b64 v[6:9], v1 offset1:1
	ds_read2_b64 v[10:13], v1 offset0:2 offset1:3
	v_mov_b32_e32 v3, s7
	ds_read2_b32 v[14:15], v3 offset1:1
	ds_read2_b32 v[16:17], v3 offset0:2 offset1:3
	ds_read2_b32 v[20:21], v3 offset0:4 offset1:5
	;; [unrolled: 1-line block ×3, first 2 shown]
	s_add_i32 s6, s6, 8
	s_waitcnt lgkmcnt(5)
	v_mov_b32_e32 v27, v6
	s_waitcnt lgkmcnt(3)
	v_mov_b32_e32 v26, v14
	v_mov_b32_e32 v6, v15
	v_pk_add_f32 v[4:5], v[4:5], v[26:27]
	v_mov_b32_e32 v29, v8
	s_waitcnt lgkmcnt(2)
	v_mov_b32_e32 v28, v16
	v_pk_add_f32 v[4:5], v[4:5], v[6:7]
	v_mov_b32_e32 v8, v17
	v_pk_add_f32 v[4:5], v[4:5], v[28:29]
	v_mov_b32_e32 v31, v10
	s_waitcnt lgkmcnt(1)
	v_mov_b32_e32 v30, v20
	v_pk_add_f32 v[4:5], v[4:5], v[8:9]
	;; [unrolled: 6-line block ×3, first 2 shown]
	s_add_i32 s3, s3, 32
	v_mov_b32_e32 v12, v25
	v_pk_add_f32 v[4:5], v[4:5], v[32:33]
	s_cmp_lg_u32 s2, s6
	v_pk_add_f32 v[4:5], v[4:5], v[12:13]
	s_cbranch_scc1 .LBB4_35
; %bb.36:
	s_and_b32 s3, s22, 7
	s_cmp_eq_u32 s3, 0
	s_cbranch_scc0 .LBB4_38
	s_branch .LBB4_40
.LBB4_37:
	s_mov_b32 s3, s2
	v_pk_mov_b32 v[4:5], s[2:3], s[2:3] op_sel:[0,1]
	s_and_b32 s3, s22, 7
	s_cmp_eq_u32 s3, 0
	s_cbranch_scc1 .LBB4_40
.LBB4_38:
	s_lshl_b32 s2, s2, 2
	s_add_i32 s2, s2, 0
.LBB4_39:                               ; =>This Inner Loop Header: Depth=1
	v_mov_b32_e32 v1, s2
	s_add_i32 s6, s2, s57
	v_mov_b32_e32 v3, s6
	ds_read_b32 v7, v1
	ds_read_b32 v6, v3
	s_add_i32 s2, s2, 4
	s_add_i32 s3, s3, -1
	s_cmp_lg_u32 s3, 0
	s_waitcnt lgkmcnt(0)
	v_pk_add_f32 v[4:5], v[4:5], v[6:7]
	s_cbranch_scc1 .LBB4_39
.LBB4_40:
	s_load_dwordx2 s[2:3], s[4:5], 0x28
	s_load_dword s18, s[4:5], 0x38
	v_add_f32_e32 v1, v4, v5
	s_mov_b32 s74, 0
	s_waitcnt lgkmcnt(0)
	v_mul_f32_e32 v1, s2, v1
	s_cmp_gt_i32 s18, 0
	v_mul_f32_e32 v1, s2, v1
	s_cselect_b64 s[6:7], -1, 0
	v_cmp_gt_f32_e32 vcc, v5, v1
	s_and_b64 s[6:7], s[6:7], vcc
	s_andn2_b64 vcc, exec, s[6:7]
	s_cbranch_vccnz .LBB4_120
; %bb.41:
	v_mov_b32_e32 v3, 0x800000
	v_div_scale_f32 v4, s[6:7], s3, s3, v3
	v_rcp_f32_e32 v5, v4
	s_mov_b32 s2, 0x800000
	v_mov_b32_e32 v6, s3
	v_div_scale_f32 v6, vcc, s2, v6, s2
	v_fma_f32 v7, -v4, v5, 1.0
	v_fmac_f32_e32 v5, v7, v5
	v_mul_f32_e32 v7, v6, v5
	v_fma_f32 v8, -v4, v7, v6
	v_fmac_f32_e32 v7, v8, v5
	v_fma_f32 v4, -v4, v7, v6
	v_div_fmas_f32 v4, v4, v5, v7
	s_abs_i32 s2, s22
	v_div_fixup_f32 v20, v4, s3, v3
	v_cvt_f32_u32_e32 v3, s2
	s_sub_i32 s7, 0, s2
	s_add_i32 s75, s56, s57
	s_lshl_b32 s3, s36, 2
	v_rcp_iflag_f32_e32 v3, v3
	s_add_i32 s76, s75, s3
	s_add_i32 s3, s36, -1
	s_xor_b32 s6, s3, s22
	v_mul_f32_e32 v3, 0x4f7ffffe, v3
	v_cvt_u32_f32_e32 v3, v3
	s_abs_i32 s3, s3
	s_ashr_i32 s6, s6, 31
	v_mov_b32_e32 v26, 0
	v_readfirstlane_b32 s12, v3
	s_mul_i32 s7, s7, s12
	s_mul_hi_u32 s7, s12, s7
	s_add_i32 s12, s12, s7
	s_mul_hi_u32 s7, s3, s12
	s_mul_i32 s12, s7, s2
	s_sub_i32 s3, s3, s12
	s_add_i32 s12, s7, 1
	s_sub_i32 s13, s3, s2
	s_cmp_ge_u32 s3, s2
	s_cselect_b32 s7, s12, s7
	s_cselect_b32 s3, s13, s3
	s_add_i32 s12, s7, 1
	s_cmp_ge_u32 s3, s2
	s_cselect_b32 s2, s12, s7
	s_xor_b32 s2, s2, s6
	s_sub_i32 s77, s2, s6
	s_add_i32 s78, s54, -1
	s_cmp_gt_i32 s54, 1
	s_cselect_b64 s[44:45], -1, 0
	s_cmp_gt_i32 s77, -1
	s_cselect_b64 s[46:47], -1, 0
	s_add_i32 s79, s19, 1
	s_cmpk_lg_i32 s17, 0xd5
	s_cselect_b64 s[48:49], -1, 0
	s_max_i32 s80, s78, 1
	s_and_b32 s81, s22, 7
	s_cmp_gt_u32 s22, 7
	v_lshlrev_b32_e32 v3, 2, v2
	s_cselect_b64 s[50:51], -1, 0
	s_and_b32 s82, s22, 0x7ffffff8
	v_add_u32_e32 v21, 0, v3
	v_add_u32_e32 v22, s56, v3
	s_cmp_lg_u32 s81, 0
	v_sub_u32_e32 v3, s55, v19
	s_cselect_b64 s[52:53], -1, 0
	v_mad_u64_u32 v[4:5], s[12:13], s33, v3, v[0:1]
	s_lshl_b32 s54, s33, 1
	s_ashr_i32 s55, s54, 31
	s_mul_i32 s12, s19, s33
	v_lshlrev_b32_e32 v0, 1, v0
	v_lshlrev_b32_e32 v3, 1, v18
	s_lshl_b64 s[56:57], s[54:55], 2
	s_lshl_b32 s55, s12, 1
	v_sub_u32_e32 v0, v0, v3
	v_ashrrev_i32_e32 v3, 31, v2
	s_add_u32 s8, s8, s10
	v_lshlrev_b64 v[6:7], 2, v[2:3]
	s_addc_u32 s9, s9, s11
	v_mov_b32_e32 v3, s9
	v_add_co_u32_e32 v6, vcc, s8, v6
	s_ashr_i32 s39, s38, 31
	v_addc_co_u32_e32 v7, vcc, v3, v7, vcc
	s_ashr_i32 s37, s36, 31
	v_pk_mov_b32 v[8:9], s[38:39], s[38:39] op_sel:[0,1]
	v_cmp_lt_i64_e32 vcc, s[36:37], v[8:9]
	s_and_b64 s[8:9], vcc, exec
	s_cselect_b32 s9, s37, s39
	s_cselect_b32 s8, s36, s38
	v_cmp_gt_i32_e64 s[2:3], s36, v23
	v_or_b32_e32 v23, 1, v0
	s_lshl_b64 s[58:59], s[8:9], 2
	s_ashr_i32 s9, s19, 31
	s_mov_b32 s8, s19
	v_cmp_gt_i32_e64 s[6:7], s19, v2
	v_mul_lo_u32 v24, s19, v23
	v_mul_lo_u32 v25, s19, v0
	s_lshl_b64 s[60:61], s[8:9], 2
	s_mov_b32 s37, 0x7f800000
	s_mov_b32 s39, 0xf800000
	v_mov_b32_e32 v3, 0x260
	v_mov_b32_e32 v27, 0x7f800000
	;; [unrolled: 1-line block ×3, first 2 shown]
                                        ; implicit-def: $vgpr12
                                        ; implicit-def: $vgpr30
                                        ; implicit-def: $vgpr29
	s_branch .LBB4_44
.LBB4_42:                               ;   in Loop: Header=BB4_44 Depth=1
	v_mov_b32_e32 v5, 0
.LBB4_43:                               ;   in Loop: Header=BB4_44 Depth=1
	s_add_i32 s74, s74, 1
	s_cmp_lt_i32 s74, s18
	s_cselect_b64 s[8:9], -1, 0
	v_cmp_gt_f32_e32 vcc, v5, v1
	s_and_b64 s[8:9], s[8:9], vcc
	s_and_b64 vcc, exec, s[8:9]
	s_cbranch_vccz .LBB4_120
.LBB4_44:                               ; =>This Loop Header: Depth=1
                                        ;     Child Loop BB4_47 Depth 2
                                        ;       Child Loop BB4_49 Depth 3
                                        ;         Child Loop BB4_74 Depth 4
                                        ;         Child Loop BB4_84 Depth 4
                                        ;     Child Loop BB4_106 Depth 2
                                        ;       Child Loop BB4_108 Depth 3
                                        ;     Child Loop BB4_115 Depth 2
                                        ;     Child Loop BB4_119 Depth 2
	s_andn2_b64 vcc, exec, s[44:45]
	s_cbranch_vccnz .LBB4_102
; %bb.45:                               ;   in Loop: Header=BB4_44 Depth=1
	s_mov_b32 s83, 0
	s_branch .LBB4_47
.LBB4_46:                               ;   in Loop: Header=BB4_47 Depth=2
	s_add_i32 s83, s83, 1
	s_cmp_eq_u32 s83, s80
	s_cbranch_scc1 .LBB4_102
.LBB4_47:                               ;   Parent Loop BB4_44 Depth=1
                                        ; =>  This Loop Header: Depth=2
                                        ;       Child Loop BB4_49 Depth 3
                                        ;         Child Loop BB4_74 Depth 4
                                        ;         Child Loop BB4_84 Depth 4
	s_andn2_b64 vcc, exec, s[46:47]
	s_cbranch_vccnz .LBB4_46
; %bb.48:                               ;   in Loop: Header=BB4_47 Depth=2
	s_mov_b32 s84, 0
.LBB4_49:                               ;   Parent Loop BB4_44 Depth=1
                                        ;     Parent Loop BB4_47 Depth=2
                                        ; =>    This Loop Header: Depth=3
                                        ;         Child Loop BB4_74 Depth 4
                                        ;         Child Loop BB4_84 Depth 4
	s_mul_i32 s8, s84, s22
	v_add_u32_e32 v9, s8, v2
	v_cmp_gt_i32_e64 s[8:9], s36, v9
	v_mov_b32_e32 v10, s19
	s_and_saveexec_b64 s[10:11], s[8:9]
	s_cbranch_execz .LBB4_51
; %bb.50:                               ;   in Loop: Header=BB4_49 Depth=3
	v_lshl_add_u32 v5, v9, 2, s75
	ds_read_b32 v10, v5
.LBB4_51:                               ;   in Loop: Header=BB4_49 Depth=3
	s_or_b64 exec, exec, s[10:11]
	v_mov_b32_e32 v8, s19
	v_lshl_add_u32 v5, v9, 2, s76
	s_and_saveexec_b64 s[10:11], s[8:9]
	s_cbranch_execz .LBB4_53
; %bb.52:                               ;   in Loop: Header=BB4_49 Depth=3
	ds_read_b32 v8, v5
.LBB4_53:                               ;   in Loop: Header=BB4_49 Depth=3
	s_or_b64 exec, exec, s[10:11]
	s_waitcnt lgkmcnt(0)
	v_cmp_gt_i32_e64 s[10:11], s19, v10
	s_and_b64 s[14:15], s[0:1], s[10:11]
	v_cmp_gt_i32_e64 s[12:13], s19, v8
	s_and_b64 s[62:63], s[14:15], s[12:13]
	s_and_saveexec_b64 s[64:65], s[62:63]
	s_cbranch_execz .LBB4_69
; %bb.54:                               ;   in Loop: Header=BB4_49 Depth=3
	v_mul_lo_u32 v13, v8, s19
	v_add_u32_e32 v14, v13, v10
	v_ashrrev_i32_e32 v15, 31, v14
	v_lshlrev_b64 v[14:15], 2, v[14:15]
	v_mov_b32_e32 v11, s41
	v_add_co_u32_e32 v14, vcc, s40, v14
	v_addc_co_u32_e32 v15, vcc, v11, v15, vcc
	global_load_dword v11, v[14:15], off
	v_mov_b32_e32 v30, 0
	v_mov_b32_e32 v29, 1.0
	s_waitcnt vmcnt(0)
	v_mul_f32_e32 v14, v11, v11
	v_cmp_nlt_f32_e32 vcc, v14, v20
	s_and_saveexec_b64 s[66:67], vcc
	s_cbranch_execz .LBB4_68
; %bb.55:                               ;   in Loop: Header=BB4_49 Depth=3
	v_add_u32_e32 v14, v13, v8
	v_ashrrev_i32_e32 v15, 31, v14
	v_lshlrev_b64 v[14:15], 2, v[14:15]
	v_mul_lo_u32 v16, v10, s79
	v_mov_b32_e32 v13, s41
	v_add_co_u32_e32 v14, vcc, s40, v14
	v_ashrrev_i32_e32 v17, 31, v16
	v_addc_co_u32_e32 v15, vcc, v13, v15, vcc
	v_lshlrev_b64 v[16:17], 2, v[16:17]
	v_add_co_u32_e32 v16, vcc, s40, v16
	v_addc_co_u32_e32 v17, vcc, v13, v17, vcc
	global_load_dword v14, v[14:15], off
	s_nop 0
	global_load_dword v15, v[16:17], off
	v_add_f32_e64 v13, |v11|, |v11|
	s_waitcnt vmcnt(0)
	v_sub_f32_e32 v14, v14, v15
	v_max_f32_e64 v15, |v14|, |v13|
	v_cvt_f64_f32_e32 v[16:17], v15
	v_frexp_exp_i32_f64_e32 v17, v[16:17]
	v_sub_u32_e32 v16, 0, v17
	v_ldexp_f32 v18, |v14|, v16
	v_ldexp_f32 v16, |v13|, v16
	v_mul_f32_e32 v16, v16, v16
	v_fmac_f32_e32 v16, v18, v18
	v_sqrt_f32_e32 v18, v16
	v_cmp_ngt_f32_e32 vcc, 0, v14
                                        ; implicit-def: $vgpr16
	s_and_saveexec_b64 s[14:15], vcc
	s_xor_b64 s[14:15], exec, s[14:15]
; %bb.56:                               ;   in Loop: Header=BB4_49 Depth=3
	v_ldexp_f32 v16, v18, v17
	v_cmp_neq_f32_e32 vcc, s37, v15
	v_cndmask_b32_e32 v16, v27, v16, vcc
                                        ; implicit-def: $vgpr18
                                        ; implicit-def: $vgpr17
                                        ; implicit-def: $vgpr15
; %bb.57:                               ;   in Loop: Header=BB4_49 Depth=3
	s_andn2_saveexec_b64 s[14:15], s[14:15]
; %bb.58:                               ;   in Loop: Header=BB4_49 Depth=3
	v_ldexp_f32 v16, -v18, v17
	v_cmp_neq_f32_e32 vcc, s37, v15
	v_cndmask_b32_e32 v16, v28, v16, vcc
; %bb.59:                               ;   in Loop: Header=BB4_49 Depth=3
	s_or_b64 exec, exec, s[14:15]
	v_cmp_neq_f32_e32 vcc, 0, v13
	v_mov_b32_e32 v29, 1.0
	v_mov_b32_e32 v15, 0
	s_and_saveexec_b64 s[68:69], vcc
	s_cbranch_execz .LBB4_67
; %bb.60:                               ;   in Loop: Header=BB4_49 Depth=3
	v_add_f32_e32 v14, v14, v16
	v_cmp_neq_f32_e32 vcc, 0, v14
	v_mov_b32_e32 v15, 1.0
	v_mov_b32_e32 v29, 0
	s_and_saveexec_b64 s[70:71], vcc
	s_cbranch_execz .LBB4_66
; %bb.61:                               ;   in Loop: Header=BB4_49 Depth=3
	v_cmp_ngt_f32_e64 s[14:15], |v13|, |v14|
                                        ; implicit-def: $vgpr15
                                        ; implicit-def: $vgpr29
	s_and_saveexec_b64 s[72:73], s[14:15]
	s_xor_b64 s[72:73], exec, s[72:73]
	s_cbranch_execz .LBB4_63
; %bb.62:                               ;   in Loop: Header=BB4_49 Depth=3
	v_div_scale_f32 v15, s[14:15], v14, v14, -v13
	v_rcp_f32_e32 v16, v15
	v_div_scale_f32 v17, vcc, -v13, v14, -v13
	v_fma_f32 v18, -v15, v16, 1.0
	v_fmac_f32_e32 v16, v18, v16
	v_mul_f32_e32 v18, v17, v16
	v_fma_f32 v19, -v15, v18, v17
	v_fmac_f32_e32 v18, v19, v16
	v_fma_f32 v15, -v15, v18, v17
	v_div_fmas_f32 v15, v15, v16, v18
	v_div_fixup_f32 v13, v15, v14, -v13
	v_fma_f32 v14, v13, v13, 1.0
	v_mul_f32_e32 v15, 0x4f800000, v14
	v_cmp_gt_f32_e32 vcc, s39, v14
	v_cndmask_b32_e32 v14, v14, v15, vcc
	v_sqrt_f32_e32 v15, v14
	v_add_u32_e32 v16, -1, v15
	v_fma_f32 v17, -v16, v15, v14
	v_cmp_ge_f32_e64 s[14:15], 0, v17
	v_add_u32_e32 v17, 1, v15
	v_cndmask_b32_e64 v16, v15, v16, s[14:15]
	v_fma_f32 v15, -v17, v15, v14
	v_cmp_lt_f32_e64 s[14:15], 0, v15
	v_cndmask_b32_e64 v15, v16, v17, s[14:15]
	v_mul_f32_e32 v16, 0x37800000, v15
	v_cndmask_b32_e32 v15, v15, v16, vcc
	v_cmp_class_f32_e32 vcc, v14, v3
	v_cndmask_b32_e32 v14, v15, v14, vcc
	v_div_scale_f32 v15, s[14:15], v14, v14, 1.0
	v_rcp_f32_e32 v16, v15
	v_fma_f32 v17, -v15, v16, 1.0
	v_fmac_f32_e32 v16, v17, v16
	v_div_scale_f32 v17, vcc, 1.0, v14, 1.0
	v_mul_f32_e32 v18, v17, v16
	v_fma_f32 v19, -v15, v18, v17
	v_fmac_f32_e32 v18, v19, v16
	v_fma_f32 v15, -v15, v18, v17
	v_div_fmas_f32 v15, v15, v16, v18
	v_div_fixup_f32 v29, v15, v14, 1.0
	v_mul_f32_e32 v15, v13, v29
                                        ; implicit-def: $vgpr13
                                        ; implicit-def: $vgpr14
.LBB4_63:                               ;   in Loop: Header=BB4_49 Depth=3
	s_andn2_saveexec_b64 s[72:73], s[72:73]
	s_cbranch_execz .LBB4_65
; %bb.64:                               ;   in Loop: Header=BB4_49 Depth=3
	v_div_scale_f32 v15, s[14:15], v13, v13, -v14
	v_rcp_f32_e32 v16, v15
	v_div_scale_f32 v17, vcc, -v14, v13, -v14
	v_fma_f32 v18, -v15, v16, 1.0
	v_fmac_f32_e32 v16, v18, v16
	v_mul_f32_e32 v18, v17, v16
	v_fma_f32 v19, -v15, v18, v17
	v_fmac_f32_e32 v18, v19, v16
	v_fma_f32 v15, -v15, v18, v17
	v_div_fmas_f32 v15, v15, v16, v18
	v_div_fixup_f32 v13, v15, v13, -v14
	v_fma_f32 v14, v13, v13, 1.0
	v_mul_f32_e32 v15, 0x4f800000, v14
	v_cmp_gt_f32_e32 vcc, s39, v14
	v_cndmask_b32_e32 v14, v14, v15, vcc
	v_sqrt_f32_e32 v15, v14
	v_add_u32_e32 v16, -1, v15
	v_fma_f32 v17, -v16, v15, v14
	v_cmp_ge_f32_e64 s[14:15], 0, v17
	v_add_u32_e32 v17, 1, v15
	v_cndmask_b32_e64 v16, v15, v16, s[14:15]
	v_fma_f32 v15, -v17, v15, v14
	v_cmp_lt_f32_e64 s[14:15], 0, v15
	v_cndmask_b32_e64 v15, v16, v17, s[14:15]
	v_mul_f32_e32 v16, 0x37800000, v15
	v_cndmask_b32_e32 v15, v15, v16, vcc
	v_cmp_class_f32_e32 vcc, v14, v3
	v_cndmask_b32_e32 v14, v15, v14, vcc
	v_div_scale_f32 v15, s[14:15], v14, v14, 1.0
	v_rcp_f32_e32 v16, v15
	v_fma_f32 v17, -v15, v16, 1.0
	v_fmac_f32_e32 v16, v17, v16
	v_div_scale_f32 v17, vcc, 1.0, v14, 1.0
	v_mul_f32_e32 v18, v17, v16
	v_fma_f32 v19, -v15, v18, v17
	v_fmac_f32_e32 v18, v19, v16
	v_fma_f32 v15, -v15, v18, v17
	v_div_fmas_f32 v15, v15, v16, v18
	v_div_fixup_f32 v15, v15, v14, 1.0
	v_mul_f32_e32 v29, v13, v15
.LBB4_65:                               ;   in Loop: Header=BB4_49 Depth=3
	s_or_b64 exec, exec, s[72:73]
.LBB4_66:                               ;   in Loop: Header=BB4_49 Depth=3
	s_or_b64 exec, exec, s[70:71]
.LBB4_67:                               ;   in Loop: Header=BB4_49 Depth=3
	s_or_b64 exec, exec, s[68:69]
	v_mul_f32_e32 v13, v11, v15
	v_and_b32_e32 v14, 0x7fffffff, v11
	v_div_scale_f32 v15, s[14:15], v14, v14, v13
	v_rcp_f32_e32 v16, v15
	v_div_scale_f32 v14, vcc, v13, v14, v13
	v_fma_f32 v17, -v15, v16, 1.0
	v_fmac_f32_e32 v16, v17, v16
	v_mul_f32_e32 v17, v14, v16
	v_fma_f32 v18, -v15, v17, v14
	v_fmac_f32_e32 v17, v18, v16
	v_fma_f32 v14, -v15, v17, v14
	v_div_fmas_f32 v14, v14, v16, v17
	v_div_fixup_f32 v30, v14, |v11|, v13
.LBB4_68:                               ;   in Loop: Header=BB4_49 Depth=3
	s_or_b64 exec, exec, s[66:67]
	ds_write_b32 v21, v29
	ds_write_b32 v22, v30
.LBB4_69:                               ;   in Loop: Header=BB4_49 Depth=3
	s_or_b64 exec, exec, s[64:65]
	s_and_b64 s[10:11], s[10:11], s[12:13]
	s_mov_b64 s[14:15], 0
	s_waitcnt lgkmcnt(0)
	s_barrier
	s_and_saveexec_b64 s[12:13], s[10:11]
	s_cbranch_execz .LBB4_81
; %bb.70:                               ;   in Loop: Header=BB4_49 Depth=3
	ds_read_b32 v29, v21
	ds_read_b32 v30, v22
	s_mov_b64 s[10:11], 0
	s_and_saveexec_b64 s[14:15], s[2:3]
	s_cbranch_execz .LBB4_80
; %bb.71:                               ;   in Loop: Header=BB4_49 Depth=3
	v_mad_u64_u32 v[12:13], s[10:11], v8, s19, v[0:1]
	v_mad_u64_u32 v[14:15], s[10:11], v10, s19, v[0:1]
	v_ashrrev_i32_e32 v13, 31, v12
	v_ashrrev_i32_e32 v15, 31, v14
	v_mul_lo_u32 v11, v10, s23
	v_mul_lo_u32 v31, v8, s23
	v_lshlrev_b64 v[12:13], 2, v[12:13]
	v_lshlrev_b64 v[14:15], 2, v[14:15]
	s_mov_b64 s[64:65], 0
	s_mov_b64 s[66:67], s[40:41]
	v_mov_b32_e32 v32, v0
	v_mov_b32_e32 v33, v4
	s_branch .LBB4_74
.LBB4_72:                               ;   in Loop: Header=BB4_74 Depth=4
	s_or_b64 exec, exec, s[68:69]
.LBB4_73:                               ;   in Loop: Header=BB4_74 Depth=4
	v_add_u32_e32 v33, s33, v33
	s_add_u32 s66, s66, s56
	s_addc_u32 s67, s67, s57
	v_cmp_le_i32_e32 vcc, s36, v33
	s_or_b64 s[64:65], vcc, s[64:65]
	v_add_u32_e32 v32, s54, v32
	s_andn2_b64 exec, exec, s[64:65]
	s_cbranch_execz .LBB4_79
.LBB4_74:                               ;   Parent Loop BB4_44 Depth=1
                                        ;     Parent Loop BB4_47 Depth=2
                                        ;       Parent Loop BB4_49 Depth=3
                                        ; =>      This Inner Loop Header: Depth=4
	v_mov_b32_e32 v19, s67
	v_add_co_u32_e32 v16, vcc, s66, v14
	v_addc_co_u32_e32 v17, vcc, v19, v15, vcc
	v_add_co_u32_e32 v18, vcc, s66, v12
	v_addc_co_u32_e32 v19, vcc, v19, v13, vcc
	global_load_dword v34, v[18:19], off
	global_load_dword v35, v[16:17], off
	v_add_u32_e32 v36, 1, v32
	v_cmp_gt_i32_e64 s[10:11], s19, v36
	s_waitcnt vmcnt(1) lgkmcnt(0)
	v_mul_f32_e32 v37, v30, v34
	s_waitcnt vmcnt(0)
	v_mul_f32_e32 v38, v30, v35
	v_fmac_f32_e32 v37, v29, v35
	v_fma_f32 v34, v29, v34, -v38
	global_store_dword v[16:17], v37, off
	global_store_dword v[18:19], v34, off
	s_and_saveexec_b64 s[68:69], s[10:11]
	s_cbranch_execz .LBB4_76
; %bb.75:                               ;   in Loop: Header=BB4_74 Depth=4
	global_load_dword v34, v[18:19], off offset:4
	global_load_dword v35, v[16:17], off offset:4
	s_waitcnt vmcnt(1)
	v_mul_f32_e32 v36, v30, v34
	s_waitcnt vmcnt(0)
	v_mul_f32_e32 v37, v30, v35
	v_fmac_f32_e32 v36, v29, v35
	v_fma_f32 v34, v29, v34, -v37
	global_store_dword v[16:17], v36, off offset:4
	global_store_dword v[18:19], v34, off offset:4
.LBB4_76:                               ;   in Loop: Header=BB4_74 Depth=4
	s_or_b64 exec, exec, s[68:69]
	s_andn2_b64 vcc, exec, s[48:49]
	s_cbranch_vccnz .LBB4_73
; %bb.77:                               ;   in Loop: Header=BB4_74 Depth=4
	v_add_u32_e32 v16, v11, v32
	v_ashrrev_i32_e32 v17, 31, v16
	v_lshlrev_b64 v[16:17], 2, v[16:17]
	v_mov_b32_e32 v18, s35
	v_add_co_u32_e32 v16, vcc, s34, v16
	v_addc_co_u32_e32 v17, vcc, v18, v17, vcc
	v_add_u32_e32 v18, v31, v32
	v_ashrrev_i32_e32 v19, 31, v18
	v_lshlrev_b64 v[18:19], 2, v[18:19]
	v_mov_b32_e32 v34, s35
	v_add_co_u32_e32 v18, vcc, s34, v18
	v_addc_co_u32_e32 v19, vcc, v34, v19, vcc
	global_load_dword v34, v[18:19], off
	global_load_dword v35, v[16:17], off
	s_waitcnt vmcnt(1)
	v_mul_f32_e32 v36, v30, v34
	s_waitcnt vmcnt(0)
	v_mul_f32_e32 v37, v30, v35
	v_fmac_f32_e32 v36, v29, v35
	v_fma_f32 v34, v29, v34, -v37
	global_store_dword v[16:17], v36, off
	global_store_dword v[18:19], v34, off
	s_and_saveexec_b64 s[68:69], s[10:11]
	s_cbranch_execz .LBB4_72
; %bb.78:                               ;   in Loop: Header=BB4_74 Depth=4
	global_load_dword v34, v[18:19], off offset:4
	global_load_dword v35, v[16:17], off offset:4
	s_waitcnt vmcnt(1)
	v_mul_f32_e32 v36, v30, v34
	s_waitcnt vmcnt(0)
	v_mul_f32_e32 v37, v30, v35
	v_fmac_f32_e32 v36, v29, v35
	v_fma_f32 v34, v29, v34, -v37
	global_store_dword v[16:17], v36, off offset:4
	global_store_dword v[18:19], v34, off offset:4
	s_branch .LBB4_72
.LBB4_79:                               ;   in Loop: Header=BB4_49 Depth=3
	s_or_b64 exec, exec, s[64:65]
	s_mov_b64 s[10:11], exec
.LBB4_80:                               ;   in Loop: Header=BB4_49 Depth=3
	s_or_b64 exec, exec, s[14:15]
	s_and_b64 s[14:15], s[10:11], exec
	s_waitcnt lgkmcnt(0)
	v_mov_b32_e32 v12, v30
.LBB4_81:                               ;   in Loop: Header=BB4_49 Depth=3
	s_or_b64 exec, exec, s[12:13]
	s_barrier
	s_and_saveexec_b64 s[10:11], s[14:15]
	s_cbranch_execz .LBB4_86
; %bb.82:                               ;   in Loop: Header=BB4_49 Depth=3
	v_add_u32_e32 v11, v24, v10
	v_add_u32_e32 v13, v24, v8
	;; [unrolled: 1-line block ×4, first 2 shown]
	s_mov_b32 s64, 0
	s_mov_b64 s[12:13], 0
	v_mov_b32_e32 v16, v23
	v_mov_b32_e32 v17, v4
	s_branch .LBB4_84
.LBB4_83:                               ;   in Loop: Header=BB4_84 Depth=4
	s_or_b64 exec, exec, s[14:15]
	v_add_u32_e32 v17, s33, v17
	s_add_i32 s64, s64, s55
	v_cmp_le_i32_e32 vcc, s36, v17
	s_or_b64 s[12:13], vcc, s[12:13]
	v_add_u32_e32 v16, s54, v16
	s_andn2_b64 exec, exec, s[12:13]
	s_cbranch_execz .LBB4_86
.LBB4_84:                               ;   Parent Loop BB4_44 Depth=1
                                        ;     Parent Loop BB4_47 Depth=2
                                        ;       Parent Loop BB4_49 Depth=3
                                        ; =>      This Inner Loop Header: Depth=4
	v_add_u32_e32 v18, s64, v15
	v_ashrrev_i32_e32 v19, 31, v18
	v_lshlrev_b64 v[18:19], 2, v[18:19]
	v_add_u32_e32 v32, s64, v14
	v_mov_b32_e32 v31, s41
	v_add_co_u32_e32 v18, vcc, s40, v18
	v_ashrrev_i32_e32 v33, 31, v32
	v_addc_co_u32_e32 v19, vcc, v31, v19, vcc
	v_lshlrev_b64 v[32:33], 2, v[32:33]
	v_add_co_u32_e32 v32, vcc, s40, v32
	v_addc_co_u32_e32 v33, vcc, v31, v33, vcc
	global_load_dword v31, v[32:33], off
	global_load_dword v34, v[18:19], off
	v_cmp_gt_i32_e32 vcc, s19, v16
	s_waitcnt vmcnt(1)
	v_mul_f32_e32 v35, v30, v31
	s_waitcnt vmcnt(0)
	v_mul_f32_e32 v36, v12, v34
	v_fmac_f32_e32 v35, v29, v34
	v_fma_f32 v31, v29, v31, -v36
	global_store_dword v[18:19], v35, off
	global_store_dword v[32:33], v31, off
	s_and_saveexec_b64 s[14:15], vcc
	s_cbranch_execz .LBB4_83
; %bb.85:                               ;   in Loop: Header=BB4_84 Depth=4
	v_add_u32_e32 v18, s64, v11
	v_ashrrev_i32_e32 v19, 31, v18
	v_lshlrev_b64 v[18:19], 2, v[18:19]
	v_add_u32_e32 v32, s64, v13
	v_mov_b32_e32 v31, s41
	v_add_co_u32_e32 v18, vcc, s40, v18
	v_ashrrev_i32_e32 v33, 31, v32
	v_addc_co_u32_e32 v19, vcc, v31, v19, vcc
	v_lshlrev_b64 v[32:33], 2, v[32:33]
	v_add_co_u32_e32 v32, vcc, s40, v32
	v_addc_co_u32_e32 v33, vcc, v31, v33, vcc
	global_load_dword v31, v[32:33], off
	global_load_dword v34, v[18:19], off
	s_waitcnt vmcnt(1)
	v_mul_f32_e32 v35, v30, v31
	s_waitcnt vmcnt(0)
	v_mul_f32_e32 v36, v12, v34
	v_fmac_f32_e32 v35, v29, v34
	v_fma_f32 v31, v29, v31, -v36
	global_store_dword v[18:19], v35, off
	global_store_dword v[32:33], v31, off
	s_branch .LBB4_83
.LBB4_86:                               ;   in Loop: Header=BB4_49 Depth=3
	s_or_b64 exec, exec, s[10:11]
	s_barrier
	s_and_saveexec_b64 s[10:11], s[62:63]
	s_cbranch_execz .LBB4_88
; %bb.87:                               ;   in Loop: Header=BB4_49 Depth=3
	v_mad_u64_u32 v[14:15], s[12:13], v8, s19, v[10:11]
	v_ashrrev_i32_e32 v15, 31, v14
	v_lshlrev_b64 v[14:15], 2, v[14:15]
	v_mov_b32_e32 v11, s41
	v_add_co_u32_e32 v14, vcc, s40, v14
	v_addc_co_u32_e32 v15, vcc, v11, v15, vcc
	global_store_dword v[14:15], v26, off
	v_mad_u64_u32 v[14:15], s[12:13], v10, s19, v[8:9]
	v_ashrrev_i32_e32 v15, 31, v14
	v_lshlrev_b64 v[14:15], 2, v[14:15]
	v_add_co_u32_e32 v14, vcc, s40, v14
	v_addc_co_u32_e32 v15, vcc, v11, v15, vcc
	global_store_dword v[14:15], v26, off
.LBB4_88:                               ;   in Loop: Header=BB4_49 Depth=3
	s_or_b64 exec, exec, s[10:11]
	s_and_b64 s[8:9], s[0:1], s[8:9]
	s_barrier
	s_and_saveexec_b64 s[10:11], s[8:9]
	s_cbranch_execz .LBB4_100
; %bb.89:                               ;   in Loop: Header=BB4_49 Depth=3
	v_cmp_lt_i32_e32 vcc, 0, v10
	s_and_saveexec_b64 s[12:13], vcc
	s_cbranch_execz .LBB4_95
; %bb.90:                               ;   in Loop: Header=BB4_49 Depth=3
	v_cmp_ne_u32_e32 vcc, 2, v10
	v_cmp_ne_u32_e64 s[8:9], s78, v10
	s_and_b64 s[8:9], vcc, s[8:9]
                                        ; implicit-def: $vgpr11
	s_and_saveexec_b64 s[14:15], s[8:9]
	s_xor_b64 s[8:9], exec, s[14:15]
; %bb.91:                               ;   in Loop: Header=BB4_49 Depth=3
	v_and_b32_e32 v11, 1, v10
	v_cmp_eq_u32_e32 vcc, 0, v11
	v_cndmask_b32_e64 v11, 2, -2, vcc
	v_add_u32_e32 v11, v11, v10
                                        ; implicit-def: $vgpr10
; %bb.92:                               ;   in Loop: Header=BB4_49 Depth=3
	s_andn2_saveexec_b64 s[8:9], s[8:9]
; %bb.93:                               ;   in Loop: Header=BB4_49 Depth=3
	v_add_u32_e32 v11, -1, v10
; %bb.94:                               ;   in Loop: Header=BB4_49 Depth=3
	s_or_b64 exec, exec, s[8:9]
	v_lshl_add_u32 v9, v9, 2, s75
	ds_write_b32 v9, v11
.LBB4_95:                               ;   in Loop: Header=BB4_49 Depth=3
	s_or_b64 exec, exec, s[12:13]
	v_cmp_ne_u32_e32 vcc, 2, v8
	v_cmp_ne_u32_e64 s[8:9], s78, v8
	s_and_b64 s[8:9], vcc, s[8:9]
                                        ; implicit-def: $vgpr9
	s_and_saveexec_b64 s[12:13], s[8:9]
	s_xor_b64 s[8:9], exec, s[12:13]
; %bb.96:                               ;   in Loop: Header=BB4_49 Depth=3
	v_and_b32_e32 v9, 1, v8
	v_cmp_eq_u32_e32 vcc, 0, v9
	v_cndmask_b32_e64 v9, 2, -2, vcc
	v_add_u32_e32 v9, v9, v8
                                        ; implicit-def: $vgpr8
; %bb.97:                               ;   in Loop: Header=BB4_49 Depth=3
	s_andn2_saveexec_b64 s[8:9], s[8:9]
; %bb.98:                               ;   in Loop: Header=BB4_49 Depth=3
	v_add_u32_e32 v9, -1, v8
; %bb.99:                               ;   in Loop: Header=BB4_49 Depth=3
	s_or_b64 exec, exec, s[8:9]
	ds_write_b32 v5, v9
.LBB4_100:                              ;   in Loop: Header=BB4_49 Depth=3
	s_or_b64 exec, exec, s[10:11]
	s_add_i32 s8, s84, 1
	s_cmp_eq_u32 s84, s77
	s_waitcnt lgkmcnt(0)
	s_barrier
	s_cbranch_scc1 .LBB4_46
; %bb.101:                              ;   in Loop: Header=BB4_49 Depth=3
	s_mov_b32 s84, s8
	s_branch .LBB4_49
.LBB4_102:                              ;   in Loop: Header=BB4_44 Depth=1
	s_and_saveexec_b64 s[8:9], s[0:1]
	s_cbranch_execz .LBB4_112
; %bb.103:                              ;   in Loop: Header=BB4_44 Depth=1
	v_mov_b32_e32 v5, 0
	s_and_saveexec_b64 s[10:11], s[6:7]
	s_cbranch_execz .LBB4_111
; %bb.104:                              ;   in Loop: Header=BB4_44 Depth=1
	s_mov_b64 s[12:13], 0
	v_mov_b32_e32 v5, 0
	v_pk_mov_b32 v[8:9], v[6:7], v[6:7] op_sel:[0,1]
	v_mov_b32_e32 v13, v2
	s_branch .LBB4_106
.LBB4_105:                              ;   in Loop: Header=BB4_106 Depth=2
	s_or_b64 exec, exec, s[14:15]
	v_add_u32_e32 v13, s22, v13
	v_cmp_le_i32_e32 vcc, s19, v13
	v_mov_b32_e32 v10, s59
	s_or_b64 s[12:13], vcc, s[12:13]
	v_add_co_u32_e32 v8, vcc, s58, v8
	v_addc_co_u32_e32 v9, vcc, v9, v10, vcc
	s_andn2_b64 exec, exec, s[12:13]
	s_cbranch_execz .LBB4_110
.LBB4_106:                              ;   Parent Loop BB4_44 Depth=1
                                        ; =>  This Loop Header: Depth=2
                                        ;       Child Loop BB4_108 Depth 3
	v_cmp_lt_i32_e32 vcc, 0, v13
	s_and_saveexec_b64 s[14:15], vcc
	s_cbranch_execz .LBB4_105
; %bb.107:                              ;   in Loop: Header=BB4_106 Depth=2
	s_mov_b32 s64, 0
	s_mov_b64 s[62:63], 0
	v_pk_mov_b32 v[10:11], v[8:9], v[8:9] op_sel:[0,1]
.LBB4_108:                              ;   Parent Loop BB4_44 Depth=1
                                        ;     Parent Loop BB4_106 Depth=2
                                        ; =>    This Inner Loop Header: Depth=3
	global_load_dword v14, v[10:11], off
	v_mov_b32_e32 v15, s61
	v_add_co_u32_e32 v10, vcc, s60, v10
	s_add_i32 s64, s64, 1
	v_addc_co_u32_e32 v11, vcc, v11, v15, vcc
	v_cmp_ge_i32_e32 vcc, s64, v13
	s_or_b64 s[62:63], vcc, s[62:63]
	s_waitcnt vmcnt(0)
	v_mul_f32_e32 v14, v14, v14
	v_fmac_f32_e32 v5, 2.0, v14
	s_andn2_b64 exec, exec, s[62:63]
	s_cbranch_execnz .LBB4_108
; %bb.109:                              ;   in Loop: Header=BB4_106 Depth=2
	s_or_b64 exec, exec, s[62:63]
	s_branch .LBB4_105
.LBB4_110:                              ;   in Loop: Header=BB4_44 Depth=1
	s_or_b64 exec, exec, s[12:13]
.LBB4_111:                              ;   in Loop: Header=BB4_44 Depth=1
	s_or_b64 exec, exec, s[10:11]
	ds_write_b32 v21, v5
.LBB4_112:                              ;   in Loop: Header=BB4_44 Depth=1
	s_or_b64 exec, exec, s[8:9]
	s_andn2_b64 vcc, exec, s[20:21]
	s_waitcnt lgkmcnt(0)
	s_barrier
	s_cbranch_vccnz .LBB4_42
; %bb.113:                              ;   in Loop: Header=BB4_44 Depth=1
	s_mov_b32 s8, 0
	s_andn2_b64 vcc, exec, s[50:51]
	s_cbranch_vccnz .LBB4_117
; %bb.114:                              ;   in Loop: Header=BB4_44 Depth=1
	s_mov_b32 s9, 0
	v_mov_b32_e32 v5, 0
.LBB4_115:                              ;   Parent Loop BB4_44 Depth=1
                                        ; =>  This Inner Loop Header: Depth=2
	v_mov_b32_e32 v13, s9
	ds_read2_b64 v[8:11], v13 offset1:1
	ds_read2_b64 v[14:17], v13 offset0:2 offset1:3
	s_add_i32 s8, s8, 8
	s_add_i32 s9, s9, 32
	s_cmp_lg_u32 s82, s8
	s_waitcnt lgkmcnt(1)
	v_add_f32_e32 v5, v5, v8
	v_add_f32_e32 v5, v5, v9
	;; [unrolled: 1-line block ×4, first 2 shown]
	s_waitcnt lgkmcnt(0)
	v_add_f32_e32 v5, v5, v14
	v_add_f32_e32 v5, v5, v15
	;; [unrolled: 1-line block ×4, first 2 shown]
	s_cbranch_scc1 .LBB4_115
; %bb.116:                              ;   in Loop: Header=BB4_44 Depth=1
	s_mov_b32 s8, s82
	s_andn2_b64 vcc, exec, s[52:53]
	s_cbranch_vccz .LBB4_118
	s_branch .LBB4_43
.LBB4_117:                              ;   in Loop: Header=BB4_44 Depth=1
	v_mov_b32_e32 v5, 0
	s_andn2_b64 vcc, exec, s[52:53]
	s_cbranch_vccnz .LBB4_43
.LBB4_118:                              ;   in Loop: Header=BB4_44 Depth=1
	s_lshl_b32 s8, s8, 2
	s_add_i32 s8, s8, 0
	s_mov_b32 s9, s81
.LBB4_119:                              ;   Parent Loop BB4_44 Depth=1
                                        ; =>  This Inner Loop Header: Depth=2
	v_mov_b32_e32 v8, s8
	ds_read_b32 v8, v8
	s_add_i32 s8, s8, 4
	s_add_i32 s9, s9, -1
	s_cmp_lg_u32 s9, 0
	s_waitcnt lgkmcnt(0)
	v_add_f32_e32 v5, v5, v8
	s_cbranch_scc1 .LBB4_119
	s_branch .LBB4_43
.LBB4_120:
	s_mul_i32 s2, s42, s29
	s_mul_hi_u32 s3, s42, s28
	s_add_i32 s2, s3, s2
	s_mul_i32 s3, s43, s28
	s_add_i32 s7, s2, s3
	s_mul_i32 s6, s42, s28
	s_and_saveexec_b64 s[8:9], s[0:1]
	s_cbranch_execz .LBB4_126
; %bb.121:
	v_cmp_eq_u32_e32 vcc, 0, v2
	s_and_saveexec_b64 s[10:11], vcc
	s_cbranch_execz .LBB4_123
; %bb.122:
	s_load_dwordx2 s[2:3], s[4:5], 0x30
	s_lshl_b64 s[4:5], s[42:43], 2
	s_mov_b32 s20, 0xf800000
	v_mul_f32_e32 v1, 0x4f800000, v5
	v_cmp_gt_f32_e32 vcc, s20, v5
	s_waitcnt lgkmcnt(0)
	s_add_u32 s12, s2, s4
	s_addc_u32 s13, s3, s5
	v_cndmask_b32_e32 v1, v5, v1, vcc
	s_add_u32 s14, s24, s4
	v_sqrt_f32_e32 v3, v1
	s_addc_u32 s15, s25, s5
	s_add_u32 s4, s30, s4
	s_addc_u32 s5, s31, s5
	s_cmp_gt_i32 s74, s18
	v_add_u32_e32 v5, -1, v3
	s_cselect_b64 s[2:3], -1, 0
	v_fma_f32 v6, -v5, v3, v1
	v_cndmask_b32_e64 v4, 0, 1, s[2:3]
	v_cmp_ge_f32_e64 s[2:3], 0, v6
	v_add_u32_e32 v6, 1, v3
	v_cndmask_b32_e64 v5, v3, v5, s[2:3]
	v_fma_f32 v3, -v6, v3, v1
	v_cmp_lt_f32_e64 s[2:3], 0, v3
	v_cndmask_b32_e64 v3, v5, v6, s[2:3]
	v_mul_f32_e32 v5, 0x37800000, v3
	v_cndmask_b32_e32 v3, v3, v5, vcc
	v_mov_b32_e32 v5, 0x260
	v_cmp_class_f32_e32 vcc, v1, v5
	v_mov_b32_e32 v0, 0
	s_min_i32 s18, s74, s18
	v_cndmask_b32_e32 v1, v3, v1, vcc
	global_store_dword v0, v1, s[12:13]
	v_mov_b32_e32 v1, s18
	global_store_dword v0, v1, s[14:15]
	global_store_dword v0, v4, s[4:5]
.LBB4_123:
	s_or_b64 exec, exec, s[10:11]
	v_cmp_gt_i32_e32 vcc, s19, v2
	s_and_b64 exec, exec, vcc
	s_cbranch_execz .LBB4_126
; %bb.124:
	s_add_i32 s10, s19, 1
	s_lshl_b64 s[2:3], s[6:7], 2
	v_ashrrev_i32_e32 v3, 31, v2
	s_add_u32 s2, s26, s2
	v_lshlrev_b64 v[0:1], 2, v[2:3]
	s_addc_u32 s3, s27, s3
	v_mov_b32_e32 v3, s3
	v_add_co_u32_e32 v0, vcc, s2, v0
	s_ashr_i32 s39, s38, 31
	v_addc_co_u32_e32 v1, vcc, v3, v1, vcc
	s_ashr_i32 s37, s36, 31
	v_pk_mov_b32 v[4:5], s[38:39], s[38:39] op_sel:[0,1]
	v_cmp_lt_i64_e32 vcc, s[36:37], v[4:5]
	s_and_b64 s[2:3], vcc, exec
	s_cselect_b32 s3, s37, s39
	s_cselect_b32 s2, s36, s38
	s_lshl_b64 s[2:3], s[2:3], 2
	v_mad_u64_u32 v[4:5], s[4:5], v2, s19, v[2:3]
	s_mul_i32 s10, s22, s10
	s_mov_b64 s[4:5], 0
	v_mov_b32_e32 v3, s41
	v_mov_b32_e32 v6, s3
	;; [unrolled: 1-line block ×3, first 2 shown]
.LBB4_125:                              ; =>This Inner Loop Header: Depth=1
	v_ashrrev_i32_e32 v5, 31, v4
	v_lshlrev_b64 v[8:9], 2, v[4:5]
	v_add_co_u32_e32 v8, vcc, s40, v8
	v_addc_co_u32_e32 v9, vcc, v3, v9, vcc
	global_load_dword v5, v[8:9], off
	v_add_u32_e32 v7, s22, v7
	v_cmp_le_i32_e32 vcc, s19, v7
	s_or_b64 s[4:5], vcc, s[4:5]
	v_add_u32_e32 v4, s10, v4
	s_waitcnt vmcnt(0)
	global_store_dword v[0:1], v5, off
	v_add_co_u32_e32 v0, vcc, s2, v0
	v_addc_co_u32_e32 v1, vcc, v1, v6, vcc
	s_andn2_b64 exec, exec, s[4:5]
	s_cbranch_execnz .LBB4_125
.LBB4_126:
	s_or_b64 exec, exec, s[8:9]
	s_cmpk_eq_i32 s16, 0xfb
	s_cselect_b64 s[2:3], -1, 0
	s_cmp_lt_i32 s19, 2
	s_cselect_b64 s[4:5], -1, 0
	s_or_b64 s[2:3], s[2:3], s[4:5]
	s_and_b64 vcc, exec, s[2:3]
	s_barrier
	s_cbranch_vccnz .LBB4_137
; %bb.127:
	s_lshl_b64 s[2:3], s[6:7], 2
	s_add_u32 s18, s2, s26
	s_addc_u32 s24, s3, s27
	s_cmpk_lg_i32 s17, 0xd5
	s_cselect_b64 s[4:5], -1, 0
	v_cmp_gt_i32_e64 s[2:3], s19, v2
	s_and_b64 s[8:9], s[4:5], s[2:3]
	s_add_i32 s25, s19, -2
	s_add_u32 s10, s18, 4
	s_addc_u32 s11, s24, 0
	s_ashr_i32 s39, s38, 31
	s_ashr_i32 s37, s36, 31
	v_pk_mov_b32 v[0:1], s[38:39], s[38:39] op_sel:[0,1]
	v_cmp_lt_i64_e64 s[2:3], s[36:37], v[0:1]
	s_and_b64 s[2:3], s[2:3], exec
	s_mov_b32 s7, 0
	s_cselect_b32 s3, s37, s39
	s_cselect_b32 s2, s36, s38
	v_cmp_eq_u32_e32 vcc, 0, v2
	s_lshl_b64 s[12:13], s[2:3], 2
	v_mov_b32_e32 v3, 0
	v_mov_b32_e32 v0, v2
	s_mov_b32 s6, s7
	s_branch .LBB4_129
.LBB4_128:                              ;   in Loop: Header=BB4_129 Depth=1
	s_or_b64 exec, exec, s[14:15]
	s_add_u32 s10, s10, 4
	s_addc_u32 s11, s11, 0
	v_add_u32_e32 v0, s23, v0
	s_cmp_lg_u32 s6, s25
	s_mov_b32 s6, s26
	s_barrier
	s_cbranch_scc0 .LBB4_137
.LBB4_129:                              ; =>This Loop Header: Depth=1
                                        ;     Child Loop BB4_130 Depth 2
                                        ;     Child Loop BB4_136 Depth 2
	s_lshl_b64 s[2:3], s[6:7], 2
	s_add_u32 s16, s18, s2
	s_addc_u32 s17, s24, s3
	global_load_dword v1, v3, s[16:17]
	s_add_i32 s26, s6, 1
	s_mov_b64 s[14:15], s[10:11]
	s_mov_b32 s4, s6
	s_mov_b32 s5, s26
.LBB4_130:                              ;   Parent Loop BB4_129 Depth=1
                                        ; =>  This Inner Loop Header: Depth=2
	global_load_dword v4, v3, s[14:15]
	s_waitcnt vmcnt(0)
	v_cmp_lt_f32_e64 s[2:3], v4, v1
	v_cndmask_b32_e64 v1, v1, v4, s[2:3]
	s_and_b64 s[2:3], s[2:3], exec
	s_cselect_b32 s4, s5, s4
	s_add_i32 s5, s5, 1
	s_add_u32 s14, s14, 4
	s_addc_u32 s15, s15, 0
	s_cmp_lt_i32 s5, s19
	s_cbranch_scc1 .LBB4_130
; %bb.131:                              ;   in Loop: Header=BB4_129 Depth=1
	s_cmp_lg_u32 s4, s6
	s_cselect_b64 s[2:3], -1, 0
	s_and_b64 s[2:3], s[0:1], s[2:3]
	s_barrier
	s_and_saveexec_b64 s[14:15], s[2:3]
	s_cbranch_execz .LBB4_128
; %bb.132:                              ;   in Loop: Header=BB4_129 Depth=1
	s_and_saveexec_b64 s[2:3], vcc
	s_cbranch_execz .LBB4_134
; %bb.133:                              ;   in Loop: Header=BB4_129 Depth=1
	global_load_dword v4, v3, s[16:17]
	s_ashr_i32 s5, s4, 31
	s_lshl_b64 s[20:21], s[4:5], 2
	s_add_u32 s20, s18, s20
	s_addc_u32 s21, s24, s21
	s_waitcnt vmcnt(0)
	global_store_dword v3, v4, s[20:21]
	global_store_dword v3, v1, s[16:17]
.LBB4_134:                              ;   in Loop: Header=BB4_129 Depth=1
	s_or_b64 exec, exec, s[2:3]
	s_and_b64 exec, exec, s[8:9]
	s_cbranch_execz .LBB4_128
; %bb.135:                              ;   in Loop: Header=BB4_129 Depth=1
	s_mul_i32 s2, s4, s23
	v_add_u32_e32 v6, s2, v2
	v_ashrrev_i32_e32 v1, 31, v0
	v_ashrrev_i32_e32 v7, 31, v6
	v_lshlrev_b64 v[4:5], 2, v[0:1]
	v_lshlrev_b64 v[6:7], 2, v[6:7]
	s_mov_b64 s[16:17], 0
	s_mov_b64 s[20:21], s[34:35]
	v_mov_b32_e32 v1, v2
.LBB4_136:                              ;   Parent Loop BB4_129 Depth=1
                                        ; =>  This Inner Loop Header: Depth=2
	v_mov_b32_e32 v9, s21
	v_add_co_u32_e64 v8, s[2:3], s20, v4
	v_add_co_u32_e64 v10, s[4:5], s20, v6
	v_addc_co_u32_e64 v11, s[4:5], v9, v7, s[4:5]
	v_addc_co_u32_e64 v9, s[2:3], v9, v5, s[2:3]
	global_load_dword v12, v[8:9], off
	global_load_dword v13, v[10:11], off
	v_add_u32_e32 v1, s22, v1
	s_add_u32 s20, s20, s12
	s_addc_u32 s21, s21, s13
	v_cmp_le_i32_e64 s[2:3], s19, v1
	s_or_b64 s[16:17], s[2:3], s[16:17]
	s_waitcnt vmcnt(1)
	global_store_dword v[10:11], v12, off
	s_waitcnt vmcnt(1)
	global_store_dword v[8:9], v13, off
	s_andn2_b64 exec, exec, s[16:17]
	s_cbranch_execnz .LBB4_136
	s_branch .LBB4_128
.LBB4_137:
	s_endpgm
	.section	.rodata,"a",@progbits
	.p2align	6, 0x0
	.amdhsa_kernel _ZN9rocsolver6v33100L18syevj_small_kernelIffPfEEv14rocblas_esort_14rocblas_evect_13rocblas_fill_iT1_iilT0_S7_PS7_iPiS8_lS9_PT_
		.amdhsa_group_segment_fixed_size 0
		.amdhsa_private_segment_fixed_size 0
		.amdhsa_kernarg_size 104
		.amdhsa_user_sgpr_count 6
		.amdhsa_user_sgpr_private_segment_buffer 1
		.amdhsa_user_sgpr_dispatch_ptr 0
		.amdhsa_user_sgpr_queue_ptr 0
		.amdhsa_user_sgpr_kernarg_segment_ptr 1
		.amdhsa_user_sgpr_dispatch_id 0
		.amdhsa_user_sgpr_flat_scratch_init 0
		.amdhsa_user_sgpr_kernarg_preload_length 0
		.amdhsa_user_sgpr_kernarg_preload_offset 0
		.amdhsa_user_sgpr_private_segment_size 0
		.amdhsa_uses_dynamic_stack 0
		.amdhsa_system_sgpr_private_segment_wavefront_offset 0
		.amdhsa_system_sgpr_workgroup_id_x 1
		.amdhsa_system_sgpr_workgroup_id_y 0
		.amdhsa_system_sgpr_workgroup_id_z 1
		.amdhsa_system_sgpr_workgroup_info 0
		.amdhsa_system_vgpr_workitem_id 0
		.amdhsa_next_free_vgpr 39
		.amdhsa_next_free_sgpr 85
		.amdhsa_accum_offset 40
		.amdhsa_reserve_vcc 1
		.amdhsa_reserve_flat_scratch 0
		.amdhsa_float_round_mode_32 0
		.amdhsa_float_round_mode_16_64 0
		.amdhsa_float_denorm_mode_32 3
		.amdhsa_float_denorm_mode_16_64 3
		.amdhsa_dx10_clamp 1
		.amdhsa_ieee_mode 1
		.amdhsa_fp16_overflow 0
		.amdhsa_tg_split 0
		.amdhsa_exception_fp_ieee_invalid_op 0
		.amdhsa_exception_fp_denorm_src 0
		.amdhsa_exception_fp_ieee_div_zero 0
		.amdhsa_exception_fp_ieee_overflow 0
		.amdhsa_exception_fp_ieee_underflow 0
		.amdhsa_exception_fp_ieee_inexact 0
		.amdhsa_exception_int_div_zero 0
	.end_amdhsa_kernel
	.section	.text._ZN9rocsolver6v33100L18syevj_small_kernelIffPfEEv14rocblas_esort_14rocblas_evect_13rocblas_fill_iT1_iilT0_S7_PS7_iPiS8_lS9_PT_,"axG",@progbits,_ZN9rocsolver6v33100L18syevj_small_kernelIffPfEEv14rocblas_esort_14rocblas_evect_13rocblas_fill_iT1_iilT0_S7_PS7_iPiS8_lS9_PT_,comdat
.Lfunc_end4:
	.size	_ZN9rocsolver6v33100L18syevj_small_kernelIffPfEEv14rocblas_esort_14rocblas_evect_13rocblas_fill_iT1_iilT0_S7_PS7_iPiS8_lS9_PT_, .Lfunc_end4-_ZN9rocsolver6v33100L18syevj_small_kernelIffPfEEv14rocblas_esort_14rocblas_evect_13rocblas_fill_iT1_iilT0_S7_PS7_iPiS8_lS9_PT_
                                        ; -- End function
	.section	.AMDGPU.csdata,"",@progbits
; Kernel info:
; codeLenInByte = 6228
; NumSgprs: 89
; NumVgprs: 39
; NumAgprs: 0
; TotalNumVgprs: 39
; ScratchSize: 0
; MemoryBound: 0
; FloatMode: 240
; IeeeMode: 1
; LDSByteSize: 0 bytes/workgroup (compile time only)
; SGPRBlocks: 11
; VGPRBlocks: 4
; NumSGPRsForWavesPerEU: 89
; NumVGPRsForWavesPerEU: 39
; AccumOffset: 40
; Occupancy: 8
; WaveLimiterHint : 0
; COMPUTE_PGM_RSRC2:SCRATCH_EN: 0
; COMPUTE_PGM_RSRC2:USER_SGPR: 6
; COMPUTE_PGM_RSRC2:TRAP_HANDLER: 0
; COMPUTE_PGM_RSRC2:TGID_X_EN: 1
; COMPUTE_PGM_RSRC2:TGID_Y_EN: 0
; COMPUTE_PGM_RSRC2:TGID_Z_EN: 1
; COMPUTE_PGM_RSRC2:TIDIG_COMP_CNT: 0
; COMPUTE_PGM_RSRC3_GFX90A:ACCUM_OFFSET: 9
; COMPUTE_PGM_RSRC3_GFX90A:TG_SPLIT: 0
	.section	.text._ZN9rocsolver6v33100L10syevj_initIffPfEEv14rocblas_evect_13rocblas_fill_iiT1_iilT0_PS6_PT_S7_PiSA_SA_,"axG",@progbits,_ZN9rocsolver6v33100L10syevj_initIffPfEEv14rocblas_evect_13rocblas_fill_iiT1_iilT0_PS6_PT_S7_PiSA_SA_,comdat
	.globl	_ZN9rocsolver6v33100L10syevj_initIffPfEEv14rocblas_evect_13rocblas_fill_iiT1_iilT0_PS6_PT_S7_PiSA_SA_ ; -- Begin function _ZN9rocsolver6v33100L10syevj_initIffPfEEv14rocblas_evect_13rocblas_fill_iiT1_iilT0_PS6_PT_S7_PiSA_SA_
	.p2align	8
	.type	_ZN9rocsolver6v33100L10syevj_initIffPfEEv14rocblas_evect_13rocblas_fill_iiT1_iilT0_PS6_PT_S7_PiSA_SA_,@function
_ZN9rocsolver6v33100L10syevj_initIffPfEEv14rocblas_evect_13rocblas_fill_iiT1_iilT0_PS6_PT_S7_PiSA_SA_: ; @_ZN9rocsolver6v33100L10syevj_initIffPfEEv14rocblas_evect_13rocblas_fill_iiT1_iilT0_PS6_PT_S7_PiSA_SA_
; %bb.0:
	s_load_dword s2, s[4:5], 0x6c
	s_load_dwordx8 s[8:15], s[4:5], 0x0
	s_load_dwordx4 s[24:27], s[4:5], 0x50
	s_load_dwordx2 s[0:1], s[4:5], 0x20
	s_load_dwordx8 s[16:23], s[4:5], 0x30
	s_mov_b32 s6, s7
	s_waitcnt lgkmcnt(0)
	s_and_b32 s33, s2, 0xffff
	s_ashr_i32 s7, s7, 31
	s_mul_i32 s1, s6, s1
	s_mul_hi_u32 s2, s6, s0
	s_add_i32 s1, s2, s1
	s_mul_i32 s2, s7, s0
	s_add_i32 s1, s1, s2
	s_mul_i32 s0, s6, s0
	s_ashr_i32 s29, s14, 31
	s_lshl_b64 s[2:3], s[0:1], 2
	s_mov_b32 s28, s14
	s_add_u32 s0, s12, s2
	s_addc_u32 s1, s13, s3
	s_lshl_b64 s[38:39], s[28:29], 2
	s_add_u32 s14, s0, s38
	s_mul_i32 s0, s6, s11
	s_mul_i32 s0, s0, s11
	s_addc_u32 s45, s1, s39
	s_ashr_i32 s1, s0, 31
	s_lshl_b64 s[28:29], s[0:1], 2
	s_add_u32 s44, s18, s28
	s_addc_u32 s46, s19, s29
	s_cmpk_eq_i32 s9, 0x79
	v_cmp_gt_i32_e64 s[0:1], s11, v0
	s_cbranch_scc1 .LBB5_12
; %bb.1:
	s_mov_b32 s35, 0
	s_mov_b32 s34, s35
	v_pk_mov_b32 v[2:3], s[34:35], s[34:35] op_sel:[0,1]
	s_and_saveexec_b64 s[30:31], s[0:1]
	s_cbranch_execz .LBB5_14
; %bb.2:
	s_add_i32 s9, s11, 1
	s_cmpk_lg_i32 s8, 0xd5
	s_cselect_b64 s[40:41], -1, 0
	s_add_u32 s47, s18, s28
	s_addc_u32 s36, s19, s29
	v_mov_b32_e32 v11, s36
	s_ashr_i32 s37, s11, 31
	s_mov_b32 s36, s11
	s_lshl_b32 s49, s33, 2
	s_lshl_b64 s[36:37], s[36:37], 2
	s_add_u32 s2, s2, s38
	v_lshlrev_b32_e32 v2, 2, v0
	s_addc_u32 s3, s3, s39
	v_add_co_u32_e32 v6, vcc, s47, v2
	s_add_u32 s2, s12, s2
	v_addc_co_u32_e32 v7, vcc, 0, v11, vcc
	s_addc_u32 s3, s13, s3
	v_mov_b32_e32 v3, s3
	v_add_co_u32_e32 v8, vcc, s2, v2
	v_addc_co_u32_e32 v9, vcc, 0, v3, vcc
	s_ashr_i32 s3, s15, 31
	s_mov_b32 s2, s15
	v_cndmask_b32_e64 v3, 0, 1, s[40:41]
	v_mul_lo_u32 v1, v0, s15
	s_mul_i32 s34, s15, s33
	v_mul_lo_u32 v4, v0, s11
	s_mul_i32 s48, s11, s33
	s_lshl_b64 s[38:39], s[2:3], 2
	s_mov_b64 s[12:13], 0
	v_mov_b32_e32 v2, 0
	v_mov_b32_e32 v18, s45
	v_mov_b32_e32 v19, s46
	v_cmp_ne_u32_e64 s[2:3], 1, v3
	v_mov_b32_e32 v20, 1.0
	v_mov_b32_e32 v21, 0
	v_mov_b32_e32 v3, 0
	;; [unrolled: 1-line block ×3, first 2 shown]
	s_branch .LBB5_5
.LBB5_3:                                ;   in Loop: Header=BB5_5 Depth=1
	s_or_b64 exec, exec, s[42:43]
.LBB5_4:                                ;   in Loop: Header=BB5_5 Depth=1
	s_or_b64 exec, exec, s[40:41]
	v_mov_b32_e32 v5, s35
	v_add_co_u32_e32 v6, vcc, s49, v6
	v_add_u32_e32 v10, s33, v10
	v_addc_co_u32_e32 v7, vcc, v7, v5, vcc
	v_cmp_le_i32_e32 vcc, s11, v10
	s_or_b64 s[12:13], vcc, s[12:13]
	v_add_co_u32_e32 v8, vcc, s49, v8
	v_fmac_f32_e32 v2, v22, v22
	v_add_u32_e32 v1, s34, v1
	v_add_u32_e32 v4, s48, v4
	v_addc_co_u32_e32 v9, vcc, v9, v5, vcc
	s_andn2_b64 exec, exec, s[12:13]
	s_cbranch_execz .LBB5_13
.LBB5_5:                                ; =>This Loop Header: Depth=1
                                        ;     Child Loop BB5_10 Depth 2
	v_mad_u64_u32 v[12:13], s[40:41], v10, s15, v[10:11]
	v_ashrrev_i32_e32 v13, 31, v12
	v_lshlrev_b64 v[12:13], 2, v[12:13]
	v_add_co_u32_e32 v12, vcc, s14, v12
	v_addc_co_u32_e32 v13, vcc, v18, v13, vcc
	global_load_dword v22, v[12:13], off
	v_mul_lo_u32 v14, v10, s9
	v_ashrrev_i32_e32 v15, 31, v14
	v_lshlrev_b64 v[14:15], 2, v[14:15]
	v_add_co_u32_e32 v14, vcc, s44, v14
	v_addc_co_u32_e32 v15, vcc, v19, v15, vcc
	s_and_b64 vcc, exec, s[2:3]
	s_waitcnt vmcnt(0)
	global_store_dword v[14:15], v22, off
	s_cbranch_vccnz .LBB5_7
; %bb.6:                                ;   in Loop: Header=BB5_5 Depth=1
	global_store_dword v[12:13], v20, off
.LBB5_7:                                ;   in Loop: Header=BB5_5 Depth=1
	v_cmp_ne_u32_e32 vcc, 0, v10
	s_and_saveexec_b64 s[40:41], vcc
	s_cbranch_execz .LBB5_4
; %bb.8:                                ;   in Loop: Header=BB5_5 Depth=1
	v_ashrrev_i32_e32 v5, 31, v4
	v_lshlrev_b64 v[12:13], 2, v[4:5]
	v_add_co_u32_e32 v12, vcc, s47, v12
	v_addc_co_u32_e32 v13, vcc, v11, v13, vcc
	s_mov_b32 s50, 0
	s_mov_b64 s[42:43], 0
	v_pk_mov_b32 v[14:15], v[8:9], v[8:9] op_sel:[0,1]
	v_pk_mov_b32 v[16:17], v[6:7], v[6:7] op_sel:[0,1]
	s_branch .LBB5_10
.LBB5_9:                                ;   in Loop: Header=BB5_10 Depth=2
	v_add_co_u32_e32 v12, vcc, 4, v12
	v_mul_f32_e32 v5, v5, v5
	v_addc_co_u32_e32 v13, vcc, 0, v13, vcc
	v_fmac_f32_e32 v3, 2.0, v5
	v_mov_b32_e32 v5, s37
	v_add_co_u32_e32 v16, vcc, s36, v16
	s_add_i32 s50, s50, 1
	v_addc_co_u32_e32 v17, vcc, v17, v5, vcc
	v_cmp_ge_u32_e32 vcc, s50, v10
	v_mov_b32_e32 v5, s39
	s_or_b64 s[42:43], vcc, s[42:43]
	v_add_co_u32_e32 v14, vcc, s38, v14
	v_addc_co_u32_e32 v15, vcc, v15, v5, vcc
	s_andn2_b64 exec, exec, s[42:43]
	s_cbranch_execz .LBB5_3
.LBB5_10:                               ;   Parent Loop BB5_5 Depth=1
                                        ; =>  This Inner Loop Header: Depth=2
	global_load_dword v5, v[14:15], off
	s_and_b64 vcc, exec, s[2:3]
	s_waitcnt vmcnt(0)
	global_store_dword v[16:17], v5, off
	global_store_dword v[12:13], v5, off
	s_cbranch_vccnz .LBB5_9
; %bb.11:                               ;   in Loop: Header=BB5_10 Depth=2
	v_add_u32_e32 v24, s50, v1
	v_ashrrev_i32_e32 v25, 31, v24
	v_lshlrev_b64 v[24:25], 2, v[24:25]
	v_add_co_u32_e32 v24, vcc, s14, v24
	v_addc_co_u32_e32 v25, vcc, v18, v25, vcc
	global_store_dword v[14:15], v21, off
	global_store_dword v[24:25], v21, off
	s_branch .LBB5_9
.LBB5_12:
                                        ; implicit-def: $vgpr2_vgpr3
	s_branch .LBB5_15
.LBB5_13:
	s_or_b64 exec, exec, s[12:13]
.LBB5_14:
	s_or_b64 exec, exec, s[30:31]
	s_cbranch_execnz .LBB5_28
.LBB5_15:
	s_mov_b32 s2, 0
	s_mov_b32 s3, s2
	v_pk_mov_b32 v[2:3], s[2:3], s[2:3] op_sel:[0,1]
	s_and_saveexec_b64 s[12:13], s[0:1]
	s_cbranch_execz .LBB5_27
; %bb.16:
	s_add_i32 s30, s11, 1
	s_cmpk_lg_i32 s8, 0xd5
	s_cselect_b64 s[0:1], -1, 0
	s_add_i32 s31, s11, -1
	s_mul_i32 s2, s15, s31
	v_add_u32_e32 v1, s2, v0
	s_mul_i32 s2, s11, s31
	s_add_u32 s34, s18, s28
	v_mul_lo_u32 v2, s11, v0
	v_cndmask_b32_e64 v3, 0, 1, s[0:1]
	v_add_u32_e32 v7, s2, v0
	s_addc_u32 s35, s19, s29
	v_add_u32_e32 v4, s31, v2
	s_mul_i32 s36, s11, s33
	v_mul_lo_u32 v16, v0, s15
	s_mul_i32 s37, s15, s33
	s_mov_b64 s[8:9], 0
	v_mov_b32_e32 v2, 0
	v_mov_b32_e32 v17, s45
	;; [unrolled: 1-line block ×3, first 2 shown]
	v_cmp_ne_u32_e64 s[0:1], 1, v3
	v_mov_b32_e32 v19, 1.0
	v_mov_b32_e32 v20, 0
	v_mov_b32_e32 v3, 0
	;; [unrolled: 1-line block ×3, first 2 shown]
	s_branch .LBB5_19
.LBB5_17:                               ;   in Loop: Header=BB5_19 Depth=1
	s_or_b64 exec, exec, s[28:29]
.LBB5_18:                               ;   in Loop: Header=BB5_19 Depth=1
	s_or_b64 exec, exec, s[18:19]
	v_add_u32_e32 v6, s33, v6
	v_cmp_le_i32_e32 vcc, s11, v6
	v_fmac_f32_e32 v2, v21, v21
	v_add_u32_e32 v1, s33, v1
	v_add_u32_e32 v7, s33, v7
	;; [unrolled: 1-line block ×3, first 2 shown]
	s_or_b64 s[8:9], vcc, s[8:9]
	v_add_u32_e32 v16, s37, v16
	s_andn2_b64 exec, exec, s[8:9]
	s_cbranch_execz .LBB5_26
.LBB5_19:                               ; =>This Loop Header: Depth=1
                                        ;     Child Loop BB5_24 Depth 2
	v_mad_u64_u32 v[8:9], s[2:3], v6, s15, v[6:7]
	v_ashrrev_i32_e32 v9, 31, v8
	v_lshlrev_b64 v[8:9], 2, v[8:9]
	v_add_co_u32_e32 v8, vcc, s14, v8
	v_addc_co_u32_e32 v9, vcc, v17, v9, vcc
	global_load_dword v21, v[8:9], off
	v_mul_lo_u32 v10, v6, s30
	v_ashrrev_i32_e32 v11, 31, v10
	v_lshlrev_b64 v[10:11], 2, v[10:11]
	v_add_co_u32_e32 v10, vcc, s44, v10
	v_addc_co_u32_e32 v11, vcc, v18, v11, vcc
	s_and_b64 vcc, exec, s[0:1]
	s_waitcnt vmcnt(0)
	global_store_dword v[10:11], v21, off
	s_cbranch_vccnz .LBB5_21
; %bb.20:                               ;   in Loop: Header=BB5_19 Depth=1
	global_store_dword v[8:9], v19, off
.LBB5_21:                               ;   in Loop: Header=BB5_19 Depth=1
	v_cmp_gt_i32_e32 vcc, s31, v6
	s_and_saveexec_b64 s[18:19], vcc
	s_cbranch_execz .LBB5_18
; %bb.22:                               ;   in Loop: Header=BB5_19 Depth=1
	v_ashrrev_i32_e32 v5, 31, v4
	v_lshlrev_b64 v[8:9], 2, v[4:5]
	v_mov_b32_e32 v5, s35
	v_add_co_u32_e32 v8, vcc, s34, v8
	v_addc_co_u32_e32 v9, vcc, v5, v9, vcc
	s_mov_b64 s[28:29], 0
	v_mov_b32_e32 v10, v7
	v_mov_b32_e32 v12, v1
	s_mov_b32 s38, s31
	s_branch .LBB5_24
.LBB5_23:                               ;   in Loop: Header=BB5_24 Depth=2
	s_add_i32 s38, s38, -1
	v_cmp_le_i32_e32 vcc, s38, v6
	v_mul_f32_e32 v5, v5, v5
	s_or_b64 s[28:29], vcc, s[28:29]
	v_add_co_u32_e32 v8, vcc, -4, v8
	v_fmac_f32_e32 v3, 2.0, v5
	v_subrev_u32_e32 v12, s15, v12
	v_subrev_u32_e32 v10, s11, v10
	v_addc_co_u32_e32 v9, vcc, -1, v9, vcc
	s_andn2_b64 exec, exec, s[28:29]
	s_cbranch_execz .LBB5_17
.LBB5_24:                               ;   Parent Loop BB5_19 Depth=1
                                        ; =>  This Inner Loop Header: Depth=2
	v_ashrrev_i32_e32 v13, 31, v12
	v_lshlrev_b64 v[14:15], 2, v[12:13]
	v_add_co_u32_e32 v14, vcc, s14, v14
	v_addc_co_u32_e32 v15, vcc, v17, v15, vcc
	global_load_dword v5, v[14:15], off
	v_ashrrev_i32_e32 v11, 31, v10
	v_lshlrev_b64 v[22:23], 2, v[10:11]
	v_add_co_u32_e64 v22, s[2:3], s44, v22
	s_and_b64 vcc, exec, s[0:1]
	v_addc_co_u32_e64 v23, s[2:3], v18, v23, s[2:3]
	s_waitcnt vmcnt(0)
	global_store_dword v[22:23], v5, off
	global_store_dword v[8:9], v5, off
	s_cbranch_vccnz .LBB5_23
; %bb.25:                               ;   in Loop: Header=BB5_24 Depth=2
	v_add_u32_e32 v22, s38, v16
	v_ashrrev_i32_e32 v23, 31, v22
	v_lshlrev_b64 v[22:23], 2, v[22:23]
	v_add_co_u32_e32 v22, vcc, s14, v22
	v_addc_co_u32_e32 v23, vcc, v17, v23, vcc
	global_store_dword v[14:15], v20, off
	global_store_dword v[22:23], v20, off
	s_branch .LBB5_23
.LBB5_26:
	s_or_b64 exec, exec, s[8:9]
.LBB5_27:
	s_or_b64 exec, exec, s[12:13]
.LBB5_28:
	s_lshl_b32 s8, s33, 2
	v_lshlrev_b32_e32 v4, 2, v0
	s_add_i32 s0, s8, 0
	v_add_u32_e32 v1, 0, v4
	ds_write_b32 v1, v3
	v_add_u32_e32 v1, s0, v4
	v_cmp_eq_u32_e32 vcc, 0, v0
	ds_write_b32 v1, v2
	s_waitcnt lgkmcnt(0)
	s_barrier
	s_and_saveexec_b64 s[0:1], vcc
	s_cbranch_execz .LBB5_40
; %bb.29:
	s_min_i32 s3, s33, s11
	s_cmp_lt_i32 s3, 2
	s_cbranch_scc1 .LBB5_37
; %bb.30:
	s_add_i32 s2, s3, -1
	s_add_i32 s3, s3, -2
	s_cmp_lt_u32 s3, 7
	s_cbranch_scc1 .LBB5_34
; %bb.31:
	s_and_b32 s3, s2, -8
	s_mov_b32 s11, 0
	s_add_i32 s9, 0, 4
.LBB5_32:                               ; =>This Inner Loop Header: Depth=1
	s_add_i32 s13, s9, s8
	v_mov_b32_e32 v1, s9
	v_mov_b32_e32 v5, s13
	ds_read2_b32 v[6:7], v1 offset1:1
	ds_read2_b32 v[8:9], v1 offset0:2 offset1:3
	ds_read2_b32 v[10:11], v1 offset0:4 offset1:5
	ds_read2_b32 v[12:13], v1 offset0:6 offset1:7
	ds_read2_b32 v[14:15], v5 offset1:1
	ds_read2_b32 v[16:17], v5 offset0:2 offset1:3
	ds_read2_b32 v[18:19], v5 offset0:4 offset1:5
	;; [unrolled: 1-line block ×3, first 2 shown]
	s_waitcnt lgkmcnt(7)
	v_mov_b32_e32 v23, v6
	s_waitcnt lgkmcnt(3)
	v_mov_b32_e32 v22, v14
	v_mov_b32_e32 v6, v15
	v_pk_add_f32 v[2:3], v[2:3], v[22:23]
	v_mov_b32_e32 v25, v8
	s_waitcnt lgkmcnt(2)
	v_mov_b32_e32 v24, v16
	v_pk_add_f32 v[2:3], v[2:3], v[6:7]
	v_mov_b32_e32 v8, v17
	v_pk_add_f32 v[2:3], v[2:3], v[24:25]
	v_mov_b32_e32 v27, v10
	s_waitcnt lgkmcnt(1)
	v_mov_b32_e32 v26, v18
	v_pk_add_f32 v[2:3], v[2:3], v[8:9]
	;; [unrolled: 6-line block ×3, first 2 shown]
	s_mov_b32 s12, s11
	s_add_i32 s9, s9, 32
	s_add_i32 s11, s11, 8
	v_mov_b32_e32 v12, v21
	v_pk_add_f32 v[2:3], v[2:3], v[28:29]
	s_cmp_lg_u32 s3, s11
	v_pk_add_f32 v[2:3], v[2:3], v[12:13]
	s_cbranch_scc1 .LBB5_32
; %bb.33:
	s_add_i32 s3, s12, 9
	s_and_b32 s2, s2, 7
	s_cmp_eq_u32 s2, 0
	s_cbranch_scc0 .LBB5_35
	s_branch .LBB5_37
.LBB5_34:
	s_mov_b32 s3, 1
	s_and_b32 s2, s2, 7
	s_cmp_eq_u32 s2, 0
	s_cbranch_scc1 .LBB5_37
.LBB5_35:
	s_lshl_b32 s3, s3, 2
	s_add_i32 s3, s3, 0
.LBB5_36:                               ; =>This Inner Loop Header: Depth=1
	v_mov_b32_e32 v1, s3
	s_add_i32 s9, s3, s8
	v_mov_b32_e32 v5, s9
	ds_read_b32 v7, v1
	ds_read_b32 v6, v5
	s_add_i32 s3, s3, 4
	s_add_i32 s2, s2, -1
	s_cmp_lg_u32 s2, 0
	s_waitcnt lgkmcnt(0)
	v_pk_add_f32 v[2:3], v[2:3], v[6:7]
	s_cbranch_scc1 .LBB5_36
.LBB5_37:
	s_load_dword s9, s[4:5], 0x28
	s_lshl_b64 s[2:3], s[6:7], 2
	s_add_u32 s4, s20, s2
	v_add_f32_e32 v1, v3, v2
	s_addc_u32 s5, s21, s3
	s_waitcnt lgkmcnt(0)
	v_mul_f32_e32 v1, s9, v1
	s_add_u32 s12, s16, s2
	v_mul_f32_e32 v2, s9, v1
	v_mov_b32_e32 v1, 0
	s_addc_u32 s13, s17, s3
	global_store_dword v1, v2, s[4:5]
	global_store_dword v1, v3, s[12:13]
	global_load_dword v2, v1, s[4:5]
	s_waitcnt vmcnt(0)
	v_cmp_lt_f32_e32 vcc, v3, v2
	s_and_b64 exec, exec, vcc
	s_cbranch_execz .LBB5_40
; %bb.38:
	s_add_u32 s2, s26, s2
	s_mov_b64 s[4:5], exec
	s_addc_u32 s3, s27, s3
	v_mov_b32_e32 v2, 1
	global_store_dword v1, v2, s[2:3] offset:4
	v_mbcnt_lo_u32_b32 v1, s4, 0
	v_mbcnt_hi_u32_b32 v1, s5, v1
	v_cmp_eq_u32_e32 vcc, 0, v1
	s_and_b64 s[2:3], exec, vcc
	s_mov_b64 exec, s[2:3]
	s_cbranch_execz .LBB5_40
; %bb.39:
	s_bcnt1_i32_b64 s2, s[4:5]
	v_mov_b32_e32 v1, 0
	v_mov_b32_e32 v2, s2
	global_atomic_add v1, v2, s[26:27]
.LBB5_40:
	s_or_b64 exec, exec, s[0:1]
	s_cmp_eq_u32 s6, 0
	s_cselect_b64 s[4:5], -1, 0
	s_cmp_lg_u64 s[22:23], 0
	s_cselect_b64 s[6:7], -1, 0
	s_cmp_lg_u64 s[24:25], 0
	s_cselect_b64 s[12:13], -1, 0
	s_and_b64 s[6:7], s[6:7], s[12:13]
	s_and_b64 s[4:5], s[6:7], s[4:5]
	v_cmp_gt_i32_e32 vcc, s10, v0
	s_mov_b32 s3, 0
	s_mov_b64 s[0:1], 0
	s_and_b64 s[4:5], s[4:5], vcc
	s_and_saveexec_b64 s[6:7], s[4:5]
	s_cbranch_execz .LBB5_43
; %bb.41:
	v_lshlrev_b32_e32 v2, 1, v0
	s_lshl_b32 s2, s33, 1
	v_mov_b32_e32 v1, 0
	v_mov_b32_e32 v3, s23
	;; [unrolled: 1-line block ×4, first 2 shown]
.LBB5_42:                               ; =>This Inner Loop Header: Depth=1
	v_add_co_u32_e32 v8, vcc, s22, v4
	v_addc_co_u32_e32 v9, vcc, v3, v1, vcc
	v_add_co_u32_e32 v10, vcc, s24, v4
	v_addc_co_u32_e32 v11, vcc, v5, v1, vcc
	v_add_co_u32_e32 v4, vcc, s8, v4
	v_add_u32_e32 v0, s33, v0
	v_addc_co_u32_e32 v1, vcc, v1, v6, vcc
	v_cmp_le_i32_e32 vcc, s10, v0
	v_add_u32_e32 v7, 1, v2
	global_store_dword v[8:9], v2, off
	global_store_dword v[10:11], v7, off
	s_or_b64 s[0:1], vcc, s[0:1]
	v_add_u32_e32 v2, s2, v2
	s_andn2_b64 exec, exec, s[0:1]
	s_cbranch_execnz .LBB5_42
.LBB5_43:
	s_endpgm
	.section	.rodata,"a",@progbits
	.p2align	6, 0x0
	.amdhsa_kernel _ZN9rocsolver6v33100L10syevj_initIffPfEEv14rocblas_evect_13rocblas_fill_iiT1_iilT0_PS6_PT_S7_PiSA_SA_
		.amdhsa_group_segment_fixed_size 0
		.amdhsa_private_segment_fixed_size 0
		.amdhsa_kernarg_size 352
		.amdhsa_user_sgpr_count 6
		.amdhsa_user_sgpr_private_segment_buffer 1
		.amdhsa_user_sgpr_dispatch_ptr 0
		.amdhsa_user_sgpr_queue_ptr 0
		.amdhsa_user_sgpr_kernarg_segment_ptr 1
		.amdhsa_user_sgpr_dispatch_id 0
		.amdhsa_user_sgpr_flat_scratch_init 0
		.amdhsa_user_sgpr_kernarg_preload_length 0
		.amdhsa_user_sgpr_kernarg_preload_offset 0
		.amdhsa_user_sgpr_private_segment_size 0
		.amdhsa_uses_dynamic_stack 0
		.amdhsa_system_sgpr_private_segment_wavefront_offset 0
		.amdhsa_system_sgpr_workgroup_id_x 1
		.amdhsa_system_sgpr_workgroup_id_y 1
		.amdhsa_system_sgpr_workgroup_id_z 0
		.amdhsa_system_sgpr_workgroup_info 0
		.amdhsa_system_vgpr_workitem_id 0
		.amdhsa_next_free_vgpr 30
		.amdhsa_next_free_sgpr 51
		.amdhsa_accum_offset 32
		.amdhsa_reserve_vcc 1
		.amdhsa_reserve_flat_scratch 0
		.amdhsa_float_round_mode_32 0
		.amdhsa_float_round_mode_16_64 0
		.amdhsa_float_denorm_mode_32 3
		.amdhsa_float_denorm_mode_16_64 3
		.amdhsa_dx10_clamp 1
		.amdhsa_ieee_mode 1
		.amdhsa_fp16_overflow 0
		.amdhsa_tg_split 0
		.amdhsa_exception_fp_ieee_invalid_op 0
		.amdhsa_exception_fp_denorm_src 0
		.amdhsa_exception_fp_ieee_div_zero 0
		.amdhsa_exception_fp_ieee_overflow 0
		.amdhsa_exception_fp_ieee_underflow 0
		.amdhsa_exception_fp_ieee_inexact 0
		.amdhsa_exception_int_div_zero 0
	.end_amdhsa_kernel
	.section	.text._ZN9rocsolver6v33100L10syevj_initIffPfEEv14rocblas_evect_13rocblas_fill_iiT1_iilT0_PS6_PT_S7_PiSA_SA_,"axG",@progbits,_ZN9rocsolver6v33100L10syevj_initIffPfEEv14rocblas_evect_13rocblas_fill_iiT1_iilT0_PS6_PT_S7_PiSA_SA_,comdat
.Lfunc_end5:
	.size	_ZN9rocsolver6v33100L10syevj_initIffPfEEv14rocblas_evect_13rocblas_fill_iiT1_iilT0_PS6_PT_S7_PiSA_SA_, .Lfunc_end5-_ZN9rocsolver6v33100L10syevj_initIffPfEEv14rocblas_evect_13rocblas_fill_iiT1_iilT0_PS6_PT_S7_PiSA_SA_
                                        ; -- End function
	.section	.AMDGPU.csdata,"",@progbits
; Kernel info:
; codeLenInByte = 1980
; NumSgprs: 55
; NumVgprs: 30
; NumAgprs: 0
; TotalNumVgprs: 30
; ScratchSize: 0
; MemoryBound: 0
; FloatMode: 240
; IeeeMode: 1
; LDSByteSize: 0 bytes/workgroup (compile time only)
; SGPRBlocks: 6
; VGPRBlocks: 3
; NumSGPRsForWavesPerEU: 55
; NumVGPRsForWavesPerEU: 30
; AccumOffset: 32
; Occupancy: 8
; WaveLimiterHint : 0
; COMPUTE_PGM_RSRC2:SCRATCH_EN: 0
; COMPUTE_PGM_RSRC2:USER_SGPR: 6
; COMPUTE_PGM_RSRC2:TRAP_HANDLER: 0
; COMPUTE_PGM_RSRC2:TGID_X_EN: 1
; COMPUTE_PGM_RSRC2:TGID_Y_EN: 1
; COMPUTE_PGM_RSRC2:TGID_Z_EN: 0
; COMPUTE_PGM_RSRC2:TIDIG_COMP_CNT: 0
; COMPUTE_PGM_RSRC3_GFX90A:ACCUM_OFFSET: 7
; COMPUTE_PGM_RSRC3_GFX90A:TG_SPLIT: 0
	.section	.text._ZN9rocsolver6v33100L17syevj_diag_kernelIffPfEEviT1_iilT0_PT_Pi,"axG",@progbits,_ZN9rocsolver6v33100L17syevj_diag_kernelIffPfEEviT1_iilT0_PT_Pi,comdat
	.globl	_ZN9rocsolver6v33100L17syevj_diag_kernelIffPfEEviT1_iilT0_PT_Pi ; -- Begin function _ZN9rocsolver6v33100L17syevj_diag_kernelIffPfEEviT1_iilT0_PT_Pi
	.p2align	8
	.type	_ZN9rocsolver6v33100L17syevj_diag_kernelIffPfEEviT1_iilT0_PT_Pi,@function
_ZN9rocsolver6v33100L17syevj_diag_kernelIffPfEEviT1_iilT0_PT_Pi: ; @_ZN9rocsolver6v33100L17syevj_diag_kernelIffPfEEviT1_iilT0_PT_Pi
; %bb.0:
	s_load_dwordx4 s[0:3], s[4:5], 0x28
	s_mov_b32 s16, s7
	s_ashr_i32 s17, s7, 31
	s_lshl_b64 s[8:9], s[16:17], 2
	s_waitcnt lgkmcnt(0)
	s_add_u32 s2, s2, s8
	s_addc_u32 s3, s3, s9
	s_load_dword s2, s[2:3], 0x4
	s_waitcnt lgkmcnt(0)
	s_cmp_lg_u32 s2, 0
	s_cbranch_scc1 .LBB6_46
; %bb.1:
	s_load_dword s28, s[4:5], 0x0
	s_load_dword s7, s[4:5], 0x44
	s_add_u32 s2, s4, 56
	s_addc_u32 s3, s5, 0
	v_and_b32_e32 v1, 0x3ff, v0
	v_bfe_u32 v3, v0, 10, 10
	s_waitcnt lgkmcnt(0)
	s_and_b32 s7, s7, 0xffff
	s_lshl_b32 s18, s7, 1
	s_add_i32 s7, s28, -1
	s_lshr_b32 s8, s7, 31
	s_add_i32 s7, s7, s8
	s_mul_i32 s29, s18, s6
	s_and_b32 s7, s7, -2
	s_sub_i32 s7, s7, s29
	s_add_i32 s7, s7, 2
	s_min_i32 s7, s18, s7
	s_ashr_i32 s19, s7, 1
	v_max_i32_e32 v0, v1, v3
	v_cmp_gt_i32_e32 vcc, s19, v0
	s_and_saveexec_b64 s[8:9], vcc
	s_cbranch_execz .LBB6_46
; %bb.2:
	s_cmp_eq_u64 s[0:1], 0
	s_mov_b64 s[12:13], 0
	s_cbranch_scc1 .LBB6_4
; %bb.3:
	s_load_dword s2, s[2:3], 0x0
	s_waitcnt lgkmcnt(0)
	s_mul_i32 s2, s2, s16
	s_add_i32 s2, s2, s6
	s_mul_i32 s2, s18, s2
	s_mul_i32 s2, s2, s18
	s_ashr_i32 s3, s2, 31
	s_lshl_b64 s[2:3], s[2:3], 2
	s_add_u32 s12, s0, s2
	s_addc_u32 s13, s1, s3
.LBB6_4:
	s_cmp_lg_u64 s[12:13], 0
	v_lshlrev_b32_e32 v0, 1, v1
	s_cselect_b64 s[14:15], -1, 0
	s_cmp_eq_u64 s[12:13], 0
	v_lshlrev_b32_e32 v6, 1, v3
	s_cbranch_scc1 .LBB6_6
; %bb.5:
	v_mad_u32_u24 v7, s18, v6, v0
	v_cmp_eq_u32_e32 vcc, v0, v6
	v_lshlrev_b32_e32 v4, 2, v7
	v_cndmask_b32_e64 v2, 0, 1.0, vcc
	v_mov_b32_e32 v9, s13
	v_add_co_u32_e32 v4, vcc, s12, v4
	v_addc_co_u32_e32 v5, vcc, 0, v9, vcc
	v_add_lshl_u32 v7, v7, s18, 2
	v_add_co_u32_e32 v8, vcc, s12, v7
	v_addc_co_u32_e32 v9, vcc, 0, v9, vcc
	v_mov_b32_e32 v7, 0
	flat_store_dword v[4:5], v2
	flat_store_dword v[8:9], v7
	flat_store_dword v[4:5], v7 offset:4
	flat_store_dword v[8:9], v2 offset:4
.LBB6_6:
	s_lshl_b32 s0, s19, 2
	s_add_i32 s20, s0, 0
	s_add_i32 s6, s20, s0
	v_add_u32_e32 v0, s29, v0
	s_add_i32 s30, s6, s0
	v_or_b32_e32 v2, 1, v0
	v_cmp_eq_u32_e64 s[0:1], 0, v3
	v_lshlrev_b32_e32 v7, 2, v1
	s_and_saveexec_b64 s[2:3], s[0:1]
	s_cbranch_execz .LBB6_8
; %bb.7:
	v_add_u32_e32 v4, s6, v7
	v_add_u32_e32 v3, s30, v7
	ds_write_b32 v4, v0
	ds_write_b32 v3, v2
.LBB6_8:
	s_or_b64 exec, exec, s[2:3]
	s_cmp_lt_i32 s7, 2
	s_cbranch_scc1 .LBB6_46
; %bb.9:
	s_load_dword s21, s[4:5], 0x20
	v_mov_b32_e32 v3, 0x800000
	v_add_u32_e32 v17, s30, v7
	v_mul_u32_u24_e32 v11, s18, v6
	v_mad_u32_u24 v12, s18, v6, s18
	s_waitcnt lgkmcnt(0)
	v_div_scale_f32 v4, s[2:3], s21, s21, v3
	s_load_dwordx4 s[8:11], s[4:5], 0x8
	s_load_dwordx2 s[2:3], s[4:5], 0x18
	v_rcp_f32_e32 v5, v4
	s_mov_b32 s4, 0x800000
	v_mov_b32_e32 v8, s21
	v_div_scale_f32 v8, vcc, s4, v8, s4
	v_fma_f32 v9, -v4, v5, 1.0
	s_waitcnt lgkmcnt(0)
	s_ashr_i32 s5, s10, 31
	s_mov_b32 s4, s10
	s_mul_i32 s3, s16, s3
	s_mul_hi_u32 s10, s16, s2
	v_fmac_f32_e32 v5, v9, v5
	s_add_i32 s3, s10, s3
	s_mul_i32 s10, s17, s2
	v_mul_f32_e32 v9, v8, v5
	s_add_i32 s3, s3, s10
	s_mul_i32 s2, s16, s2
	v_fma_f32 v10, -v4, v9, v8
	s_lshl_b64 s[2:3], s[2:3], 2
	v_fmac_f32_e32 v9, v10, v5
	s_add_u32 s8, s8, s2
	v_fma_f32 v4, -v4, v9, v8
	s_addc_u32 s9, s9, s3
	s_lshl_b64 s[2:3], s[4:5], 2
	v_div_fmas_f32 v4, v4, v5, v9
	s_add_u32 s10, s8, s2
	v_div_fixup_f32 v3, v4, s21, v3
	s_addc_u32 s31, s9, s3
	v_add_u32_e32 v4, s29, v6
	s_add_i32 s19, s19, -1
	s_add_i32 s4, s30, -4
	v_or_b32_e32 v8, 1, v4
	v_add_u32_e32 v5, 0, v7
	v_add_u32_e32 v10, s20, v7
	v_mul_lo_u32 v13, v4, s11
	v_add_u32_e32 v15, s6, v7
	v_add_u32_e32 v6, 4, v17
	v_mov_b32_e32 v7, s4
	v_cmp_eq_u32_e32 vcc, s19, v1
	s_add_i32 s33, s11, 1
	v_cmp_gt_i32_e64 s[2:3], s28, v8
	v_add_u32_e32 v14, s11, v13
	v_add_u32_e32 v16, -4, v15
	v_cndmask_b32_e32 v18, v6, v7, vcc
	s_add_i32 s34, s7, -1
	s_mov_b32 s35, 0x7f800000
	s_mov_b32 s36, 0xf800000
	v_mov_b32_e32 v19, 0x260
	v_mov_b32_e32 v20, 0
	;; [unrolled: 1-line block ×4, first 2 shown]
                                        ; implicit-def: $vgpr23
                                        ; implicit-def: $vgpr24
                                        ; implicit-def: $vgpr7
	s_branch .LBB6_11
.LBB6_10:                               ;   in Loop: Header=BB6_11 Depth=1
	s_or_b64 exec, exec, s[4:5]
	s_add_i32 s34, s34, -1
	s_cmp_lg_u32 s34, 0
	s_cbranch_scc0 .LBB6_46
.LBB6_11:                               ; =>This Inner Loop Header: Depth=1
	v_cmp_gt_i32_e64 s[4:5], s28, v0
	s_and_b64 s[8:9], s[0:1], s[4:5]
	v_cmp_gt_i32_e64 s[6:7], s28, v2
	s_and_b64 s[16:17], s[8:9], s[6:7]
	s_and_saveexec_b64 s[18:19], s[16:17]
	s_cbranch_execz .LBB6_27
; %bb.12:                               ;   in Loop: Header=BB6_11 Depth=1
	v_mul_lo_u32 v8, v2, s11
	v_add_u32_e32 v6, v0, v8
	v_ashrrev_i32_e32 v7, 31, v6
	v_lshlrev_b64 v[6:7], 2, v[6:7]
	v_mov_b32_e32 v9, s31
	v_add_co_u32_e32 v6, vcc, s10, v6
	v_addc_co_u32_e32 v7, vcc, v9, v7, vcc
	global_load_dword v6, v[6:7], off
	v_mov_b32_e32 v7, 0
	v_mov_b32_e32 v24, 1.0
	s_waitcnt vmcnt(0)
	v_mul_f32_e32 v9, v6, v6
	v_cmp_nlt_f32_e32 vcc, v9, v3
	s_and_saveexec_b64 s[20:21], vcc
	s_cbranch_execz .LBB6_26
; %bb.13:                               ;   in Loop: Header=BB6_11 Depth=1
	v_add_u32_e32 v8, v8, v2
	v_ashrrev_i32_e32 v9, 31, v8
	v_lshlrev_b64 v[8:9], 2, v[8:9]
	v_mul_lo_u32 v24, v0, s33
	v_mov_b32_e32 v7, s31
	v_add_co_u32_e32 v8, vcc, s10, v8
	v_ashrrev_i32_e32 v25, 31, v24
	v_addc_co_u32_e32 v9, vcc, v7, v9, vcc
	v_lshlrev_b64 v[24:25], 2, v[24:25]
	v_add_co_u32_e32 v24, vcc, s10, v24
	v_addc_co_u32_e32 v25, vcc, v7, v25, vcc
	global_load_dword v26, v[8:9], off
	global_load_dword v27, v[24:25], off
	v_add_f32_e64 v7, |v6|, |v6|
	s_waitcnt vmcnt(0)
	v_sub_f32_e32 v8, v26, v27
	v_max_f32_e64 v9, |v8|, |v7|
	v_cvt_f64_f32_e32 v[24:25], v9
	v_frexp_exp_i32_f64_e32 v24, v[24:25]
	v_sub_u32_e32 v25, 0, v24
	v_ldexp_f32 v26, |v8|, v25
	v_ldexp_f32 v25, |v7|, v25
	v_mul_f32_e32 v25, v25, v25
	v_fmac_f32_e32 v25, v26, v26
	v_sqrt_f32_e32 v26, v25
	v_cmp_ngt_f32_e32 vcc, 0, v8
                                        ; implicit-def: $vgpr25
	s_and_saveexec_b64 s[8:9], vcc
	s_xor_b64 s[8:9], exec, s[8:9]
; %bb.14:                               ;   in Loop: Header=BB6_11 Depth=1
	v_ldexp_f32 v24, v26, v24
	v_cmp_neq_f32_e32 vcc, s35, v9
	v_cndmask_b32_e32 v25, v21, v24, vcc
                                        ; implicit-def: $vgpr26
                                        ; implicit-def: $vgpr24
                                        ; implicit-def: $vgpr9
; %bb.15:                               ;   in Loop: Header=BB6_11 Depth=1
	s_andn2_saveexec_b64 s[8:9], s[8:9]
; %bb.16:                               ;   in Loop: Header=BB6_11 Depth=1
	v_ldexp_f32 v24, -v26, v24
	v_cmp_neq_f32_e32 vcc, s35, v9
	v_cndmask_b32_e32 v25, v22, v24, vcc
; %bb.17:                               ;   in Loop: Header=BB6_11 Depth=1
	s_or_b64 exec, exec, s[8:9]
	v_cmp_neq_f32_e32 vcc, 0, v7
	v_mov_b32_e32 v9, 0
	v_mov_b32_e32 v24, 1.0
	s_and_saveexec_b64 s[22:23], vcc
	s_cbranch_execz .LBB6_25
; %bb.18:                               ;   in Loop: Header=BB6_11 Depth=1
	v_add_f32_e32 v8, v8, v25
	v_cmp_neq_f32_e32 vcc, 0, v8
	v_mov_b32_e32 v24, 0
	v_mov_b32_e32 v9, 1.0
	s_and_saveexec_b64 s[24:25], vcc
	s_cbranch_execz .LBB6_24
; %bb.19:                               ;   in Loop: Header=BB6_11 Depth=1
	v_cmp_ngt_f32_e64 s[8:9], |v7|, |v8|
                                        ; implicit-def: $vgpr24
                                        ; implicit-def: $vgpr9
	s_and_saveexec_b64 s[26:27], s[8:9]
	s_xor_b64 s[26:27], exec, s[26:27]
	s_cbranch_execz .LBB6_21
; %bb.20:                               ;   in Loop: Header=BB6_11 Depth=1
	v_div_scale_f32 v9, s[8:9], v8, v8, -v7
	v_rcp_f32_e32 v24, v9
	v_div_scale_f32 v25, vcc, -v7, v8, -v7
	v_fma_f32 v26, -v9, v24, 1.0
	v_fmac_f32_e32 v24, v26, v24
	v_mul_f32_e32 v26, v25, v24
	v_fma_f32 v27, -v9, v26, v25
	v_fmac_f32_e32 v26, v27, v24
	v_fma_f32 v9, -v9, v26, v25
	v_div_fmas_f32 v9, v9, v24, v26
	v_div_fixup_f32 v7, v9, v8, -v7
	v_fma_f32 v8, v7, v7, 1.0
	v_mul_f32_e32 v9, 0x4f800000, v8
	v_cmp_gt_f32_e32 vcc, s36, v8
	v_cndmask_b32_e32 v8, v8, v9, vcc
	v_sqrt_f32_e32 v9, v8
	v_add_u32_e32 v24, -1, v9
	v_fma_f32 v25, -v24, v9, v8
	v_cmp_ge_f32_e64 s[8:9], 0, v25
	v_add_u32_e32 v25, 1, v9
	v_cndmask_b32_e64 v24, v9, v24, s[8:9]
	v_fma_f32 v9, -v25, v9, v8
	v_cmp_lt_f32_e64 s[8:9], 0, v9
	v_cndmask_b32_e64 v9, v24, v25, s[8:9]
	v_mul_f32_e32 v24, 0x37800000, v9
	v_cndmask_b32_e32 v9, v9, v24, vcc
	v_cmp_class_f32_e32 vcc, v8, v19
	v_cndmask_b32_e32 v8, v9, v8, vcc
	v_div_scale_f32 v9, s[8:9], v8, v8, 1.0
	v_rcp_f32_e32 v24, v9
	v_fma_f32 v25, -v9, v24, 1.0
	v_fmac_f32_e32 v24, v25, v24
	v_div_scale_f32 v25, vcc, 1.0, v8, 1.0
	v_mul_f32_e32 v26, v25, v24
	v_fma_f32 v27, -v9, v26, v25
	v_fmac_f32_e32 v26, v27, v24
	v_fma_f32 v9, -v9, v26, v25
	v_div_fmas_f32 v9, v9, v24, v26
	v_div_fixup_f32 v24, v9, v8, 1.0
	v_mul_f32_e32 v9, v7, v24
                                        ; implicit-def: $vgpr7
                                        ; implicit-def: $vgpr8
.LBB6_21:                               ;   in Loop: Header=BB6_11 Depth=1
	s_andn2_saveexec_b64 s[26:27], s[26:27]
	s_cbranch_execz .LBB6_23
; %bb.22:                               ;   in Loop: Header=BB6_11 Depth=1
	v_div_scale_f32 v9, s[8:9], v7, v7, -v8
	v_rcp_f32_e32 v24, v9
	v_div_scale_f32 v25, vcc, -v8, v7, -v8
	v_fma_f32 v26, -v9, v24, 1.0
	v_fmac_f32_e32 v24, v26, v24
	v_mul_f32_e32 v26, v25, v24
	v_fma_f32 v27, -v9, v26, v25
	v_fmac_f32_e32 v26, v27, v24
	v_fma_f32 v9, -v9, v26, v25
	v_div_fmas_f32 v9, v9, v24, v26
	v_div_fixup_f32 v7, v9, v7, -v8
	v_fma_f32 v8, v7, v7, 1.0
	v_mul_f32_e32 v9, 0x4f800000, v8
	v_cmp_gt_f32_e32 vcc, s36, v8
	v_cndmask_b32_e32 v8, v8, v9, vcc
	v_sqrt_f32_e32 v9, v8
	v_add_u32_e32 v24, -1, v9
	v_fma_f32 v25, -v24, v9, v8
	v_cmp_ge_f32_e64 s[8:9], 0, v25
	v_add_u32_e32 v25, 1, v9
	v_cndmask_b32_e64 v24, v9, v24, s[8:9]
	v_fma_f32 v9, -v25, v9, v8
	v_cmp_lt_f32_e64 s[8:9], 0, v9
	v_cndmask_b32_e64 v9, v24, v25, s[8:9]
	v_mul_f32_e32 v24, 0x37800000, v9
	v_cndmask_b32_e32 v9, v9, v24, vcc
	v_cmp_class_f32_e32 vcc, v8, v19
	v_cndmask_b32_e32 v8, v9, v8, vcc
	v_div_scale_f32 v9, s[8:9], v8, v8, 1.0
	v_rcp_f32_e32 v24, v9
	v_fma_f32 v25, -v9, v24, 1.0
	v_fmac_f32_e32 v24, v25, v24
	v_div_scale_f32 v25, vcc, 1.0, v8, 1.0
	v_mul_f32_e32 v26, v25, v24
	v_fma_f32 v27, -v9, v26, v25
	v_fmac_f32_e32 v26, v27, v24
	v_fma_f32 v9, -v9, v26, v25
	v_div_fmas_f32 v9, v9, v24, v26
	v_div_fixup_f32 v9, v9, v8, 1.0
	v_mul_f32_e32 v24, v7, v9
.LBB6_23:                               ;   in Loop: Header=BB6_11 Depth=1
	s_or_b64 exec, exec, s[26:27]
.LBB6_24:                               ;   in Loop: Header=BB6_11 Depth=1
	s_or_b64 exec, exec, s[24:25]
.LBB6_25:                               ;   in Loop: Header=BB6_11 Depth=1
	s_or_b64 exec, exec, s[22:23]
	v_mul_f32_e32 v7, v6, v9
	v_and_b32_e32 v8, 0x7fffffff, v6
	v_div_scale_f32 v9, s[8:9], v8, v8, v7
	v_rcp_f32_e32 v25, v9
	v_div_scale_f32 v8, vcc, v7, v8, v7
	v_fma_f32 v26, -v9, v25, 1.0
	v_fmac_f32_e32 v25, v26, v25
	v_mul_f32_e32 v26, v8, v25
	v_fma_f32 v27, -v9, v26, v8
	v_fmac_f32_e32 v26, v27, v25
	v_fma_f32 v8, -v9, v26, v8
	v_div_fmas_f32 v8, v8, v25, v26
	v_div_fixup_f32 v7, v8, |v6|, v7
.LBB6_26:                               ;   in Loop: Header=BB6_11 Depth=1
	s_or_b64 exec, exec, s[20:21]
	ds_write_b32 v5, v24
	ds_write_b32 v10, v7
.LBB6_27:                               ;   in Loop: Header=BB6_11 Depth=1
	s_or_b64 exec, exec, s[18:19]
	s_and_b64 s[4:5], s[4:5], s[6:7]
	s_waitcnt lgkmcnt(0)
	s_barrier
	s_and_saveexec_b64 s[6:7], s[4:5]
	s_cbranch_execz .LBB6_35
; %bb.28:                               ;   in Loop: Header=BB6_11 Depth=1
	ds_read_b32 v24, v5
	ds_read_b32 v23, v10
	s_andn2_b64 vcc, exec, s[14:15]
	s_cbranch_vccnz .LBB6_32
; %bb.29:                               ;   in Loop: Header=BB6_11 Depth=1
	v_subrev_u32_e32 v7, s29, v0
	v_add_u32_e32 v8, v7, v11
	v_subrev_u32_e32 v6, s29, v2
	v_ashrrev_i32_e32 v9, 31, v8
	v_lshlrev_b64 v[8:9], 2, v[8:9]
	v_add_u32_e32 v26, v6, v11
	v_mov_b32_e32 v25, s13
	v_add_co_u32_e32 v8, vcc, s12, v8
	v_ashrrev_i32_e32 v27, 31, v26
	v_addc_co_u32_e32 v9, vcc, v25, v9, vcc
	v_lshlrev_b64 v[26:27], 2, v[26:27]
	v_add_co_u32_e32 v26, vcc, s12, v26
	v_addc_co_u32_e32 v27, vcc, v25, v27, vcc
	flat_load_dword v25, v[26:27]
	flat_load_dword v28, v[8:9]
	s_waitcnt vmcnt(0) lgkmcnt(0)
	v_mul_f32_e32 v29, v23, v25
	v_mul_f32_e32 v30, v23, v28
	v_fmac_f32_e32 v29, v24, v28
	v_fma_f32 v25, v24, v25, -v30
	flat_store_dword v[8:9], v29
	flat_store_dword v[26:27], v25
	s_and_saveexec_b64 s[8:9], s[2:3]
	s_cbranch_execz .LBB6_31
; %bb.30:                               ;   in Loop: Header=BB6_11 Depth=1
	v_add_u32_e32 v8, v7, v12
	v_ashrrev_i32_e32 v9, 31, v8
	v_lshlrev_b64 v[8:9], 2, v[8:9]
	v_add_u32_e32 v6, v6, v12
	v_mov_b32_e32 v25, s13
	v_add_co_u32_e32 v8, vcc, s12, v8
	v_ashrrev_i32_e32 v7, 31, v6
	v_addc_co_u32_e32 v9, vcc, v25, v9, vcc
	v_lshlrev_b64 v[6:7], 2, v[6:7]
	v_add_co_u32_e32 v6, vcc, s12, v6
	v_addc_co_u32_e32 v7, vcc, v25, v7, vcc
	flat_load_dword v25, v[6:7]
	flat_load_dword v26, v[8:9]
	s_waitcnt vmcnt(0) lgkmcnt(0)
	v_mul_f32_e32 v27, v23, v25
	v_mul_f32_e32 v28, v23, v26
	v_fmac_f32_e32 v27, v24, v26
	v_fma_f32 v25, v24, v25, -v28
	flat_store_dword v[8:9], v27
	flat_store_dword v[6:7], v25
.LBB6_31:                               ;   in Loop: Header=BB6_11 Depth=1
	s_or_b64 exec, exec, s[8:9]
.LBB6_32:                               ;   in Loop: Header=BB6_11 Depth=1
	v_mad_u64_u32 v[6:7], s[8:9], v0, s11, v[4:5]
	v_ashrrev_i32_e32 v7, 31, v6
	v_lshlrev_b64 v[6:7], 2, v[6:7]
	v_mov_b32_e32 v8, s31
	v_add_co_u32_e32 v6, vcc, s10, v6
	v_addc_co_u32_e32 v7, vcc, v8, v7, vcc
	v_mad_u64_u32 v[8:9], s[8:9], v2, s11, v[4:5]
	v_ashrrev_i32_e32 v9, 31, v8
	v_lshlrev_b64 v[8:9], 2, v[8:9]
	v_mov_b32_e32 v25, s31
	v_add_co_u32_e32 v8, vcc, s10, v8
	v_addc_co_u32_e32 v9, vcc, v25, v9, vcc
	global_load_dword v25, v[8:9], off
	global_load_dword v26, v[6:7], off
	s_waitcnt vmcnt(0) lgkmcnt(0)
	v_mul_f32_e32 v27, v23, v25
	v_mul_f32_e32 v28, v23, v26
	v_fmac_f32_e32 v27, v24, v26
	v_fma_f32 v25, v24, v25, -v28
	global_store_dword v[6:7], v27, off
	global_store_dword v[8:9], v25, off
	s_and_saveexec_b64 s[8:9], s[2:3]
	s_cbranch_execz .LBB6_34
; %bb.33:                               ;   in Loop: Header=BB6_11 Depth=1
	global_load_dword v25, v[8:9], off offset:4
	global_load_dword v26, v[6:7], off offset:4
	s_waitcnt vmcnt(1)
	v_mul_f32_e32 v27, v23, v25
	s_waitcnt vmcnt(0)
	v_mul_f32_e32 v28, v23, v26
	v_fmac_f32_e32 v27, v24, v26
	v_fma_f32 v25, v24, v25, -v28
	global_store_dword v[6:7], v27, off offset:4
	global_store_dword v[8:9], v25, off offset:4
.LBB6_34:                               ;   in Loop: Header=BB6_11 Depth=1
	s_or_b64 exec, exec, s[8:9]
	v_mov_b32_e32 v7, v23
.LBB6_35:                               ;   in Loop: Header=BB6_11 Depth=1
	s_or_b64 exec, exec, s[6:7]
	s_barrier
	s_and_saveexec_b64 s[6:7], s[4:5]
	s_cbranch_execz .LBB6_38
; %bb.36:                               ;   in Loop: Header=BB6_11 Depth=1
	v_add_u32_e32 v8, v0, v13
	v_ashrrev_i32_e32 v9, 31, v8
	v_lshlrev_b64 v[8:9], 2, v[8:9]
	v_add_u32_e32 v26, v2, v13
	v_mov_b32_e32 v6, s31
	v_add_co_u32_e32 v8, vcc, s10, v8
	v_ashrrev_i32_e32 v27, 31, v26
	v_addc_co_u32_e32 v9, vcc, v6, v9, vcc
	v_lshlrev_b64 v[26:27], 2, v[26:27]
	v_add_co_u32_e32 v26, vcc, s10, v26
	v_addc_co_u32_e32 v27, vcc, v6, v27, vcc
	global_load_dword v6, v[26:27], off
	global_load_dword v25, v[8:9], off
	s_waitcnt vmcnt(0)
	v_mul_f32_e32 v28, v7, v6
	v_mul_f32_e32 v29, v23, v25
	v_fmac_f32_e32 v28, v24, v25
	v_fma_f32 v6, v24, v6, -v29
	global_store_dword v[8:9], v28, off
	global_store_dword v[26:27], v6, off
	s_and_b64 exec, exec, s[2:3]
	s_cbranch_execz .LBB6_38
; %bb.37:                               ;   in Loop: Header=BB6_11 Depth=1
	v_add_u32_e32 v8, v0, v14
	v_ashrrev_i32_e32 v9, 31, v8
	v_lshlrev_b64 v[8:9], 2, v[8:9]
	v_add_u32_e32 v26, v2, v14
	v_mov_b32_e32 v6, s31
	v_add_co_u32_e32 v8, vcc, s10, v8
	v_ashrrev_i32_e32 v27, 31, v26
	v_addc_co_u32_e32 v9, vcc, v6, v9, vcc
	v_lshlrev_b64 v[26:27], 2, v[26:27]
	v_add_co_u32_e32 v26, vcc, s10, v26
	v_addc_co_u32_e32 v27, vcc, v6, v27, vcc
	global_load_dword v6, v[26:27], off
	global_load_dword v25, v[8:9], off
	s_waitcnt vmcnt(1)
	v_mul_f32_e32 v28, v7, v6
	s_waitcnt vmcnt(0)
	v_mul_f32_e32 v29, v23, v25
	v_fmac_f32_e32 v28, v24, v25
	v_fma_f32 v6, v24, v6, -v29
	global_store_dword v[8:9], v28, off
	global_store_dword v[26:27], v6, off
.LBB6_38:                               ;   in Loop: Header=BB6_11 Depth=1
	s_or_b64 exec, exec, s[6:7]
	s_barrier
	s_and_saveexec_b64 s[4:5], s[16:17]
	s_cbranch_execz .LBB6_40
; %bb.39:                               ;   in Loop: Header=BB6_11 Depth=1
	v_mad_u64_u32 v[8:9], s[6:7], v2, s11, v[0:1]
	v_ashrrev_i32_e32 v9, 31, v8
	v_lshlrev_b64 v[8:9], 2, v[8:9]
	v_mov_b32_e32 v6, s31
	v_add_co_u32_e32 v8, vcc, s10, v8
	v_addc_co_u32_e32 v9, vcc, v6, v9, vcc
	global_store_dword v[8:9], v20, off
	v_mad_u64_u32 v[8:9], s[6:7], v0, s11, v[2:3]
	v_ashrrev_i32_e32 v9, 31, v8
	v_lshlrev_b64 v[8:9], 2, v[8:9]
	v_mov_b32_e32 v2, s31
	v_add_co_u32_e32 v8, vcc, s10, v8
	v_addc_co_u32_e32 v9, vcc, v2, v9, vcc
	global_store_dword v[8:9], v20, off
.LBB6_40:                               ;   in Loop: Header=BB6_11 Depth=1
	s_or_b64 exec, exec, s[4:5]
	v_cmp_lt_i32_e32 vcc, 0, v1
	s_and_saveexec_b64 s[4:5], vcc
	s_cbranch_execz .LBB6_44
; %bb.41:                               ;   in Loop: Header=BB6_11 Depth=1
	v_cmp_ne_u32_e32 vcc, 1, v1
	v_mov_b32_e32 v0, s30
	s_and_saveexec_b64 s[6:7], vcc
; %bb.42:                               ;   in Loop: Header=BB6_11 Depth=1
	v_mov_b32_e32 v0, v16
; %bb.43:                               ;   in Loop: Header=BB6_11 Depth=1
	s_or_b64 exec, exec, s[6:7]
	ds_read_b32 v0, v0
.LBB6_44:                               ;   in Loop: Header=BB6_11 Depth=1
	s_or_b64 exec, exec, s[4:5]
	ds_read_b32 v2, v18
	s_waitcnt lgkmcnt(0)
	s_barrier
	s_and_saveexec_b64 s[4:5], s[0:1]
	s_cbranch_execz .LBB6_10
; %bb.45:                               ;   in Loop: Header=BB6_11 Depth=1
	ds_write_b32 v15, v0
	ds_write_b32 v17, v2
	s_branch .LBB6_10
.LBB6_46:
	s_endpgm
	.section	.rodata,"a",@progbits
	.p2align	6, 0x0
	.amdhsa_kernel _ZN9rocsolver6v33100L17syevj_diag_kernelIffPfEEviT1_iilT0_PT_Pi
		.amdhsa_group_segment_fixed_size 0
		.amdhsa_private_segment_fixed_size 0
		.amdhsa_kernarg_size 312
		.amdhsa_user_sgpr_count 6
		.amdhsa_user_sgpr_private_segment_buffer 1
		.amdhsa_user_sgpr_dispatch_ptr 0
		.amdhsa_user_sgpr_queue_ptr 0
		.amdhsa_user_sgpr_kernarg_segment_ptr 1
		.amdhsa_user_sgpr_dispatch_id 0
		.amdhsa_user_sgpr_flat_scratch_init 0
		.amdhsa_user_sgpr_kernarg_preload_length 0
		.amdhsa_user_sgpr_kernarg_preload_offset 0
		.amdhsa_user_sgpr_private_segment_size 0
		.amdhsa_uses_dynamic_stack 0
		.amdhsa_system_sgpr_private_segment_wavefront_offset 0
		.amdhsa_system_sgpr_workgroup_id_x 1
		.amdhsa_system_sgpr_workgroup_id_y 0
		.amdhsa_system_sgpr_workgroup_id_z 1
		.amdhsa_system_sgpr_workgroup_info 0
		.amdhsa_system_vgpr_workitem_id 1
		.amdhsa_next_free_vgpr 31
		.amdhsa_next_free_sgpr 37
		.amdhsa_accum_offset 32
		.amdhsa_reserve_vcc 1
		.amdhsa_reserve_flat_scratch 0
		.amdhsa_float_round_mode_32 0
		.amdhsa_float_round_mode_16_64 0
		.amdhsa_float_denorm_mode_32 3
		.amdhsa_float_denorm_mode_16_64 3
		.amdhsa_dx10_clamp 1
		.amdhsa_ieee_mode 1
		.amdhsa_fp16_overflow 0
		.amdhsa_tg_split 0
		.amdhsa_exception_fp_ieee_invalid_op 0
		.amdhsa_exception_fp_denorm_src 0
		.amdhsa_exception_fp_ieee_div_zero 0
		.amdhsa_exception_fp_ieee_overflow 0
		.amdhsa_exception_fp_ieee_underflow 0
		.amdhsa_exception_fp_ieee_inexact 0
		.amdhsa_exception_int_div_zero 0
	.end_amdhsa_kernel
	.section	.text._ZN9rocsolver6v33100L17syevj_diag_kernelIffPfEEviT1_iilT0_PT_Pi,"axG",@progbits,_ZN9rocsolver6v33100L17syevj_diag_kernelIffPfEEviT1_iilT0_PT_Pi,comdat
.Lfunc_end6:
	.size	_ZN9rocsolver6v33100L17syevj_diag_kernelIffPfEEviT1_iilT0_PT_Pi, .Lfunc_end6-_ZN9rocsolver6v33100L17syevj_diag_kernelIffPfEEviT1_iilT0_PT_Pi
                                        ; -- End function
	.section	.AMDGPU.csdata,"",@progbits
; Kernel info:
; codeLenInByte = 2644
; NumSgprs: 41
; NumVgprs: 31
; NumAgprs: 0
; TotalNumVgprs: 31
; ScratchSize: 0
; MemoryBound: 0
; FloatMode: 240
; IeeeMode: 1
; LDSByteSize: 0 bytes/workgroup (compile time only)
; SGPRBlocks: 5
; VGPRBlocks: 3
; NumSGPRsForWavesPerEU: 41
; NumVGPRsForWavesPerEU: 31
; AccumOffset: 32
; Occupancy: 8
; WaveLimiterHint : 0
; COMPUTE_PGM_RSRC2:SCRATCH_EN: 0
; COMPUTE_PGM_RSRC2:USER_SGPR: 6
; COMPUTE_PGM_RSRC2:TRAP_HANDLER: 0
; COMPUTE_PGM_RSRC2:TGID_X_EN: 1
; COMPUTE_PGM_RSRC2:TGID_Y_EN: 0
; COMPUTE_PGM_RSRC2:TGID_Z_EN: 1
; COMPUTE_PGM_RSRC2:TIDIG_COMP_CNT: 1
; COMPUTE_PGM_RSRC3_GFX90A:ACCUM_OFFSET: 7
; COMPUTE_PGM_RSRC3_GFX90A:TG_SPLIT: 0
	.section	.text._ZN9rocsolver6v33100L21syevj_diag_rotate_orgILb0EffPfEEvbiT2_iilPT0_Pi,"axG",@progbits,_ZN9rocsolver6v33100L21syevj_diag_rotate_orgILb0EffPfEEvbiT2_iilPT0_Pi,comdat
	.globl	_ZN9rocsolver6v33100L21syevj_diag_rotate_orgILb0EffPfEEvbiT2_iilPT0_Pi ; -- Begin function _ZN9rocsolver6v33100L21syevj_diag_rotate_orgILb0EffPfEEvbiT2_iilPT0_Pi
	.p2align	8
	.type	_ZN9rocsolver6v33100L21syevj_diag_rotate_orgILb0EffPfEEvbiT2_iilPT0_Pi,@function
_ZN9rocsolver6v33100L21syevj_diag_rotate_orgILb0EffPfEEvbiT2_iilPT0_Pi: ; @_ZN9rocsolver6v33100L21syevj_diag_rotate_orgILb0EffPfEEvbiT2_iilPT0_Pi
; %bb.0:
	s_load_dwordx2 s[0:1], s[4:5], 0x0
	s_load_dwordx2 s[2:3], s[4:5], 0x28
	s_waitcnt lgkmcnt(0)
	s_bitcmp1_b32 s0, 0
	s_cselect_b64 s[10:11], -1, 0
	s_ashr_i32 s9, s8, 31
	s_lshl_b64 s[12:13], s[8:9], 2
	s_add_u32 s2, s2, s12
	s_addc_u32 s3, s3, s13
	s_load_dword s0, s[2:3], 0x4
	s_waitcnt lgkmcnt(0)
	s_cmp_lg_u32 s0, 0
	s_cselect_b64 s[2:3], -1, 0
	s_cmp_eq_u32 s6, s7
	s_cselect_b64 s[12:13], -1, 0
	s_and_b64 s[10:11], s[12:13], s[10:11]
	s_or_b64 s[2:3], s[10:11], s[2:3]
	s_and_b64 vcc, exec, s[2:3]
	s_cbranch_vccnz .LBB7_7
; %bb.1:
	s_load_dword s0, s[4:5], 0x3c
	s_add_u32 s2, s4, 48
	s_addc_u32 s3, s5, 0
	v_and_b32_e32 v3, 0x3ff, v0
	v_bfe_u32 v2, v0, 10, 10
	s_waitcnt lgkmcnt(0)
	s_and_b32 s10, s0, 0xffff
	s_mul_i32 s0, s6, s10
	s_mul_i32 s11, s7, s10
	v_add_u32_e32 v1, s0, v3
	v_add_u32_e32 v0, s11, v2
	v_max_i32_e32 v4, v1, v0
	v_cmp_gt_i32_e32 vcc, s1, v4
	s_and_saveexec_b64 s[12:13], vcc
	s_cbranch_execz .LBB7_7
; %bb.2:
	s_load_dwordx8 s[12:19], s[4:5], 0x8
	s_sub_i32 s0, s1, s0
	s_min_i32 s4, s0, s10
	s_waitcnt lgkmcnt(0)
	s_mul_i32 s5, s8, s17
	s_mul_hi_u32 s11, s8, s16
	s_add_i32 s5, s11, s5
	s_mul_i32 s9, s9, s16
	s_add_i32 s17, s5, s9
	s_mul_i32 s16, s8, s16
	s_ashr_i32 s1, s14, 31
	s_lshl_b64 s[16:17], s[16:17], 2
	s_mov_b32 s0, s14
	s_add_u32 s5, s12, s16
	s_addc_u32 s9, s13, s17
	s_lshl_b64 s[0:1], s[0:1], 2
	s_add_u32 s0, s5, s0
	s_addc_u32 s1, s9, s1
	s_cmp_lt_i32 s4, 1
	s_cbranch_scc1 .LBB7_5
; %bb.3:
	s_load_dword s2, s[2:3], 0x0
	s_mul_i32 s3, s6, s15
	s_add_i32 s3, s7, s3
	s_mul_i32 s3, s3, s10
	v_add_u32_e32 v2, s3, v2
	s_waitcnt lgkmcnt(0)
	s_mul_i32 s2, s2, s8
	s_add_i32 s2, s2, s6
	s_mul_i32 s2, s2, s10
	s_mul_i32 s2, s2, s10
	s_ashr_i32 s3, s2, 31
	s_lshl_b64 s[2:3], s[2:3], 2
	s_add_u32 s2, s18, s2
	v_lshlrev_b32_e32 v3, 2, v3
	s_addc_u32 s3, s19, s3
	s_mov_b32 s5, 0
	v_mov_b32_e32 v5, s3
	v_add_co_u32_e32 v4, vcc, s2, v3
	v_addc_co_u32_e32 v5, vcc, 0, v5, vcc
	s_lshl_b32 s2, s10, 2
	v_mov_b32_e32 v6, 0
	v_mov_b32_e32 v7, s1
	;; [unrolled: 1-line block ×3, first 2 shown]
.LBB7_4:                                ; =>This Inner Loop Header: Depth=1
	v_ashrrev_i32_e32 v3, 31, v2
	v_lshlrev_b64 v[10:11], 2, v[2:3]
	v_add_co_u32_e32 v10, vcc, s0, v10
	v_addc_co_u32_e32 v11, vcc, v7, v11, vcc
	global_load_dword v9, v[4:5], off
	global_load_dword v3, v[10:11], off
	s_add_i32 s4, s4, -1
	v_add_co_u32_e32 v4, vcc, s2, v4
	v_addc_co_u32_e32 v5, vcc, v5, v8, vcc
	v_add_u32_e32 v2, s15, v2
	s_cmp_lg_u32 s4, 0
	s_waitcnt vmcnt(0)
	v_fmac_f32_e32 v6, v9, v3
	s_cbranch_scc1 .LBB7_4
	s_branch .LBB7_6
.LBB7_5:
	v_mov_b32_e32 v6, 0
.LBB7_6:
	v_mad_u64_u32 v[0:1], s[2:3], v1, s15, v[0:1]
	v_ashrrev_i32_e32 v1, 31, v0
	v_lshlrev_b64 v[0:1], 2, v[0:1]
	v_mov_b32_e32 v2, s1
	v_add_co_u32_e32 v0, vcc, s0, v0
	v_addc_co_u32_e32 v1, vcc, v2, v1, vcc
	s_barrier
	global_store_dword v[0:1], v6, off
.LBB7_7:
	s_endpgm
	.section	.rodata,"a",@progbits
	.p2align	6, 0x0
	.amdhsa_kernel _ZN9rocsolver6v33100L21syevj_diag_rotate_orgILb0EffPfEEvbiT2_iilPT0_Pi
		.amdhsa_group_segment_fixed_size 0
		.amdhsa_private_segment_fixed_size 0
		.amdhsa_kernarg_size 304
		.amdhsa_user_sgpr_count 6
		.amdhsa_user_sgpr_private_segment_buffer 1
		.amdhsa_user_sgpr_dispatch_ptr 0
		.amdhsa_user_sgpr_queue_ptr 0
		.amdhsa_user_sgpr_kernarg_segment_ptr 1
		.amdhsa_user_sgpr_dispatch_id 0
		.amdhsa_user_sgpr_flat_scratch_init 0
		.amdhsa_user_sgpr_kernarg_preload_length 0
		.amdhsa_user_sgpr_kernarg_preload_offset 0
		.amdhsa_user_sgpr_private_segment_size 0
		.amdhsa_uses_dynamic_stack 0
		.amdhsa_system_sgpr_private_segment_wavefront_offset 0
		.amdhsa_system_sgpr_workgroup_id_x 1
		.amdhsa_system_sgpr_workgroup_id_y 1
		.amdhsa_system_sgpr_workgroup_id_z 1
		.amdhsa_system_sgpr_workgroup_info 0
		.amdhsa_system_vgpr_workitem_id 1
		.amdhsa_next_free_vgpr 12
		.amdhsa_next_free_sgpr 20
		.amdhsa_accum_offset 12
		.amdhsa_reserve_vcc 1
		.amdhsa_reserve_flat_scratch 0
		.amdhsa_float_round_mode_32 0
		.amdhsa_float_round_mode_16_64 0
		.amdhsa_float_denorm_mode_32 3
		.amdhsa_float_denorm_mode_16_64 3
		.amdhsa_dx10_clamp 1
		.amdhsa_ieee_mode 1
		.amdhsa_fp16_overflow 0
		.amdhsa_tg_split 0
		.amdhsa_exception_fp_ieee_invalid_op 0
		.amdhsa_exception_fp_denorm_src 0
		.amdhsa_exception_fp_ieee_div_zero 0
		.amdhsa_exception_fp_ieee_overflow 0
		.amdhsa_exception_fp_ieee_underflow 0
		.amdhsa_exception_fp_ieee_inexact 0
		.amdhsa_exception_int_div_zero 0
	.end_amdhsa_kernel
	.section	.text._ZN9rocsolver6v33100L21syevj_diag_rotate_orgILb0EffPfEEvbiT2_iilPT0_Pi,"axG",@progbits,_ZN9rocsolver6v33100L21syevj_diag_rotate_orgILb0EffPfEEvbiT2_iilPT0_Pi,comdat
.Lfunc_end7:
	.size	_ZN9rocsolver6v33100L21syevj_diag_rotate_orgILb0EffPfEEvbiT2_iilPT0_Pi, .Lfunc_end7-_ZN9rocsolver6v33100L21syevj_diag_rotate_orgILb0EffPfEEvbiT2_iilPT0_Pi
                                        ; -- End function
	.section	.AMDGPU.csdata,"",@progbits
; Kernel info:
; codeLenInByte = 468
; NumSgprs: 24
; NumVgprs: 12
; NumAgprs: 0
; TotalNumVgprs: 12
; ScratchSize: 0
; MemoryBound: 0
; FloatMode: 240
; IeeeMode: 1
; LDSByteSize: 0 bytes/workgroup (compile time only)
; SGPRBlocks: 2
; VGPRBlocks: 1
; NumSGPRsForWavesPerEU: 24
; NumVGPRsForWavesPerEU: 12
; AccumOffset: 12
; Occupancy: 8
; WaveLimiterHint : 0
; COMPUTE_PGM_RSRC2:SCRATCH_EN: 0
; COMPUTE_PGM_RSRC2:USER_SGPR: 6
; COMPUTE_PGM_RSRC2:TRAP_HANDLER: 0
; COMPUTE_PGM_RSRC2:TGID_X_EN: 1
; COMPUTE_PGM_RSRC2:TGID_Y_EN: 1
; COMPUTE_PGM_RSRC2:TGID_Z_EN: 1
; COMPUTE_PGM_RSRC2:TIDIG_COMP_CNT: 1
; COMPUTE_PGM_RSRC3_GFX90A:ACCUM_OFFSET: 2
; COMPUTE_PGM_RSRC3_GFX90A:TG_SPLIT: 0
	.section	.text._ZN9rocsolver6v33100L21syevj_diag_rotate_orgILb1EffPfEEvbiT2_iilPT0_Pi,"axG",@progbits,_ZN9rocsolver6v33100L21syevj_diag_rotate_orgILb1EffPfEEvbiT2_iilPT0_Pi,comdat
	.globl	_ZN9rocsolver6v33100L21syevj_diag_rotate_orgILb1EffPfEEvbiT2_iilPT0_Pi ; -- Begin function _ZN9rocsolver6v33100L21syevj_diag_rotate_orgILb1EffPfEEvbiT2_iilPT0_Pi
	.p2align	8
	.type	_ZN9rocsolver6v33100L21syevj_diag_rotate_orgILb1EffPfEEvbiT2_iilPT0_Pi,@function
_ZN9rocsolver6v33100L21syevj_diag_rotate_orgILb1EffPfEEvbiT2_iilPT0_Pi: ; @_ZN9rocsolver6v33100L21syevj_diag_rotate_orgILb1EffPfEEvbiT2_iilPT0_Pi
; %bb.0:
	s_load_dwordx2 s[0:1], s[4:5], 0x0
	s_load_dwordx2 s[2:3], s[4:5], 0x28
	s_waitcnt lgkmcnt(0)
	s_bitcmp1_b32 s0, 0
	s_cselect_b64 s[10:11], -1, 0
	s_ashr_i32 s9, s8, 31
	s_lshl_b64 s[12:13], s[8:9], 2
	s_add_u32 s2, s2, s12
	s_addc_u32 s3, s3, s13
	s_load_dword s0, s[2:3], 0x4
	s_waitcnt lgkmcnt(0)
	s_cmp_lg_u32 s0, 0
	s_cselect_b64 s[2:3], -1, 0
	s_cmp_eq_u32 s6, s7
	s_cselect_b64 s[12:13], -1, 0
	s_and_b64 s[10:11], s[12:13], s[10:11]
	s_or_b64 s[2:3], s[10:11], s[2:3]
	s_and_b64 vcc, exec, s[2:3]
	s_cbranch_vccnz .LBB8_7
; %bb.1:
	s_load_dword s0, s[4:5], 0x3c
	s_add_u32 s2, s4, 48
	s_addc_u32 s3, s5, 0
	v_and_b32_e32 v1, 0x3ff, v0
	v_bfe_u32 v0, v0, 10, 10
	s_waitcnt lgkmcnt(0)
	s_and_b32 s11, s0, 0xffff
	s_mul_i32 s10, s6, s11
	s_mul_i32 s7, s7, s11
	v_add_u32_e32 v4, s10, v1
	v_add_u32_e32 v0, s7, v0
	v_max_i32_e32 v2, v4, v0
	v_cmp_gt_i32_e32 vcc, s1, v2
	s_and_saveexec_b64 s[12:13], vcc
	s_cbranch_execz .LBB8_7
; %bb.2:
	s_load_dwordx8 s[12:19], s[4:5], 0x8
	s_sub_i32 s0, s1, s10
	s_min_i32 s4, s0, s11
	s_waitcnt lgkmcnt(0)
	s_mul_i32 s5, s8, s17
	s_mul_hi_u32 s7, s8, s16
	s_add_i32 s5, s7, s5
	s_mul_i32 s7, s9, s16
	s_add_i32 s17, s5, s7
	s_mul_i32 s16, s8, s16
	s_ashr_i32 s1, s14, 31
	s_lshl_b64 s[16:17], s[16:17], 2
	s_mov_b32 s0, s14
	s_add_u32 s5, s12, s16
	s_addc_u32 s7, s13, s17
	s_lshl_b64 s[0:1], s[0:1], 2
	s_add_u32 s0, s5, s0
	s_addc_u32 s1, s7, s1
	s_cmp_lt_i32 s4, 1
	v_mul_lo_u32 v5, v0, s15
	s_cbranch_scc1 .LBB8_5
; %bb.3:
	s_load_dword s2, s[2:3], 0x0
	v_lshlrev_b32_e32 v0, 2, v1
	s_mov_b32 s5, 0
	v_add_u32_e32 v2, s10, v5
	v_mov_b32_e32 v6, 0
	s_waitcnt lgkmcnt(0)
	s_mul_i32 s2, s2, s8
	s_add_i32 s2, s2, s6
	s_mul_i32 s2, s2, s11
	s_mul_i32 s2, s2, s11
	s_ashr_i32 s3, s2, 31
	s_lshl_b64 s[2:3], s[2:3], 2
	s_add_u32 s2, s18, s2
	s_addc_u32 s3, s19, s3
	v_mov_b32_e32 v1, s3
	v_add_co_u32_e32 v0, vcc, s2, v0
	v_addc_co_u32_e32 v1, vcc, 0, v1, vcc
	s_lshl_b32 s2, s11, 2
	v_mov_b32_e32 v7, s1
	v_mov_b32_e32 v8, s5
.LBB8_4:                                ; =>This Inner Loop Header: Depth=1
	v_ashrrev_i32_e32 v3, 31, v2
	v_lshlrev_b64 v[10:11], 2, v[2:3]
	v_add_co_u32_e32 v10, vcc, s0, v10
	v_addc_co_u32_e32 v11, vcc, v7, v11, vcc
	global_load_dword v9, v[0:1], off
	global_load_dword v3, v[10:11], off
	s_add_i32 s4, s4, -1
	v_add_co_u32_e32 v0, vcc, s2, v0
	v_addc_co_u32_e32 v1, vcc, v1, v8, vcc
	v_add_u32_e32 v2, 1, v2
	s_cmp_lg_u32 s4, 0
	s_waitcnt vmcnt(0)
	v_fmac_f32_e32 v6, v9, v3
	s_cbranch_scc1 .LBB8_4
	s_branch .LBB8_6
.LBB8_5:
	v_mov_b32_e32 v6, 0
.LBB8_6:
	v_add_u32_e32 v0, v5, v4
	v_ashrrev_i32_e32 v1, 31, v0
	v_lshlrev_b64 v[0:1], 2, v[0:1]
	v_mov_b32_e32 v2, s1
	v_add_co_u32_e32 v0, vcc, s0, v0
	v_addc_co_u32_e32 v1, vcc, v2, v1, vcc
	s_barrier
	global_store_dword v[0:1], v6, off
.LBB8_7:
	s_endpgm
	.section	.rodata,"a",@progbits
	.p2align	6, 0x0
	.amdhsa_kernel _ZN9rocsolver6v33100L21syevj_diag_rotate_orgILb1EffPfEEvbiT2_iilPT0_Pi
		.amdhsa_group_segment_fixed_size 0
		.amdhsa_private_segment_fixed_size 0
		.amdhsa_kernarg_size 304
		.amdhsa_user_sgpr_count 6
		.amdhsa_user_sgpr_private_segment_buffer 1
		.amdhsa_user_sgpr_dispatch_ptr 0
		.amdhsa_user_sgpr_queue_ptr 0
		.amdhsa_user_sgpr_kernarg_segment_ptr 1
		.amdhsa_user_sgpr_dispatch_id 0
		.amdhsa_user_sgpr_flat_scratch_init 0
		.amdhsa_user_sgpr_kernarg_preload_length 0
		.amdhsa_user_sgpr_kernarg_preload_offset 0
		.amdhsa_user_sgpr_private_segment_size 0
		.amdhsa_uses_dynamic_stack 0
		.amdhsa_system_sgpr_private_segment_wavefront_offset 0
		.amdhsa_system_sgpr_workgroup_id_x 1
		.amdhsa_system_sgpr_workgroup_id_y 1
		.amdhsa_system_sgpr_workgroup_id_z 1
		.amdhsa_system_sgpr_workgroup_info 0
		.amdhsa_system_vgpr_workitem_id 1
		.amdhsa_next_free_vgpr 12
		.amdhsa_next_free_sgpr 20
		.amdhsa_accum_offset 12
		.amdhsa_reserve_vcc 1
		.amdhsa_reserve_flat_scratch 0
		.amdhsa_float_round_mode_32 0
		.amdhsa_float_round_mode_16_64 0
		.amdhsa_float_denorm_mode_32 3
		.amdhsa_float_denorm_mode_16_64 3
		.amdhsa_dx10_clamp 1
		.amdhsa_ieee_mode 1
		.amdhsa_fp16_overflow 0
		.amdhsa_tg_split 0
		.amdhsa_exception_fp_ieee_invalid_op 0
		.amdhsa_exception_fp_denorm_src 0
		.amdhsa_exception_fp_ieee_div_zero 0
		.amdhsa_exception_fp_ieee_overflow 0
		.amdhsa_exception_fp_ieee_underflow 0
		.amdhsa_exception_fp_ieee_inexact 0
		.amdhsa_exception_int_div_zero 0
	.end_amdhsa_kernel
	.section	.text._ZN9rocsolver6v33100L21syevj_diag_rotate_orgILb1EffPfEEvbiT2_iilPT0_Pi,"axG",@progbits,_ZN9rocsolver6v33100L21syevj_diag_rotate_orgILb1EffPfEEvbiT2_iilPT0_Pi,comdat
.Lfunc_end8:
	.size	_ZN9rocsolver6v33100L21syevj_diag_rotate_orgILb1EffPfEEvbiT2_iilPT0_Pi, .Lfunc_end8-_ZN9rocsolver6v33100L21syevj_diag_rotate_orgILb1EffPfEEvbiT2_iilPT0_Pi
                                        ; -- End function
	.section	.AMDGPU.csdata,"",@progbits
; Kernel info:
; codeLenInByte = 460
; NumSgprs: 24
; NumVgprs: 12
; NumAgprs: 0
; TotalNumVgprs: 12
; ScratchSize: 0
; MemoryBound: 0
; FloatMode: 240
; IeeeMode: 1
; LDSByteSize: 0 bytes/workgroup (compile time only)
; SGPRBlocks: 2
; VGPRBlocks: 1
; NumSGPRsForWavesPerEU: 24
; NumVGPRsForWavesPerEU: 12
; AccumOffset: 12
; Occupancy: 8
; WaveLimiterHint : 0
; COMPUTE_PGM_RSRC2:SCRATCH_EN: 0
; COMPUTE_PGM_RSRC2:USER_SGPR: 6
; COMPUTE_PGM_RSRC2:TRAP_HANDLER: 0
; COMPUTE_PGM_RSRC2:TGID_X_EN: 1
; COMPUTE_PGM_RSRC2:TGID_Y_EN: 1
; COMPUTE_PGM_RSRC2:TGID_Z_EN: 1
; COMPUTE_PGM_RSRC2:TIDIG_COMP_CNT: 1
; COMPUTE_PGM_RSRC3_GFX90A:ACCUM_OFFSET: 2
; COMPUTE_PGM_RSRC3_GFX90A:TG_SPLIT: 0
	.text
	.p2align	2                               ; -- Begin function __ockl_fprintf_append_string_n
	.type	__ockl_fprintf_append_string_n,@function
__ockl_fprintf_append_string_n:         ; @__ockl_fprintf_append_string_n
; %bb.0:
	s_waitcnt vmcnt(0) expcnt(0) lgkmcnt(0)
	v_mov_b32_e32 v9, v3
	v_mov_b32_e32 v8, v2
	v_or_b32_e32 v2, 2, v0
	v_cmp_eq_u32_e32 vcc, 0, v6
	s_mov_b32 s22, 0
	v_cndmask_b32_e32 v0, v2, v0, vcc
	s_mov_b64 s[6:7], 0
	v_cmp_ne_u64_e32 vcc, 0, v[8:9]
	v_mbcnt_lo_u32_b32 v2, -1, 0
	s_and_saveexec_b64 s[4:5], vcc
	s_xor_b64 s[10:11], exec, s[4:5]
	s_cbranch_execz .LBB9_86
; %bb.1:
	s_load_dwordx2 s[12:13], s[8:9], 0x50
	v_and_b32_e32 v6, 2, v0
	v_mov_b32_e32 v31, 0
	v_and_b32_e32 v0, -3, v0
	v_mbcnt_hi_u32_b32 v32, -1, v2
	s_movk_i32 s23, 0xff1f
	v_mov_b32_e32 v12, 2
	v_mov_b32_e32 v13, 1
	s_branch .LBB9_3
.LBB9_2:                                ;   in Loop: Header=BB9_3 Depth=1
	s_or_b64 exec, exec, s[16:17]
	v_sub_co_u32_e32 v4, vcc, v4, v34
	v_subb_co_u32_e32 v5, vcc, v5, v35, vcc
	v_cmp_eq_u64_e32 vcc, 0, v[4:5]
	s_or_b64 s[6:7], vcc, s[6:7]
	v_add_co_u32_e32 v8, vcc, v8, v34
	v_addc_co_u32_e32 v9, vcc, v9, v35, vcc
	s_andn2_b64 exec, exec, s[6:7]
	s_cbranch_execz .LBB9_85
.LBB9_3:                                ; =>This Loop Header: Depth=1
                                        ;     Child Loop BB9_6 Depth 2
                                        ;     Child Loop BB9_14 Depth 2
	;; [unrolled: 1-line block ×11, first 2 shown]
	v_cmp_gt_u64_e32 vcc, 56, v[4:5]
	v_cndmask_b32_e32 v35, 0, v5, vcc
	v_cndmask_b32_e32 v34, 56, v4, vcc
	v_cmp_gt_u64_e32 vcc, 8, v[4:5]
                                        ; implicit-def: $vgpr2_vgpr3
                                        ; implicit-def: $sgpr14
	s_and_saveexec_b64 s[4:5], vcc
	s_xor_b64 s[4:5], exec, s[4:5]
	s_cbranch_execz .LBB9_9
; %bb.4:                                ;   in Loop: Header=BB9_3 Depth=1
	s_mov_b64 s[16:17], 0
	v_cmp_ne_u64_e32 vcc, 0, v[4:5]
	s_waitcnt vmcnt(0)
	v_pk_mov_b32 v[2:3], 0, 0
	s_and_saveexec_b64 s[14:15], vcc
	s_cbranch_execz .LBB9_8
; %bb.5:                                ;   in Loop: Header=BB9_3 Depth=1
	v_lshlrev_b64 v[10:11], 3, v[34:35]
	v_pk_mov_b32 v[2:3], 0, 0
	v_pk_mov_b32 v[14:15], v[8:9], v[8:9] op_sel:[0,1]
	s_mov_b64 s[18:19], 0
.LBB9_6:                                ;   Parent Loop BB9_3 Depth=1
                                        ; =>  This Inner Loop Header: Depth=2
	flat_load_ubyte v7, v[14:15]
	v_mov_b32_e32 v17, s22
	v_add_co_u32_e32 v14, vcc, 1, v14
	v_addc_co_u32_e32 v15, vcc, 0, v15, vcc
	s_waitcnt vmcnt(0) lgkmcnt(0)
	v_and_b32_e32 v16, 0xffff, v7
	v_lshlrev_b64 v[16:17], s18, v[16:17]
	s_add_u32 s18, s18, 8
	s_addc_u32 s19, s19, 0
	v_cmp_eq_u32_e32 vcc, s18, v10
	v_or_b32_e32 v3, v17, v3
	s_or_b64 s[16:17], vcc, s[16:17]
	v_or_b32_e32 v2, v16, v2
	s_andn2_b64 exec, exec, s[16:17]
	s_cbranch_execnz .LBB9_6
; %bb.7:                                ;   in Loop: Header=BB9_3 Depth=1
	s_or_b64 exec, exec, s[16:17]
.LBB9_8:                                ;   in Loop: Header=BB9_3 Depth=1
	s_or_b64 exec, exec, s[14:15]
	s_mov_b32 s14, 0
.LBB9_9:                                ;   in Loop: Header=BB9_3 Depth=1
	s_or_saveexec_b64 s[4:5], s[4:5]
	v_mov_b32_e32 v7, s14
	v_pk_mov_b32 v[10:11], v[8:9], v[8:9] op_sel:[0,1]
	s_xor_b64 exec, exec, s[4:5]
	s_cbranch_execz .LBB9_11
; %bb.10:                               ;   in Loop: Header=BB9_3 Depth=1
	s_waitcnt vmcnt(0)
	flat_load_dwordx2 v[2:3], v[8:9]
	v_add_u32_e32 v7, -8, v34
	s_waitcnt vmcnt(0) lgkmcnt(0)
	v_and_b32_e32 v10, 0xff, v3
	v_and_b32_e32 v11, 0xff00, v3
	;; [unrolled: 1-line block ×4, first 2 shown]
	v_or_b32_e32 v10, v10, v11
	v_or3_b32 v3, v10, v14, v3
	v_add_co_u32_e32 v10, vcc, 8, v8
	v_or3_b32 v2, v2, 0, 0
	v_addc_co_u32_e32 v11, vcc, 0, v9, vcc
.LBB9_11:                               ;   in Loop: Header=BB9_3 Depth=1
	s_or_b64 exec, exec, s[4:5]
	v_cmp_gt_u32_e32 vcc, 8, v7
                                        ; implicit-def: $vgpr14_vgpr15
                                        ; implicit-def: $sgpr14
	s_and_saveexec_b64 s[4:5], vcc
	s_xor_b64 s[4:5], exec, s[4:5]
	s_cbranch_execz .LBB9_17
; %bb.12:                               ;   in Loop: Header=BB9_3 Depth=1
	v_cmp_ne_u32_e32 vcc, 0, v7
	v_pk_mov_b32 v[14:15], 0, 0
	s_and_saveexec_b64 s[14:15], vcc
	s_cbranch_execz .LBB9_16
; %bb.13:                               ;   in Loop: Header=BB9_3 Depth=1
	s_mov_b64 s[16:17], 0
	v_pk_mov_b32 v[14:15], 0, 0
	s_mov_b64 s[18:19], 0
	s_mov_b64 s[20:21], 0
.LBB9_14:                               ;   Parent Loop BB9_3 Depth=1
                                        ; =>  This Inner Loop Header: Depth=2
	v_mov_b32_e32 v17, s21
	v_add_co_u32_e32 v16, vcc, s20, v10
	v_addc_co_u32_e32 v17, vcc, v11, v17, vcc
	flat_load_ubyte v16, v[16:17]
	s_add_u32 s20, s20, 1
	v_mov_b32_e32 v17, s22
	s_addc_u32 s21, s21, 0
	v_cmp_eq_u32_e32 vcc, s20, v7
	s_waitcnt vmcnt(0) lgkmcnt(0)
	v_and_b32_e32 v16, 0xffff, v16
	v_lshlrev_b64 v[16:17], s18, v[16:17]
	s_add_u32 s18, s18, 8
	s_addc_u32 s19, s19, 0
	v_or_b32_e32 v15, v17, v15
	s_or_b64 s[16:17], vcc, s[16:17]
	v_or_b32_e32 v14, v16, v14
	s_andn2_b64 exec, exec, s[16:17]
	s_cbranch_execnz .LBB9_14
; %bb.15:                               ;   in Loop: Header=BB9_3 Depth=1
	s_or_b64 exec, exec, s[16:17]
.LBB9_16:                               ;   in Loop: Header=BB9_3 Depth=1
	s_or_b64 exec, exec, s[14:15]
	s_mov_b32 s14, 0
                                        ; implicit-def: $vgpr7
.LBB9_17:                               ;   in Loop: Header=BB9_3 Depth=1
	s_or_saveexec_b64 s[4:5], s[4:5]
	v_mov_b32_e32 v18, s14
	s_xor_b64 exec, exec, s[4:5]
	s_cbranch_execz .LBB9_19
; %bb.18:                               ;   in Loop: Header=BB9_3 Depth=1
	flat_load_dwordx2 v[14:15], v[10:11]
	v_add_u32_e32 v18, -8, v7
	v_add_co_u32_e32 v10, vcc, 8, v10
	v_addc_co_u32_e32 v11, vcc, 0, v11, vcc
	s_waitcnt vmcnt(0) lgkmcnt(0)
	v_and_b32_e32 v7, 0xff, v15
	v_and_b32_e32 v16, 0xff00, v15
	;; [unrolled: 1-line block ×4, first 2 shown]
	v_or_b32_e32 v7, v7, v16
	v_or3_b32 v14, v14, 0, 0
	v_or3_b32 v15, v7, v17, v15
.LBB9_19:                               ;   in Loop: Header=BB9_3 Depth=1
	s_or_b64 exec, exec, s[4:5]
	v_cmp_gt_u32_e32 vcc, 8, v18
                                        ; implicit-def: $sgpr14
	s_and_saveexec_b64 s[4:5], vcc
	s_xor_b64 s[4:5], exec, s[4:5]
	s_cbranch_execz .LBB9_25
; %bb.20:                               ;   in Loop: Header=BB9_3 Depth=1
	v_cmp_ne_u32_e32 vcc, 0, v18
	v_pk_mov_b32 v[16:17], 0, 0
	s_and_saveexec_b64 s[14:15], vcc
	s_cbranch_execz .LBB9_24
; %bb.21:                               ;   in Loop: Header=BB9_3 Depth=1
	s_mov_b64 s[16:17], 0
	v_pk_mov_b32 v[16:17], 0, 0
	s_mov_b64 s[18:19], 0
	s_mov_b64 s[20:21], 0
.LBB9_22:                               ;   Parent Loop BB9_3 Depth=1
                                        ; =>  This Inner Loop Header: Depth=2
	v_mov_b32_e32 v7, s21
	v_add_co_u32_e32 v20, vcc, s20, v10
	v_addc_co_u32_e32 v21, vcc, v11, v7, vcc
	flat_load_ubyte v7, v[20:21]
	s_add_u32 s20, s20, 1
	v_mov_b32_e32 v21, s22
	s_addc_u32 s21, s21, 0
	v_cmp_eq_u32_e32 vcc, s20, v18
	s_waitcnt vmcnt(0) lgkmcnt(0)
	v_and_b32_e32 v20, 0xffff, v7
	v_lshlrev_b64 v[20:21], s18, v[20:21]
	s_add_u32 s18, s18, 8
	s_addc_u32 s19, s19, 0
	v_or_b32_e32 v17, v21, v17
	s_or_b64 s[16:17], vcc, s[16:17]
	v_or_b32_e32 v16, v20, v16
	s_andn2_b64 exec, exec, s[16:17]
	s_cbranch_execnz .LBB9_22
; %bb.23:                               ;   in Loop: Header=BB9_3 Depth=1
	s_or_b64 exec, exec, s[16:17]
.LBB9_24:                               ;   in Loop: Header=BB9_3 Depth=1
	s_or_b64 exec, exec, s[14:15]
	s_mov_b32 s14, 0
                                        ; implicit-def: $vgpr18
.LBB9_25:                               ;   in Loop: Header=BB9_3 Depth=1
	s_or_saveexec_b64 s[4:5], s[4:5]
	v_mov_b32_e32 v7, s14
	s_xor_b64 exec, exec, s[4:5]
	s_cbranch_execz .LBB9_27
; %bb.26:                               ;   in Loop: Header=BB9_3 Depth=1
	flat_load_dwordx2 v[16:17], v[10:11]
	v_add_u32_e32 v7, -8, v18
	v_add_co_u32_e32 v10, vcc, 8, v10
	v_addc_co_u32_e32 v11, vcc, 0, v11, vcc
	s_waitcnt vmcnt(0) lgkmcnt(0)
	v_and_b32_e32 v18, 0xff, v17
	v_and_b32_e32 v19, 0xff00, v17
	;; [unrolled: 1-line block ×4, first 2 shown]
	v_or_b32_e32 v18, v18, v19
	v_or3_b32 v16, v16, 0, 0
	v_or3_b32 v17, v18, v20, v17
.LBB9_27:                               ;   in Loop: Header=BB9_3 Depth=1
	s_or_b64 exec, exec, s[4:5]
	v_cmp_gt_u32_e32 vcc, 8, v7
                                        ; implicit-def: $vgpr18_vgpr19
                                        ; implicit-def: $sgpr14
	s_and_saveexec_b64 s[4:5], vcc
	s_xor_b64 s[4:5], exec, s[4:5]
	s_cbranch_execz .LBB9_33
; %bb.28:                               ;   in Loop: Header=BB9_3 Depth=1
	v_cmp_ne_u32_e32 vcc, 0, v7
	v_pk_mov_b32 v[18:19], 0, 0
	s_and_saveexec_b64 s[14:15], vcc
	s_cbranch_execz .LBB9_32
; %bb.29:                               ;   in Loop: Header=BB9_3 Depth=1
	s_mov_b64 s[16:17], 0
	v_pk_mov_b32 v[18:19], 0, 0
	s_mov_b64 s[18:19], 0
	s_mov_b64 s[20:21], 0
.LBB9_30:                               ;   Parent Loop BB9_3 Depth=1
                                        ; =>  This Inner Loop Header: Depth=2
	v_mov_b32_e32 v21, s21
	v_add_co_u32_e32 v20, vcc, s20, v10
	v_addc_co_u32_e32 v21, vcc, v11, v21, vcc
	flat_load_ubyte v20, v[20:21]
	s_add_u32 s20, s20, 1
	v_mov_b32_e32 v21, s22
	s_addc_u32 s21, s21, 0
	v_cmp_eq_u32_e32 vcc, s20, v7
	s_waitcnt vmcnt(0) lgkmcnt(0)
	v_and_b32_e32 v20, 0xffff, v20
	v_lshlrev_b64 v[20:21], s18, v[20:21]
	s_add_u32 s18, s18, 8
	s_addc_u32 s19, s19, 0
	v_or_b32_e32 v19, v21, v19
	s_or_b64 s[16:17], vcc, s[16:17]
	v_or_b32_e32 v18, v20, v18
	s_andn2_b64 exec, exec, s[16:17]
	s_cbranch_execnz .LBB9_30
; %bb.31:                               ;   in Loop: Header=BB9_3 Depth=1
	s_or_b64 exec, exec, s[16:17]
.LBB9_32:                               ;   in Loop: Header=BB9_3 Depth=1
	s_or_b64 exec, exec, s[14:15]
	s_mov_b32 s14, 0
                                        ; implicit-def: $vgpr7
.LBB9_33:                               ;   in Loop: Header=BB9_3 Depth=1
	s_or_saveexec_b64 s[4:5], s[4:5]
	v_mov_b32_e32 v22, s14
	s_xor_b64 exec, exec, s[4:5]
	s_cbranch_execz .LBB9_35
; %bb.34:                               ;   in Loop: Header=BB9_3 Depth=1
	flat_load_dwordx2 v[18:19], v[10:11]
	v_add_u32_e32 v22, -8, v7
	v_add_co_u32_e32 v10, vcc, 8, v10
	v_addc_co_u32_e32 v11, vcc, 0, v11, vcc
	s_waitcnt vmcnt(0) lgkmcnt(0)
	v_and_b32_e32 v7, 0xff, v19
	v_and_b32_e32 v20, 0xff00, v19
	;; [unrolled: 1-line block ×4, first 2 shown]
	v_or_b32_e32 v7, v7, v20
	v_or3_b32 v18, v18, 0, 0
	v_or3_b32 v19, v7, v21, v19
.LBB9_35:                               ;   in Loop: Header=BB9_3 Depth=1
	s_or_b64 exec, exec, s[4:5]
	v_cmp_gt_u32_e32 vcc, 8, v22
                                        ; implicit-def: $sgpr14
	s_and_saveexec_b64 s[4:5], vcc
	s_xor_b64 s[4:5], exec, s[4:5]
	s_cbranch_execz .LBB9_41
; %bb.36:                               ;   in Loop: Header=BB9_3 Depth=1
	v_cmp_ne_u32_e32 vcc, 0, v22
	v_pk_mov_b32 v[20:21], 0, 0
	s_and_saveexec_b64 s[14:15], vcc
	s_cbranch_execz .LBB9_40
; %bb.37:                               ;   in Loop: Header=BB9_3 Depth=1
	s_mov_b64 s[16:17], 0
	v_pk_mov_b32 v[20:21], 0, 0
	s_mov_b64 s[18:19], 0
	s_mov_b64 s[20:21], 0
.LBB9_38:                               ;   Parent Loop BB9_3 Depth=1
                                        ; =>  This Inner Loop Header: Depth=2
	v_mov_b32_e32 v7, s21
	v_add_co_u32_e32 v24, vcc, s20, v10
	v_addc_co_u32_e32 v25, vcc, v11, v7, vcc
	flat_load_ubyte v7, v[24:25]
	s_add_u32 s20, s20, 1
	v_mov_b32_e32 v25, s22
	s_addc_u32 s21, s21, 0
	v_cmp_eq_u32_e32 vcc, s20, v22
	s_waitcnt vmcnt(0) lgkmcnt(0)
	v_and_b32_e32 v24, 0xffff, v7
	v_lshlrev_b64 v[24:25], s18, v[24:25]
	s_add_u32 s18, s18, 8
	s_addc_u32 s19, s19, 0
	v_or_b32_e32 v21, v25, v21
	s_or_b64 s[16:17], vcc, s[16:17]
	v_or_b32_e32 v20, v24, v20
	s_andn2_b64 exec, exec, s[16:17]
	s_cbranch_execnz .LBB9_38
; %bb.39:                               ;   in Loop: Header=BB9_3 Depth=1
	s_or_b64 exec, exec, s[16:17]
.LBB9_40:                               ;   in Loop: Header=BB9_3 Depth=1
	s_or_b64 exec, exec, s[14:15]
	s_mov_b32 s14, 0
                                        ; implicit-def: $vgpr22
.LBB9_41:                               ;   in Loop: Header=BB9_3 Depth=1
	s_or_saveexec_b64 s[4:5], s[4:5]
	v_mov_b32_e32 v7, s14
	s_xor_b64 exec, exec, s[4:5]
	s_cbranch_execz .LBB9_43
; %bb.42:                               ;   in Loop: Header=BB9_3 Depth=1
	flat_load_dwordx2 v[20:21], v[10:11]
	v_add_u32_e32 v7, -8, v22
	v_add_co_u32_e32 v10, vcc, 8, v10
	v_addc_co_u32_e32 v11, vcc, 0, v11, vcc
	s_waitcnt vmcnt(0) lgkmcnt(0)
	v_and_b32_e32 v22, 0xff, v21
	v_and_b32_e32 v23, 0xff00, v21
	;; [unrolled: 1-line block ×4, first 2 shown]
	v_or_b32_e32 v22, v22, v23
	v_or3_b32 v20, v20, 0, 0
	v_or3_b32 v21, v22, v24, v21
.LBB9_43:                               ;   in Loop: Header=BB9_3 Depth=1
	s_or_b64 exec, exec, s[4:5]
	v_cmp_gt_u32_e32 vcc, 8, v7
                                        ; implicit-def: $vgpr22_vgpr23
                                        ; implicit-def: $sgpr14
	s_and_saveexec_b64 s[4:5], vcc
	s_xor_b64 s[4:5], exec, s[4:5]
	s_cbranch_execz .LBB9_49
; %bb.44:                               ;   in Loop: Header=BB9_3 Depth=1
	v_cmp_ne_u32_e32 vcc, 0, v7
	v_pk_mov_b32 v[22:23], 0, 0
	s_and_saveexec_b64 s[14:15], vcc
	s_cbranch_execz .LBB9_48
; %bb.45:                               ;   in Loop: Header=BB9_3 Depth=1
	s_mov_b64 s[16:17], 0
	v_pk_mov_b32 v[22:23], 0, 0
	s_mov_b64 s[18:19], 0
	s_mov_b64 s[20:21], 0
.LBB9_46:                               ;   Parent Loop BB9_3 Depth=1
                                        ; =>  This Inner Loop Header: Depth=2
	v_mov_b32_e32 v25, s21
	v_add_co_u32_e32 v24, vcc, s20, v10
	v_addc_co_u32_e32 v25, vcc, v11, v25, vcc
	flat_load_ubyte v24, v[24:25]
	s_add_u32 s20, s20, 1
	v_mov_b32_e32 v25, s22
	s_addc_u32 s21, s21, 0
	v_cmp_eq_u32_e32 vcc, s20, v7
	s_waitcnt vmcnt(0) lgkmcnt(0)
	v_and_b32_e32 v24, 0xffff, v24
	v_lshlrev_b64 v[24:25], s18, v[24:25]
	s_add_u32 s18, s18, 8
	s_addc_u32 s19, s19, 0
	v_or_b32_e32 v23, v25, v23
	s_or_b64 s[16:17], vcc, s[16:17]
	v_or_b32_e32 v22, v24, v22
	s_andn2_b64 exec, exec, s[16:17]
	s_cbranch_execnz .LBB9_46
; %bb.47:                               ;   in Loop: Header=BB9_3 Depth=1
	s_or_b64 exec, exec, s[16:17]
.LBB9_48:                               ;   in Loop: Header=BB9_3 Depth=1
	s_or_b64 exec, exec, s[14:15]
	s_mov_b32 s14, 0
                                        ; implicit-def: $vgpr7
.LBB9_49:                               ;   in Loop: Header=BB9_3 Depth=1
	s_or_saveexec_b64 s[4:5], s[4:5]
	v_mov_b32_e32 v26, s14
	s_xor_b64 exec, exec, s[4:5]
	s_cbranch_execz .LBB9_51
; %bb.50:                               ;   in Loop: Header=BB9_3 Depth=1
	flat_load_dwordx2 v[22:23], v[10:11]
	v_add_u32_e32 v26, -8, v7
	v_add_co_u32_e32 v10, vcc, 8, v10
	v_addc_co_u32_e32 v11, vcc, 0, v11, vcc
	s_waitcnt vmcnt(0) lgkmcnt(0)
	v_and_b32_e32 v7, 0xff, v23
	v_and_b32_e32 v24, 0xff00, v23
	;; [unrolled: 1-line block ×4, first 2 shown]
	v_or_b32_e32 v7, v7, v24
	v_or3_b32 v22, v22, 0, 0
	v_or3_b32 v23, v7, v25, v23
.LBB9_51:                               ;   in Loop: Header=BB9_3 Depth=1
	s_or_b64 exec, exec, s[4:5]
	v_cmp_gt_u32_e32 vcc, 8, v26
	s_and_saveexec_b64 s[4:5], vcc
	s_xor_b64 s[4:5], exec, s[4:5]
	s_cbranch_execz .LBB9_57
; %bb.52:                               ;   in Loop: Header=BB9_3 Depth=1
	v_cmp_ne_u32_e32 vcc, 0, v26
	v_pk_mov_b32 v[24:25], 0, 0
	s_and_saveexec_b64 s[14:15], vcc
	s_cbranch_execz .LBB9_56
; %bb.53:                               ;   in Loop: Header=BB9_3 Depth=1
	s_mov_b64 s[16:17], 0
	v_pk_mov_b32 v[24:25], 0, 0
	s_mov_b64 s[18:19], 0
.LBB9_54:                               ;   Parent Loop BB9_3 Depth=1
                                        ; =>  This Inner Loop Header: Depth=2
	flat_load_ubyte v7, v[10:11]
	v_mov_b32_e32 v29, s22
	v_add_co_u32_e32 v10, vcc, 1, v10
	v_add_u32_e32 v26, -1, v26
	v_addc_co_u32_e32 v11, vcc, 0, v11, vcc
	v_cmp_eq_u32_e32 vcc, 0, v26
	s_waitcnt vmcnt(0) lgkmcnt(0)
	v_and_b32_e32 v28, 0xffff, v7
	v_lshlrev_b64 v[28:29], s18, v[28:29]
	s_add_u32 s18, s18, 8
	s_addc_u32 s19, s19, 0
	v_or_b32_e32 v25, v29, v25
	s_or_b64 s[16:17], vcc, s[16:17]
	v_or_b32_e32 v24, v28, v24
	s_andn2_b64 exec, exec, s[16:17]
	s_cbranch_execnz .LBB9_54
; %bb.55:                               ;   in Loop: Header=BB9_3 Depth=1
	s_or_b64 exec, exec, s[16:17]
.LBB9_56:                               ;   in Loop: Header=BB9_3 Depth=1
	s_or_b64 exec, exec, s[14:15]
                                        ; implicit-def: $vgpr10_vgpr11
.LBB9_57:                               ;   in Loop: Header=BB9_3 Depth=1
	s_andn2_saveexec_b64 s[4:5], s[4:5]
	s_cbranch_execz .LBB9_59
; %bb.58:                               ;   in Loop: Header=BB9_3 Depth=1
	flat_load_dwordx2 v[10:11], v[10:11]
	s_waitcnt vmcnt(0) lgkmcnt(0)
	v_and_b32_e32 v7, 0xff, v11
	v_and_b32_e32 v24, 0xff00, v11
	;; [unrolled: 1-line block ×4, first 2 shown]
	v_or_b32_e32 v7, v7, v24
	v_or3_b32 v25, v7, v25, v11
	v_or3_b32 v24, v10, 0, 0
.LBB9_59:                               ;   in Loop: Header=BB9_3 Depth=1
	s_or_b64 exec, exec, s[4:5]
	v_readfirstlane_b32 s4, v32
	v_cmp_eq_u32_e64 s[4:5], s4, v32
	v_pk_mov_b32 v[10:11], 0, 0
	s_and_saveexec_b64 s[14:15], s[4:5]
	s_cbranch_execz .LBB9_65
; %bb.60:                               ;   in Loop: Header=BB9_3 Depth=1
	s_waitcnt lgkmcnt(0)
	global_load_dwordx2 v[28:29], v31, s[12:13] offset:24 glc
	s_waitcnt vmcnt(0)
	buffer_invl2
	buffer_wbinvl1_vol
	global_load_dwordx2 v[10:11], v31, s[12:13] offset:40
	global_load_dwordx2 v[26:27], v31, s[12:13]
	s_waitcnt vmcnt(1)
	v_and_b32_e32 v7, v10, v28
	v_and_b32_e32 v10, v11, v29
	v_mul_lo_u32 v10, v10, 24
	v_mul_hi_u32 v11, v7, 24
	v_mul_lo_u32 v7, v7, 24
	v_add_u32_e32 v11, v11, v10
	s_waitcnt vmcnt(0)
	v_add_co_u32_e32 v10, vcc, v26, v7
	v_addc_co_u32_e32 v11, vcc, v27, v11, vcc
	global_load_dwordx2 v[26:27], v[10:11], off glc
	s_waitcnt vmcnt(0)
	global_atomic_cmpswap_x2 v[10:11], v31, v[26:29], s[12:13] offset:24 glc
	s_waitcnt vmcnt(0)
	buffer_invl2
	buffer_wbinvl1_vol
	v_cmp_ne_u64_e32 vcc, v[10:11], v[28:29]
	s_and_saveexec_b64 s[16:17], vcc
	s_cbranch_execz .LBB9_64
; %bb.61:                               ;   in Loop: Header=BB9_3 Depth=1
	s_mov_b64 s[18:19], 0
.LBB9_62:                               ;   Parent Loop BB9_3 Depth=1
                                        ; =>  This Inner Loop Header: Depth=2
	s_sleep 1
	global_load_dwordx2 v[26:27], v31, s[12:13] offset:40
	global_load_dwordx2 v[36:37], v31, s[12:13]
	v_pk_mov_b32 v[28:29], v[10:11], v[10:11] op_sel:[0,1]
	s_waitcnt vmcnt(1)
	v_and_b32_e32 v10, v26, v28
	s_waitcnt vmcnt(0)
	v_mad_u64_u32 v[10:11], s[20:21], v10, 24, v[36:37]
	v_and_b32_e32 v7, v27, v29
	v_mov_b32_e32 v26, v11
	v_mad_u64_u32 v[26:27], s[20:21], v7, 24, v[26:27]
	v_mov_b32_e32 v11, v26
	global_load_dwordx2 v[26:27], v[10:11], off glc
	s_waitcnt vmcnt(0)
	global_atomic_cmpswap_x2 v[10:11], v31, v[26:29], s[12:13] offset:24 glc
	s_waitcnt vmcnt(0)
	buffer_invl2
	buffer_wbinvl1_vol
	v_cmp_eq_u64_e32 vcc, v[10:11], v[28:29]
	s_or_b64 s[18:19], vcc, s[18:19]
	s_andn2_b64 exec, exec, s[18:19]
	s_cbranch_execnz .LBB9_62
; %bb.63:                               ;   in Loop: Header=BB9_3 Depth=1
	s_or_b64 exec, exec, s[18:19]
.LBB9_64:                               ;   in Loop: Header=BB9_3 Depth=1
	s_or_b64 exec, exec, s[16:17]
.LBB9_65:                               ;   in Loop: Header=BB9_3 Depth=1
	s_or_b64 exec, exec, s[14:15]
	s_waitcnt lgkmcnt(0)
	global_load_dwordx2 v[36:37], v31, s[12:13] offset:40
	global_load_dwordx4 v[26:29], v31, s[12:13]
	v_readfirstlane_b32 s14, v10
	v_readfirstlane_b32 s15, v11
	s_mov_b64 s[16:17], exec
	s_waitcnt vmcnt(1)
	v_readfirstlane_b32 s18, v36
	v_readfirstlane_b32 s19, v37
	s_and_b64 s[18:19], s[14:15], s[18:19]
	s_mul_i32 s20, s19, 24
	s_mul_hi_u32 s21, s18, 24
	s_mul_i32 s24, s18, 24
	s_add_i32 s20, s21, s20
	v_mov_b32_e32 v7, s20
	s_waitcnt vmcnt(0)
	v_add_co_u32_e32 v36, vcc, s24, v26
	v_addc_co_u32_e32 v37, vcc, v27, v7, vcc
	s_and_saveexec_b64 s[20:21], s[4:5]
	s_cbranch_execz .LBB9_67
; %bb.66:                               ;   in Loop: Header=BB9_3 Depth=1
	v_pk_mov_b32 v[10:11], s[16:17], s[16:17] op_sel:[0,1]
	global_store_dwordx4 v[36:37], v[10:13], off offset:8
.LBB9_67:                               ;   in Loop: Header=BB9_3 Depth=1
	s_or_b64 exec, exec, s[20:21]
	s_lshl_b64 s[16:17], s[18:19], 12
	v_mov_b32_e32 v7, s17
	v_add_co_u32_e32 v10, vcc, s16, v28
	v_addc_co_u32_e32 v7, vcc, v29, v7, vcc
	v_or_b32_e32 v11, 0, v1
	v_cmp_lt_u64_e32 vcc, 56, v[4:5]
	v_or_b32_e32 v28, v0, v6
	v_cndmask_b32_e32 v1, v11, v1, vcc
	v_lshl_add_u32 v11, v34, 2, 28
	v_cndmask_b32_e32 v0, v28, v0, vcc
	v_and_b32_e32 v11, 0x1e0, v11
	v_and_or_b32 v0, v0, s23, v11
	v_lshlrev_b32_e32 v11, 6, v32
	v_readfirstlane_b32 s16, v10
	v_readfirstlane_b32 s17, v7
	s_nop 4
	global_store_dwordx4 v11, v[0:3], s[16:17]
	global_store_dwordx4 v11, v[14:17], s[16:17] offset:16
	global_store_dwordx4 v11, v[18:21], s[16:17] offset:32
	;; [unrolled: 1-line block ×3, first 2 shown]
	s_and_saveexec_b64 s[16:17], s[4:5]
	s_cbranch_execz .LBB9_75
; %bb.68:                               ;   in Loop: Header=BB9_3 Depth=1
	global_load_dwordx2 v[18:19], v31, s[12:13] offset:32 glc
	global_load_dwordx2 v[0:1], v31, s[12:13] offset:40
	v_mov_b32_e32 v16, s14
	v_mov_b32_e32 v17, s15
	s_waitcnt vmcnt(0)
	v_readfirstlane_b32 s18, v0
	v_readfirstlane_b32 s19, v1
	s_and_b64 s[18:19], s[18:19], s[14:15]
	s_mul_i32 s19, s19, 24
	s_mul_hi_u32 s20, s18, 24
	s_mul_i32 s18, s18, 24
	s_add_i32 s19, s20, s19
	v_mov_b32_e32 v0, s19
	v_add_co_u32_e32 v14, vcc, s18, v26
	v_addc_co_u32_e32 v15, vcc, v27, v0, vcc
	global_store_dwordx2 v[14:15], v[18:19], off
	buffer_wbl2
	s_waitcnt vmcnt(0)
	global_atomic_cmpswap_x2 v[2:3], v31, v[16:19], s[12:13] offset:32 glc
	s_waitcnt vmcnt(0)
	v_cmp_ne_u64_e32 vcc, v[2:3], v[18:19]
	s_and_saveexec_b64 s[18:19], vcc
	s_cbranch_execz .LBB9_71
; %bb.69:                               ;   in Loop: Header=BB9_3 Depth=1
	s_mov_b64 s[20:21], 0
.LBB9_70:                               ;   Parent Loop BB9_3 Depth=1
                                        ; =>  This Inner Loop Header: Depth=2
	s_sleep 1
	global_store_dwordx2 v[14:15], v[2:3], off
	v_mov_b32_e32 v0, s14
	v_mov_b32_e32 v1, s15
	buffer_wbl2
	s_waitcnt vmcnt(0)
	global_atomic_cmpswap_x2 v[0:1], v31, v[0:3], s[12:13] offset:32 glc
	s_waitcnt vmcnt(0)
	v_cmp_eq_u64_e32 vcc, v[0:1], v[2:3]
	s_or_b64 s[20:21], vcc, s[20:21]
	v_pk_mov_b32 v[2:3], v[0:1], v[0:1] op_sel:[0,1]
	s_andn2_b64 exec, exec, s[20:21]
	s_cbranch_execnz .LBB9_70
.LBB9_71:                               ;   in Loop: Header=BB9_3 Depth=1
	s_or_b64 exec, exec, s[18:19]
	global_load_dwordx2 v[0:1], v31, s[12:13] offset:16
	s_mov_b64 s[20:21], exec
	v_mbcnt_lo_u32_b32 v2, s20, 0
	v_mbcnt_hi_u32_b32 v2, s21, v2
	v_cmp_eq_u32_e32 vcc, 0, v2
	s_and_saveexec_b64 s[18:19], vcc
	s_cbranch_execz .LBB9_73
; %bb.72:                               ;   in Loop: Header=BB9_3 Depth=1
	s_bcnt1_i32_b64 s20, s[20:21]
	v_mov_b32_e32 v30, s20
	buffer_wbl2
	s_waitcnt vmcnt(0)
	global_atomic_add_x2 v[0:1], v[30:31], off offset:8
.LBB9_73:                               ;   in Loop: Header=BB9_3 Depth=1
	s_or_b64 exec, exec, s[18:19]
	s_waitcnt vmcnt(0)
	global_load_dwordx2 v[2:3], v[0:1], off offset:16
	s_waitcnt vmcnt(0)
	v_cmp_eq_u64_e32 vcc, 0, v[2:3]
	s_cbranch_vccnz .LBB9_75
; %bb.74:                               ;   in Loop: Header=BB9_3 Depth=1
	global_load_dword v30, v[0:1], off offset:24
	s_waitcnt vmcnt(0)
	v_and_b32_e32 v0, 0xffffff, v30
	v_readfirstlane_b32 m0, v0
	buffer_wbl2
	global_store_dwordx2 v[2:3], v[30:31], off
	s_sendmsg sendmsg(MSG_INTERRUPT)
.LBB9_75:                               ;   in Loop: Header=BB9_3 Depth=1
	s_or_b64 exec, exec, s[16:17]
	v_add_co_u32_e32 v0, vcc, v10, v11
	v_addc_co_u32_e32 v1, vcc, 0, v7, vcc
	s_branch .LBB9_79
.LBB9_76:                               ;   in Loop: Header=BB9_79 Depth=2
	s_or_b64 exec, exec, s[16:17]
	v_readfirstlane_b32 s16, v2
	s_cmp_eq_u32 s16, 0
	s_cbranch_scc1 .LBB9_78
; %bb.77:                               ;   in Loop: Header=BB9_79 Depth=2
	s_sleep 1
	s_cbranch_execnz .LBB9_79
	s_branch .LBB9_81
.LBB9_78:                               ;   in Loop: Header=BB9_3 Depth=1
	s_branch .LBB9_81
.LBB9_79:                               ;   Parent Loop BB9_3 Depth=1
                                        ; =>  This Inner Loop Header: Depth=2
	v_mov_b32_e32 v2, 1
	s_and_saveexec_b64 s[16:17], s[4:5]
	s_cbranch_execz .LBB9_76
; %bb.80:                               ;   in Loop: Header=BB9_79 Depth=2
	global_load_dword v2, v[36:37], off offset:20 glc
	s_waitcnt vmcnt(0)
	buffer_invl2
	buffer_wbinvl1_vol
	v_and_b32_e32 v2, 1, v2
	s_branch .LBB9_76
.LBB9_81:                               ;   in Loop: Header=BB9_3 Depth=1
	global_load_dwordx4 v[0:3], v[0:1], off
	s_and_saveexec_b64 s[16:17], s[4:5]
	s_cbranch_execz .LBB9_2
; %bb.82:                               ;   in Loop: Header=BB9_3 Depth=1
	global_load_dwordx2 v[2:3], v31, s[12:13] offset:40
	global_load_dwordx2 v[10:11], v31, s[12:13] offset:24 glc
	global_load_dwordx2 v[18:19], v31, s[12:13]
	v_mov_b32_e32 v7, s15
	s_waitcnt vmcnt(2)
	v_add_co_u32_e32 v17, vcc, 1, v2
	v_addc_co_u32_e32 v20, vcc, 0, v3, vcc
	v_add_co_u32_e32 v14, vcc, s14, v17
	v_addc_co_u32_e32 v15, vcc, v20, v7, vcc
	v_cmp_eq_u64_e32 vcc, 0, v[14:15]
	v_cndmask_b32_e32 v15, v15, v20, vcc
	v_cndmask_b32_e32 v14, v14, v17, vcc
	v_and_b32_e32 v3, v15, v3
	v_and_b32_e32 v2, v14, v2
	v_mul_lo_u32 v3, v3, 24
	v_mul_hi_u32 v7, v2, 24
	v_mul_lo_u32 v2, v2, 24
	v_add_u32_e32 v3, v7, v3
	s_waitcnt vmcnt(0)
	v_add_co_u32_e32 v2, vcc, v18, v2
	v_addc_co_u32_e32 v3, vcc, v19, v3, vcc
	v_mov_b32_e32 v16, v10
	global_store_dwordx2 v[2:3], v[10:11], off
	v_mov_b32_e32 v17, v11
	buffer_wbl2
	s_waitcnt vmcnt(0)
	global_atomic_cmpswap_x2 v[16:17], v31, v[14:17], s[12:13] offset:24 glc
	s_waitcnt vmcnt(0)
	v_cmp_ne_u64_e32 vcc, v[16:17], v[10:11]
	s_and_b64 exec, exec, vcc
	s_cbranch_execz .LBB9_2
; %bb.83:                               ;   in Loop: Header=BB9_3 Depth=1
	s_mov_b64 s[4:5], 0
.LBB9_84:                               ;   Parent Loop BB9_3 Depth=1
                                        ; =>  This Inner Loop Header: Depth=2
	s_sleep 1
	global_store_dwordx2 v[2:3], v[16:17], off
	buffer_wbl2
	s_waitcnt vmcnt(0)
	global_atomic_cmpswap_x2 v[10:11], v31, v[14:17], s[12:13] offset:24 glc
	s_waitcnt vmcnt(0)
	v_cmp_eq_u64_e32 vcc, v[10:11], v[16:17]
	s_or_b64 s[4:5], vcc, s[4:5]
	v_pk_mov_b32 v[16:17], v[10:11], v[10:11] op_sel:[0,1]
	s_andn2_b64 exec, exec, s[4:5]
	s_cbranch_execnz .LBB9_84
	s_branch .LBB9_2
.LBB9_85:
	s_or_b64 exec, exec, s[6:7]
                                        ; implicit-def: $vgpr0
                                        ; implicit-def: $vgpr1
                                        ; implicit-def: $vgpr2
.LBB9_86:
	s_andn2_saveexec_b64 s[6:7], s[10:11]
	s_cbranch_execz .LBB9_109
; %bb.87:
	s_load_dwordx2 s[8:9], s[8:9], 0x50
	s_waitcnt vmcnt(0)
	v_mbcnt_hi_u32_b32 v3, -1, v2
	v_readfirstlane_b32 s4, v3
	v_cmp_eq_u32_e64 s[4:5], s4, v3
	v_pk_mov_b32 v[8:9], 0, 0
	s_and_saveexec_b64 s[10:11], s[4:5]
	s_cbranch_execz .LBB9_93
; %bb.88:
	v_mov_b32_e32 v2, 0
	s_waitcnt lgkmcnt(0)
	global_load_dwordx2 v[6:7], v2, s[8:9] offset:24 glc
	s_waitcnt vmcnt(0)
	buffer_invl2
	buffer_wbinvl1_vol
	global_load_dwordx2 v[4:5], v2, s[8:9] offset:40
	global_load_dwordx2 v[8:9], v2, s[8:9]
	s_waitcnt vmcnt(1)
	v_and_b32_e32 v4, v4, v6
	v_and_b32_e32 v5, v5, v7
	v_mul_lo_u32 v5, v5, 24
	v_mul_hi_u32 v10, v4, 24
	v_mul_lo_u32 v4, v4, 24
	v_add_u32_e32 v5, v10, v5
	s_waitcnt vmcnt(0)
	v_add_co_u32_e32 v4, vcc, v8, v4
	v_addc_co_u32_e32 v5, vcc, v9, v5, vcc
	global_load_dwordx2 v[4:5], v[4:5], off glc
	s_waitcnt vmcnt(0)
	global_atomic_cmpswap_x2 v[8:9], v2, v[4:7], s[8:9] offset:24 glc
	s_waitcnt vmcnt(0)
	buffer_invl2
	buffer_wbinvl1_vol
	v_cmp_ne_u64_e32 vcc, v[8:9], v[6:7]
	s_and_saveexec_b64 s[12:13], vcc
	s_cbranch_execz .LBB9_92
; %bb.89:
	s_mov_b64 s[14:15], 0
.LBB9_90:                               ; =>This Inner Loop Header: Depth=1
	s_sleep 1
	global_load_dwordx2 v[4:5], v2, s[8:9] offset:40
	global_load_dwordx2 v[10:11], v2, s[8:9]
	v_pk_mov_b32 v[6:7], v[8:9], v[8:9] op_sel:[0,1]
	s_waitcnt vmcnt(1)
	v_and_b32_e32 v4, v4, v6
	v_and_b32_e32 v9, v5, v7
	s_waitcnt vmcnt(0)
	v_mad_u64_u32 v[4:5], s[16:17], v4, 24, v[10:11]
	v_mov_b32_e32 v8, v5
	v_mad_u64_u32 v[8:9], s[16:17], v9, 24, v[8:9]
	v_mov_b32_e32 v5, v8
	global_load_dwordx2 v[4:5], v[4:5], off glc
	s_waitcnt vmcnt(0)
	global_atomic_cmpswap_x2 v[8:9], v2, v[4:7], s[8:9] offset:24 glc
	s_waitcnt vmcnt(0)
	buffer_invl2
	buffer_wbinvl1_vol
	v_cmp_eq_u64_e32 vcc, v[8:9], v[6:7]
	s_or_b64 s[14:15], vcc, s[14:15]
	s_andn2_b64 exec, exec, s[14:15]
	s_cbranch_execnz .LBB9_90
; %bb.91:
	s_or_b64 exec, exec, s[14:15]
.LBB9_92:
	s_or_b64 exec, exec, s[12:13]
.LBB9_93:
	s_or_b64 exec, exec, s[10:11]
	v_mov_b32_e32 v2, 0
	s_waitcnt lgkmcnt(0)
	global_load_dwordx2 v[10:11], v2, s[8:9] offset:40
	global_load_dwordx4 v[4:7], v2, s[8:9]
	v_readfirstlane_b32 s10, v8
	v_readfirstlane_b32 s11, v9
	s_mov_b64 s[12:13], exec
	s_waitcnt vmcnt(1)
	v_readfirstlane_b32 s14, v10
	v_readfirstlane_b32 s15, v11
	s_and_b64 s[14:15], s[10:11], s[14:15]
	s_mul_i32 s16, s15, 24
	s_mul_hi_u32 s17, s14, 24
	s_mul_i32 s18, s14, 24
	s_add_i32 s16, s17, s16
	v_mov_b32_e32 v9, s16
	s_waitcnt vmcnt(0)
	v_add_co_u32_e32 v8, vcc, s18, v4
	v_addc_co_u32_e32 v9, vcc, v5, v9, vcc
	s_and_saveexec_b64 s[16:17], s[4:5]
	s_cbranch_execz .LBB9_95
; %bb.94:
	v_pk_mov_b32 v[10:11], s[12:13], s[12:13] op_sel:[0,1]
	v_mov_b32_e32 v12, 2
	v_mov_b32_e32 v13, 1
	global_store_dwordx4 v[8:9], v[10:13], off offset:8
.LBB9_95:
	s_or_b64 exec, exec, s[16:17]
	s_lshl_b64 s[12:13], s[14:15], 12
	v_mov_b32_e32 v10, s13
	v_add_co_u32_e32 v6, vcc, s12, v6
	s_movk_i32 s12, 0xff1f
	v_addc_co_u32_e32 v7, vcc, v7, v10, vcc
	v_and_or_b32 v0, v0, s12, 32
	s_mov_b32 s12, 0
	v_lshlrev_b32_e32 v10, 6, v3
	v_mov_b32_e32 v3, v2
	v_readfirstlane_b32 s16, v6
	v_readfirstlane_b32 s17, v7
	s_mov_b32 s13, s12
	s_mov_b32 s14, s12
	;; [unrolled: 1-line block ×3, first 2 shown]
	s_nop 1
	global_store_dwordx4 v10, v[0:3], s[16:17]
	s_nop 0
	v_pk_mov_b32 v[0:1], s[12:13], s[12:13] op_sel:[0,1]
	v_pk_mov_b32 v[2:3], s[14:15], s[14:15] op_sel:[0,1]
	global_store_dwordx4 v10, v[0:3], s[16:17] offset:16
	global_store_dwordx4 v10, v[0:3], s[16:17] offset:32
	;; [unrolled: 1-line block ×3, first 2 shown]
	s_and_saveexec_b64 s[12:13], s[4:5]
	s_cbranch_execz .LBB9_103
; %bb.96:
	v_mov_b32_e32 v6, 0
	global_load_dwordx2 v[12:13], v6, s[8:9] offset:32 glc
	global_load_dwordx2 v[0:1], v6, s[8:9] offset:40
	v_mov_b32_e32 v10, s10
	v_mov_b32_e32 v11, s11
	s_waitcnt vmcnt(0)
	v_and_b32_e32 v0, s10, v0
	v_and_b32_e32 v1, s11, v1
	v_mul_lo_u32 v1, v1, 24
	v_mul_hi_u32 v2, v0, 24
	v_mul_lo_u32 v0, v0, 24
	v_add_u32_e32 v1, v2, v1
	v_add_co_u32_e32 v4, vcc, v4, v0
	v_addc_co_u32_e32 v5, vcc, v5, v1, vcc
	global_store_dwordx2 v[4:5], v[12:13], off
	buffer_wbl2
	s_waitcnt vmcnt(0)
	global_atomic_cmpswap_x2 v[2:3], v6, v[10:13], s[8:9] offset:32 glc
	s_waitcnt vmcnt(0)
	v_cmp_ne_u64_e32 vcc, v[2:3], v[12:13]
	s_and_saveexec_b64 s[14:15], vcc
	s_cbranch_execz .LBB9_99
; %bb.97:
	s_mov_b64 s[16:17], 0
.LBB9_98:                               ; =>This Inner Loop Header: Depth=1
	s_sleep 1
	global_store_dwordx2 v[4:5], v[2:3], off
	v_mov_b32_e32 v0, s10
	v_mov_b32_e32 v1, s11
	buffer_wbl2
	s_waitcnt vmcnt(0)
	global_atomic_cmpswap_x2 v[0:1], v6, v[0:3], s[8:9] offset:32 glc
	s_waitcnt vmcnt(0)
	v_cmp_eq_u64_e32 vcc, v[0:1], v[2:3]
	s_or_b64 s[16:17], vcc, s[16:17]
	v_pk_mov_b32 v[2:3], v[0:1], v[0:1] op_sel:[0,1]
	s_andn2_b64 exec, exec, s[16:17]
	s_cbranch_execnz .LBB9_98
.LBB9_99:
	s_or_b64 exec, exec, s[14:15]
	v_mov_b32_e32 v3, 0
	global_load_dwordx2 v[0:1], v3, s[8:9] offset:16
	s_mov_b64 s[14:15], exec
	v_mbcnt_lo_u32_b32 v2, s14, 0
	v_mbcnt_hi_u32_b32 v2, s15, v2
	v_cmp_eq_u32_e32 vcc, 0, v2
	s_and_saveexec_b64 s[16:17], vcc
	s_cbranch_execz .LBB9_101
; %bb.100:
	s_bcnt1_i32_b64 s14, s[14:15]
	v_mov_b32_e32 v2, s14
	buffer_wbl2
	s_waitcnt vmcnt(0)
	global_atomic_add_x2 v[0:1], v[2:3], off offset:8
.LBB9_101:
	s_or_b64 exec, exec, s[16:17]
	s_waitcnt vmcnt(0)
	global_load_dwordx2 v[2:3], v[0:1], off offset:16
	s_waitcnt vmcnt(0)
	v_cmp_eq_u64_e32 vcc, 0, v[2:3]
	s_cbranch_vccnz .LBB9_103
; %bb.102:
	global_load_dword v0, v[0:1], off offset:24
	v_mov_b32_e32 v1, 0
	buffer_wbl2
	s_waitcnt vmcnt(0)
	global_store_dwordx2 v[2:3], v[0:1], off
	v_and_b32_e32 v0, 0xffffff, v0
	v_readfirstlane_b32 m0, v0
	s_sendmsg sendmsg(MSG_INTERRUPT)
.LBB9_103:
	s_or_b64 exec, exec, s[12:13]
	s_branch .LBB9_107
.LBB9_104:                              ;   in Loop: Header=BB9_107 Depth=1
	s_or_b64 exec, exec, s[12:13]
	v_readfirstlane_b32 s12, v0
	s_cmp_eq_u32 s12, 0
	s_cbranch_scc1 .LBB9_106
; %bb.105:                              ;   in Loop: Header=BB9_107 Depth=1
	s_sleep 1
	s_cbranch_execnz .LBB9_107
	s_branch .LBB9_110
.LBB9_106:
	s_branch .LBB9_110
.LBB9_107:                              ; =>This Inner Loop Header: Depth=1
	v_mov_b32_e32 v0, 1
	s_and_saveexec_b64 s[12:13], s[4:5]
	s_cbranch_execz .LBB9_104
; %bb.108:                              ;   in Loop: Header=BB9_107 Depth=1
	global_load_dword v0, v[8:9], off offset:20 glc
	s_waitcnt vmcnt(0)
	buffer_invl2
	buffer_wbinvl1_vol
	v_and_b32_e32 v0, 1, v0
	s_branch .LBB9_104
.LBB9_109:
	s_or_b64 exec, exec, s[6:7]
	s_waitcnt vmcnt(0) lgkmcnt(0)
	s_setpc_b64 s[30:31]
.LBB9_110:
	s_and_saveexec_b64 s[12:13], s[4:5]
	s_cbranch_execz .LBB9_113
; %bb.111:
	v_mov_b32_e32 v6, 0
	global_load_dwordx2 v[4:5], v6, s[8:9] offset:40
	global_load_dwordx2 v[8:9], v6, s[8:9] offset:24 glc
	global_load_dwordx2 v[10:11], v6, s[8:9]
	v_mov_b32_e32 v1, s11
	s_mov_b64 s[4:5], 0
	s_waitcnt vmcnt(2)
	v_add_co_u32_e32 v3, vcc, 1, v4
	v_addc_co_u32_e32 v7, vcc, 0, v5, vcc
	v_add_co_u32_e32 v0, vcc, s10, v3
	v_addc_co_u32_e32 v1, vcc, v7, v1, vcc
	v_cmp_eq_u64_e32 vcc, 0, v[0:1]
	v_cndmask_b32_e32 v1, v1, v7, vcc
	v_cndmask_b32_e32 v0, v0, v3, vcc
	v_and_b32_e32 v3, v1, v5
	v_and_b32_e32 v4, v0, v4
	v_mul_lo_u32 v3, v3, 24
	v_mul_hi_u32 v5, v4, 24
	v_mul_lo_u32 v4, v4, 24
	v_add_u32_e32 v3, v5, v3
	s_waitcnt vmcnt(0)
	v_add_co_u32_e32 v4, vcc, v10, v4
	v_addc_co_u32_e32 v5, vcc, v11, v3, vcc
	v_mov_b32_e32 v2, v8
	global_store_dwordx2 v[4:5], v[8:9], off
	v_mov_b32_e32 v3, v9
	buffer_wbl2
	s_waitcnt vmcnt(0)
	global_atomic_cmpswap_x2 v[2:3], v6, v[0:3], s[8:9] offset:24 glc
	s_waitcnt vmcnt(0)
	v_cmp_ne_u64_e32 vcc, v[2:3], v[8:9]
	s_and_b64 exec, exec, vcc
	s_cbranch_execz .LBB9_113
.LBB9_112:                              ; =>This Inner Loop Header: Depth=1
	s_sleep 1
	global_store_dwordx2 v[4:5], v[2:3], off
	buffer_wbl2
	s_waitcnt vmcnt(0)
	global_atomic_cmpswap_x2 v[8:9], v6, v[0:3], s[8:9] offset:24 glc
	s_waitcnt vmcnt(0)
	v_cmp_eq_u64_e32 vcc, v[8:9], v[2:3]
	s_or_b64 s[4:5], vcc, s[4:5]
	v_pk_mov_b32 v[2:3], v[8:9], v[8:9] op_sel:[0,1]
	s_andn2_b64 exec, exec, s[4:5]
	s_cbranch_execnz .LBB9_112
.LBB9_113:
	s_or_b64 exec, exec, s[12:13]
	s_or_b64 exec, exec, s[6:7]
	s_waitcnt vmcnt(0) lgkmcnt(0)
	s_setpc_b64 s[30:31]
.Lfunc_end9:
	.size	__ockl_fprintf_append_string_n, .Lfunc_end9-__ockl_fprintf_append_string_n
                                        ; -- End function
	.section	.AMDGPU.csdata,"",@progbits
; Function info:
; codeLenInByte = 4372
; NumSgprs: 36
; NumVgprs: 38
; NumAgprs: 0
; TotalNumVgprs: 38
; ScratchSize: 0
; MemoryBound: 0
	.text
	.p2align	2                               ; -- Begin function __assert_fail
	.type	__assert_fail,@function
__assert_fail:                          ; @__assert_fail
; %bb.0:
	s_waitcnt vmcnt(0) expcnt(0) lgkmcnt(0)
	s_mov_b32 s25, s33
	s_mov_b32 s33, s32
	s_or_saveexec_b64 s[4:5], -1
	buffer_store_dword v40, off, s[0:3], s33 offset:48 ; 4-byte Folded Spill
	s_mov_b64 exec, s[4:5]
	v_writelane_b32 v40, s30, 0
	s_addk_i32 s32, 0x1000
	v_writelane_b32 v40, s31, 1
	s_getpc_b64 s[4:5]
	s_add_u32 s4, s4, __const.__assert_fail.fmt@rel32@lo+4
	s_addc_u32 s5, s5, __const.__assert_fail.fmt@rel32@hi+12
	s_load_dwordx4 s[4:7], s[4:5], 0x0
	v_mov_b32_e32 v4, v0
	v_mov_b32_e32 v0, 0xa2e
	buffer_store_short v0, off, s[0:3], s33 offset:44
	v_mov_b32_e32 v0, 0x64656c69
	buffer_store_dword v0, off, s[0:3], s33 offset:40
	v_mov_b32_e32 v0, 0x61662027
	s_getpc_b64 s[10:11]
	s_add_u32 s10, s10, __const.__assert_fail.fmt@rel32@lo+20
	s_addc_u32 s11, s11, __const.__assert_fail.fmt@rel32@hi+28
	buffer_store_dword v0, off, s[0:3], s33 offset:36
	v_mov_b32_e32 v0, 0x73256020
	s_load_dwordx4 s[12:15], s[10:11], 0x0
	buffer_store_dword v0, off, s[0:3], s33 offset:32
	s_waitcnt lgkmcnt(0)
	v_mov_b32_e32 v0, s7
	buffer_store_dword v0, off, s[0:3], s33 offset:12
	v_mov_b32_e32 v0, s6
	buffer_store_dword v0, off, s[0:3], s33 offset:8
	;; [unrolled: 2-line block ×3, first 2 shown]
	v_mov_b32_e32 v0, s4
	buffer_store_dword v0, off, s[0:3], s33
	v_mov_b32_e32 v0, s15
	buffer_store_dword v0, off, s[0:3], s33 offset:28
	v_mov_b32_e32 v0, s14
	buffer_store_dword v0, off, s[0:3], s33 offset:24
	;; [unrolled: 2-line block ×3, first 2 shown]
	v_mov_b32_e32 v0, s12
	s_load_dwordx2 s[10:11], s[8:9], 0x50
	buffer_store_dword v0, off, s[0:3], s33 offset:16
	v_mbcnt_lo_u32_b32 v0, -1, 0
	v_mbcnt_hi_u32_b32 v37, -1, v0
	v_readfirstlane_b32 s4, v37
	v_mov_b32_e32 v5, v1
	v_mov_b32_e32 v8, 0
	v_cmp_eq_u32_e64 s[4:5], s4, v37
	v_pk_mov_b32 v[6:7], 0, 0
	buffer_store_byte v8, off, s[0:3], s33 offset:46
	s_and_saveexec_b64 s[6:7], s[4:5]
	s_cbranch_execz .LBB10_6
; %bb.1:
	s_waitcnt lgkmcnt(0)
	global_load_dwordx2 v[2:3], v8, s[10:11] offset:24 glc
	s_waitcnt vmcnt(0)
	buffer_invl2
	buffer_wbinvl1_vol
	global_load_dwordx2 v[0:1], v8, s[10:11] offset:40
	global_load_dwordx2 v[6:7], v8, s[10:11]
	s_waitcnt vmcnt(1)
	v_and_b32_e32 v0, v0, v2
	v_and_b32_e32 v1, v1, v3
	v_mul_lo_u32 v1, v1, 24
	v_mul_hi_u32 v9, v0, 24
	v_mul_lo_u32 v0, v0, 24
	v_add_u32_e32 v1, v9, v1
	s_waitcnt vmcnt(0)
	v_add_co_u32_e32 v0, vcc, v6, v0
	v_addc_co_u32_e32 v1, vcc, v7, v1, vcc
	global_load_dwordx2 v[0:1], v[0:1], off glc
	s_waitcnt vmcnt(0)
	global_atomic_cmpswap_x2 v[6:7], v8, v[0:3], s[10:11] offset:24 glc
	s_waitcnt vmcnt(0)
	buffer_invl2
	buffer_wbinvl1_vol
	v_cmp_ne_u64_e32 vcc, v[6:7], v[2:3]
	s_and_saveexec_b64 s[12:13], vcc
	s_cbranch_execz .LBB10_5
; %bb.2:
	s_mov_b64 s[14:15], 0
.LBB10_3:                               ; =>This Inner Loop Header: Depth=1
	s_sleep 1
	global_load_dwordx2 v[0:1], v8, s[10:11] offset:40
	global_load_dwordx2 v[10:11], v8, s[10:11]
	v_pk_mov_b32 v[2:3], v[6:7], v[6:7] op_sel:[0,1]
	s_waitcnt vmcnt(1)
	v_and_b32_e32 v0, v0, v2
	v_and_b32_e32 v7, v1, v3
	s_waitcnt vmcnt(0)
	v_mad_u64_u32 v[0:1], s[16:17], v0, 24, v[10:11]
	v_mov_b32_e32 v6, v1
	v_mad_u64_u32 v[6:7], s[16:17], v7, 24, v[6:7]
	v_mov_b32_e32 v1, v6
	global_load_dwordx2 v[0:1], v[0:1], off glc
	s_waitcnt vmcnt(0)
	global_atomic_cmpswap_x2 v[6:7], v8, v[0:3], s[10:11] offset:24 glc
	s_waitcnt vmcnt(0)
	buffer_invl2
	buffer_wbinvl1_vol
	v_cmp_eq_u64_e32 vcc, v[6:7], v[2:3]
	s_or_b64 s[14:15], vcc, s[14:15]
	s_andn2_b64 exec, exec, s[14:15]
	s_cbranch_execnz .LBB10_3
; %bb.4:
	s_or_b64 exec, exec, s[14:15]
.LBB10_5:
	s_or_b64 exec, exec, s[12:13]
.LBB10_6:
	s_or_b64 exec, exec, s[6:7]
	s_waitcnt lgkmcnt(0)
	global_load_dwordx2 v[10:11], v8, s[10:11] offset:40
	global_load_dwordx4 v[0:3], v8, s[10:11]
	v_readfirstlane_b32 s6, v6
	v_readfirstlane_b32 s7, v7
	s_mov_b64 s[12:13], exec
	s_waitcnt vmcnt(1)
	v_readfirstlane_b32 s14, v10
	v_readfirstlane_b32 s15, v11
	s_and_b64 s[14:15], s[6:7], s[14:15]
	s_mul_i32 s16, s15, 24
	s_mul_hi_u32 s17, s14, 24
	s_mul_i32 s18, s14, 24
	s_add_i32 s16, s17, s16
	v_mov_b32_e32 v6, s16
	s_waitcnt vmcnt(0)
	v_add_co_u32_e32 v10, vcc, s18, v0
	v_addc_co_u32_e32 v11, vcc, v1, v6, vcc
	s_and_saveexec_b64 s[16:17], s[4:5]
	s_cbranch_execz .LBB10_8
; %bb.7:
	v_pk_mov_b32 v[6:7], s[12:13], s[12:13] op_sel:[0,1]
	v_mov_b32_e32 v8, 2
	v_mov_b32_e32 v9, 1
	global_store_dwordx4 v[10:11], v[6:9], off offset:8
.LBB10_8:
	s_or_b64 exec, exec, s[16:17]
	s_lshl_b64 s[12:13], s[14:15], 12
	v_mov_b32_e32 v6, s13
	v_add_co_u32_e32 v2, vcc, s12, v2
	s_mov_b32 s12, 0
	v_addc_co_u32_e32 v3, vcc, v3, v6, vcc
	v_lshlrev_b32_e32 v36, 6, v37
	s_mov_b32 s14, s12
	s_mov_b32 s15, s12
	v_mov_b32_e32 v7, 0
	v_add_co_u32_e32 v12, vcc, v2, v36
	s_mov_b32 s13, s12
	v_pk_mov_b32 v[16:17], s[14:15], s[14:15] op_sel:[0,1]
	v_addc_co_u32_e32 v13, vcc, 0, v3, vcc
	v_mov_b32_e32 v6, 33
	v_mov_b32_e32 v8, 1
	;; [unrolled: 1-line block ×3, first 2 shown]
	v_readfirstlane_b32 s16, v2
	v_readfirstlane_b32 s17, v3
	v_pk_mov_b32 v[14:15], s[12:13], s[12:13] op_sel:[0,1]
	s_nop 3
	global_store_dwordx4 v36, v[6:9], s[16:17]
	global_store_dwordx4 v36, v[14:17], s[16:17] offset:16
	global_store_dwordx4 v36, v[14:17], s[16:17] offset:32
	;; [unrolled: 1-line block ×3, first 2 shown]
	s_and_saveexec_b64 s[12:13], s[4:5]
	s_cbranch_execz .LBB10_16
; %bb.9:
	global_load_dwordx2 v[16:17], v7, s[10:11] offset:32 glc
	global_load_dwordx2 v[2:3], v7, s[10:11] offset:40
	v_mov_b32_e32 v14, s6
	v_mov_b32_e32 v15, s7
	s_waitcnt vmcnt(0)
	v_and_b32_e32 v2, s6, v2
	v_and_b32_e32 v3, s7, v3
	v_mul_lo_u32 v3, v3, 24
	v_mul_hi_u32 v6, v2, 24
	v_mul_lo_u32 v2, v2, 24
	v_add_u32_e32 v3, v6, v3
	v_add_co_u32_e32 v8, vcc, v0, v2
	v_addc_co_u32_e32 v9, vcc, v1, v3, vcc
	global_store_dwordx2 v[8:9], v[16:17], off
	buffer_wbl2
	s_waitcnt vmcnt(0)
	global_atomic_cmpswap_x2 v[2:3], v7, v[14:17], s[10:11] offset:32 glc
	s_waitcnt vmcnt(0)
	v_cmp_ne_u64_e32 vcc, v[2:3], v[16:17]
	s_and_saveexec_b64 s[14:15], vcc
	s_cbranch_execz .LBB10_12
; %bb.10:
	s_mov_b64 s[16:17], 0
.LBB10_11:                              ; =>This Inner Loop Header: Depth=1
	s_sleep 1
	global_store_dwordx2 v[8:9], v[2:3], off
	v_mov_b32_e32 v0, s6
	v_mov_b32_e32 v1, s7
	buffer_wbl2
	s_waitcnt vmcnt(0)
	global_atomic_cmpswap_x2 v[0:1], v7, v[0:3], s[10:11] offset:32 glc
	s_waitcnt vmcnt(0)
	v_cmp_eq_u64_e32 vcc, v[0:1], v[2:3]
	s_or_b64 s[16:17], vcc, s[16:17]
	v_pk_mov_b32 v[2:3], v[0:1], v[0:1] op_sel:[0,1]
	s_andn2_b64 exec, exec, s[16:17]
	s_cbranch_execnz .LBB10_11
.LBB10_12:
	s_or_b64 exec, exec, s[14:15]
	v_mov_b32_e32 v3, 0
	global_load_dwordx2 v[0:1], v3, s[10:11] offset:16
	s_mov_b64 s[14:15], exec
	v_mbcnt_lo_u32_b32 v2, s14, 0
	v_mbcnt_hi_u32_b32 v2, s15, v2
	v_cmp_eq_u32_e32 vcc, 0, v2
	s_and_saveexec_b64 s[16:17], vcc
	s_cbranch_execz .LBB10_14
; %bb.13:
	s_bcnt1_i32_b64 s14, s[14:15]
	v_mov_b32_e32 v2, s14
	buffer_wbl2
	s_waitcnt vmcnt(0)
	global_atomic_add_x2 v[0:1], v[2:3], off offset:8
.LBB10_14:
	s_or_b64 exec, exec, s[16:17]
	s_waitcnt vmcnt(0)
	global_load_dwordx2 v[2:3], v[0:1], off offset:16
	s_waitcnt vmcnt(0)
	v_cmp_eq_u64_e32 vcc, 0, v[2:3]
	s_cbranch_vccnz .LBB10_16
; %bb.15:
	global_load_dword v0, v[0:1], off offset:24
	v_mov_b32_e32 v1, 0
	buffer_wbl2
	s_waitcnt vmcnt(0)
	global_store_dwordx2 v[2:3], v[0:1], off
	v_and_b32_e32 v0, 0xffffff, v0
	v_readfirstlane_b32 m0, v0
	s_sendmsg sendmsg(MSG_INTERRUPT)
.LBB10_16:
	s_or_b64 exec, exec, s[12:13]
	s_branch .LBB10_20
.LBB10_17:                              ;   in Loop: Header=BB10_20 Depth=1
	s_or_b64 exec, exec, s[12:13]
	v_readfirstlane_b32 s12, v0
	s_cmp_eq_u32 s12, 0
	s_cbranch_scc1 .LBB10_19
; %bb.18:                               ;   in Loop: Header=BB10_20 Depth=1
	s_sleep 1
	s_cbranch_execnz .LBB10_20
	s_branch .LBB10_22
.LBB10_19:
	s_branch .LBB10_22
.LBB10_20:                              ; =>This Inner Loop Header: Depth=1
	v_mov_b32_e32 v0, 1
	s_and_saveexec_b64 s[12:13], s[4:5]
	s_cbranch_execz .LBB10_17
; %bb.21:                               ;   in Loop: Header=BB10_20 Depth=1
	global_load_dword v0, v[10:11], off offset:20 glc
	s_waitcnt vmcnt(0)
	buffer_invl2
	buffer_wbinvl1_vol
	v_and_b32_e32 v0, 1, v0
	s_branch .LBB10_17
.LBB10_22:
	global_load_dwordx2 v[6:7], v[12:13], off
	s_and_saveexec_b64 s[12:13], s[4:5]
	s_cbranch_execz .LBB10_25
; %bb.23:
	v_mov_b32_e32 v10, 0
	global_load_dwordx2 v[8:9], v10, s[10:11] offset:40
	global_load_dwordx2 v[12:13], v10, s[10:11] offset:24 glc
	global_load_dwordx2 v[14:15], v10, s[10:11]
	v_mov_b32_e32 v1, s7
	s_mov_b64 s[4:5], 0
	s_waitcnt vmcnt(2)
	v_add_co_u32_e32 v3, vcc, 1, v8
	v_addc_co_u32_e32 v11, vcc, 0, v9, vcc
	v_add_co_u32_e32 v0, vcc, s6, v3
	v_addc_co_u32_e32 v1, vcc, v11, v1, vcc
	v_cmp_eq_u64_e32 vcc, 0, v[0:1]
	v_cndmask_b32_e32 v1, v1, v11, vcc
	v_cndmask_b32_e32 v0, v0, v3, vcc
	v_and_b32_e32 v3, v1, v9
	v_and_b32_e32 v8, v0, v8
	v_mul_lo_u32 v3, v3, 24
	v_mul_hi_u32 v9, v8, 24
	v_mul_lo_u32 v8, v8, 24
	v_add_u32_e32 v3, v9, v3
	s_waitcnt vmcnt(0)
	v_add_co_u32_e32 v8, vcc, v14, v8
	v_addc_co_u32_e32 v9, vcc, v15, v3, vcc
	v_mov_b32_e32 v2, v12
	global_store_dwordx2 v[8:9], v[12:13], off
	v_mov_b32_e32 v3, v13
	buffer_wbl2
	s_waitcnt vmcnt(0)
	global_atomic_cmpswap_x2 v[2:3], v10, v[0:3], s[10:11] offset:24 glc
	s_waitcnt vmcnt(0)
	v_cmp_ne_u64_e32 vcc, v[2:3], v[12:13]
	s_and_b64 exec, exec, vcc
	s_cbranch_execz .LBB10_25
.LBB10_24:                              ; =>This Inner Loop Header: Depth=1
	s_sleep 1
	global_store_dwordx2 v[8:9], v[2:3], off
	buffer_wbl2
	s_waitcnt vmcnt(0)
	global_atomic_cmpswap_x2 v[12:13], v10, v[0:3], s[10:11] offset:24 glc
	s_waitcnt vmcnt(0)
	v_cmp_eq_u64_e32 vcc, v[12:13], v[2:3]
	s_or_b64 s[4:5], vcc, s[4:5]
	v_pk_mov_b32 v[2:3], v[12:13], v[12:13] op_sel:[0,1]
	s_andn2_b64 exec, exec, s[4:5]
	s_cbranch_execnz .LBB10_24
.LBB10_25:
	s_or_b64 exec, exec, s[12:13]
	v_lshrrev_b32_e64 v1, 6, s33
	s_mov_b64 s[4:5], 0
.LBB10_26:                              ; =>This Inner Loop Header: Depth=1
	buffer_load_ubyte v2, v1, s[0:3], 0 offen
	v_add_u32_e32 v0, 1, v1
	v_mov_b32_e32 v1, v0
	s_waitcnt vmcnt(0)
	v_cmp_eq_u16_e32 vcc, 0, v2
	s_or_b64 s[4:5], vcc, s[4:5]
	s_andn2_b64 exec, exec, s[4:5]
	s_cbranch_execnz .LBB10_26
; %bb.27:
	s_or_b64 exec, exec, s[4:5]
	v_lshrrev_b32_e64 v31, 6, s33
	v_cmp_ne_u32_e32 vcc, -1, v31
	s_cbranch_vccz .LBB10_112
; %bb.28:
	v_lshrrev_b32_e64 v1, 6, s33
	v_subrev_u32_e32 v28, v1, v0
	v_ashrrev_i32_e32 v29, 31, v28
	v_and_b32_e32 v30, 2, v6
	v_mov_b32_e32 v33, 0
	v_and_b32_e32 v0, -3, v6
	v_mov_b32_e32 v1, v7
	s_mov_b64 s[12:13], 0
	s_mov_b32 s20, 0
	s_movk_i32 s21, 0xff1f
	v_mov_b32_e32 v10, 2
	v_mov_b32_e32 v11, 1
	s_branch .LBB10_30
.LBB10_29:                              ;   in Loop: Header=BB10_30 Depth=1
	s_or_b64 exec, exec, s[6:7]
	v_sub_co_u32_e32 v28, vcc, v28, v38
	v_subb_co_u32_e32 v29, vcc, v29, v39, vcc
	v_cmp_eq_u64_e32 vcc, 0, v[28:29]
	s_or_b64 s[12:13], vcc, s[12:13]
	v_add_u32_e32 v31, v31, v38
	s_andn2_b64 exec, exec, s[12:13]
	s_cbranch_execz .LBB10_113
.LBB10_30:                              ; =>This Loop Header: Depth=1
                                        ;     Child Loop BB10_33 Depth 2
                                        ;     Child Loop BB10_41 Depth 2
	;; [unrolled: 1-line block ×11, first 2 shown]
	v_cmp_gt_u64_e32 vcc, 56, v[28:29]
	v_cndmask_b32_e32 v38, 56, v28, vcc
	v_cmp_gt_u64_e64 s[4:5], 8, v[28:29]
                                        ; implicit-def: $vgpr2_vgpr3
                                        ; implicit-def: $sgpr14
	s_and_saveexec_b64 s[6:7], s[4:5]
	s_xor_b64 s[6:7], exec, s[6:7]
	s_cbranch_execz .LBB10_36
; %bb.31:                               ;   in Loop: Header=BB10_30 Depth=1
	s_mov_b64 s[16:17], 0
	v_cmp_ne_u64_e64 s[4:5], 0, v[28:29]
	s_waitcnt vmcnt(0)
	v_pk_mov_b32 v[2:3], 0, 0
	s_and_saveexec_b64 s[14:15], s[4:5]
	s_cbranch_execz .LBB10_35
; %bb.32:                               ;   in Loop: Header=BB10_30 Depth=1
	s_mov_b32 s22, 0
	v_pk_mov_b32 v[2:3], 0, 0
	s_mov_b64 s[18:19], 0
.LBB10_33:                              ;   Parent Loop BB10_30 Depth=1
                                        ; =>  This Inner Loop Header: Depth=2
	v_add_u32_e32 v8, s22, v31
	buffer_load_ubyte v8, v8, s[0:3], 0 offen
	v_mov_b32_e32 v9, s20
	s_add_i32 s22, s22, 1
	v_cmp_eq_u32_e64 s[4:5], s22, v38
	s_waitcnt vmcnt(0)
	v_and_b32_e32 v8, 0xffff, v8
	v_lshlrev_b64 v[8:9], s18, v[8:9]
	s_add_u32 s18, s18, 8
	s_addc_u32 s19, s19, 0
	v_or_b32_e32 v3, v9, v3
	s_or_b64 s[16:17], s[4:5], s[16:17]
	v_or_b32_e32 v2, v8, v2
	s_andn2_b64 exec, exec, s[16:17]
	s_cbranch_execnz .LBB10_33
; %bb.34:                               ;   in Loop: Header=BB10_30 Depth=1
	s_or_b64 exec, exec, s[16:17]
.LBB10_35:                              ;   in Loop: Header=BB10_30 Depth=1
	s_or_b64 exec, exec, s[14:15]
	s_mov_b32 s14, 0
.LBB10_36:                              ;   in Loop: Header=BB10_30 Depth=1
	s_or_saveexec_b64 s[4:5], s[6:7]
	v_mov_b32_e32 v9, s14
	v_mov_b32_e32 v8, v31
	s_xor_b64 exec, exec, s[4:5]
	s_cbranch_execz .LBB10_38
; %bb.37:                               ;   in Loop: Header=BB10_30 Depth=1
	buffer_load_dword v2, v31, s[0:3], 0 offen offset:4
	buffer_load_dword v3, v31, s[0:3], 0 offen
	v_add_u32_e32 v9, -8, v38
	s_waitcnt vmcnt(1)
	v_and_b32_e32 v8, 0xff, v2
	v_and_b32_e32 v12, 0xff00, v2
	s_waitcnt vmcnt(0)
	v_or3_b32 v3, v3, 0, 0
	v_and_b32_e32 v13, 0xff0000, v2
	v_and_b32_e32 v14, 0xff000000, v2
	v_or3_b32 v8, 0, v8, v12
	v_or3_b32 v2, v3, 0, 0
	;; [unrolled: 1-line block ×3, first 2 shown]
	v_add_u32_e32 v8, 8, v31
.LBB10_38:                              ;   in Loop: Header=BB10_30 Depth=1
	s_or_b64 exec, exec, s[4:5]
	v_cmp_gt_u32_e64 s[4:5], 8, v9
                                        ; implicit-def: $vgpr12_vgpr13
                                        ; implicit-def: $sgpr14
	s_and_saveexec_b64 s[6:7], s[4:5]
	s_xor_b64 s[6:7], exec, s[6:7]
	s_cbranch_execz .LBB10_44
; %bb.39:                               ;   in Loop: Header=BB10_30 Depth=1
	v_cmp_ne_u32_e64 s[4:5], 0, v9
	v_pk_mov_b32 v[12:13], 0, 0
	s_and_saveexec_b64 s[14:15], s[4:5]
	s_cbranch_execz .LBB10_43
; %bb.40:                               ;   in Loop: Header=BB10_30 Depth=1
	s_mov_b32 s22, 0
	s_mov_b64 s[16:17], 0
	v_pk_mov_b32 v[12:13], 0, 0
	s_mov_b64 s[18:19], 0
.LBB10_41:                              ;   Parent Loop BB10_30 Depth=1
                                        ; =>  This Inner Loop Header: Depth=2
	v_add_u32_e32 v14, s22, v8
	buffer_load_ubyte v14, v14, s[0:3], 0 offen
	v_mov_b32_e32 v15, s20
	s_add_i32 s22, s22, 1
	v_cmp_eq_u32_e64 s[4:5], s22, v9
	s_waitcnt vmcnt(0)
	v_and_b32_e32 v14, 0xffff, v14
	v_lshlrev_b64 v[14:15], s18, v[14:15]
	s_add_u32 s18, s18, 8
	s_addc_u32 s19, s19, 0
	v_or_b32_e32 v13, v15, v13
	s_or_b64 s[16:17], s[4:5], s[16:17]
	v_or_b32_e32 v12, v14, v12
	s_andn2_b64 exec, exec, s[16:17]
	s_cbranch_execnz .LBB10_41
; %bb.42:                               ;   in Loop: Header=BB10_30 Depth=1
	s_or_b64 exec, exec, s[16:17]
.LBB10_43:                              ;   in Loop: Header=BB10_30 Depth=1
	s_or_b64 exec, exec, s[14:15]
	s_mov_b32 s14, 0
                                        ; implicit-def: $vgpr9
.LBB10_44:                              ;   in Loop: Header=BB10_30 Depth=1
	s_or_saveexec_b64 s[4:5], s[6:7]
	v_mov_b32_e32 v16, s14
	s_xor_b64 exec, exec, s[4:5]
	s_cbranch_execz .LBB10_46
; %bb.45:                               ;   in Loop: Header=BB10_30 Depth=1
	buffer_load_dword v12, v8, s[0:3], 0 offen offset:4
	buffer_load_dword v13, v8, s[0:3], 0 offen
	v_add_u32_e32 v16, -8, v9
	v_add_u32_e32 v8, 8, v8
	s_waitcnt vmcnt(1)
	v_and_b32_e32 v9, 0xff, v12
	v_and_b32_e32 v14, 0xff00, v12
	s_waitcnt vmcnt(0)
	v_or3_b32 v13, v13, 0, 0
	v_and_b32_e32 v15, 0xff0000, v12
	v_and_b32_e32 v17, 0xff000000, v12
	v_or3_b32 v9, 0, v9, v14
	v_or3_b32 v12, v13, 0, 0
	;; [unrolled: 1-line block ×3, first 2 shown]
.LBB10_46:                              ;   in Loop: Header=BB10_30 Depth=1
	s_or_b64 exec, exec, s[4:5]
	v_cmp_gt_u32_e64 s[4:5], 8, v16
                                        ; implicit-def: $sgpr14
	s_and_saveexec_b64 s[6:7], s[4:5]
	s_xor_b64 s[6:7], exec, s[6:7]
	s_cbranch_execz .LBB10_52
; %bb.47:                               ;   in Loop: Header=BB10_30 Depth=1
	v_cmp_ne_u32_e64 s[4:5], 0, v16
	v_pk_mov_b32 v[14:15], 0, 0
	s_and_saveexec_b64 s[14:15], s[4:5]
	s_cbranch_execz .LBB10_51
; %bb.48:                               ;   in Loop: Header=BB10_30 Depth=1
	s_mov_b32 s22, 0
	s_mov_b64 s[16:17], 0
	v_pk_mov_b32 v[14:15], 0, 0
	s_mov_b64 s[18:19], 0
.LBB10_49:                              ;   Parent Loop BB10_30 Depth=1
                                        ; =>  This Inner Loop Header: Depth=2
	v_add_u32_e32 v9, s22, v8
	buffer_load_ubyte v9, v9, s[0:3], 0 offen
	v_mov_b32_e32 v19, s20
	s_add_i32 s22, s22, 1
	v_cmp_eq_u32_e64 s[4:5], s22, v16
	s_waitcnt vmcnt(0)
	v_and_b32_e32 v18, 0xffff, v9
	v_lshlrev_b64 v[18:19], s18, v[18:19]
	s_add_u32 s18, s18, 8
	s_addc_u32 s19, s19, 0
	v_or_b32_e32 v15, v19, v15
	s_or_b64 s[16:17], s[4:5], s[16:17]
	v_or_b32_e32 v14, v18, v14
	s_andn2_b64 exec, exec, s[16:17]
	s_cbranch_execnz .LBB10_49
; %bb.50:                               ;   in Loop: Header=BB10_30 Depth=1
	s_or_b64 exec, exec, s[16:17]
.LBB10_51:                              ;   in Loop: Header=BB10_30 Depth=1
	s_or_b64 exec, exec, s[14:15]
	s_mov_b32 s14, 0
                                        ; implicit-def: $vgpr16
.LBB10_52:                              ;   in Loop: Header=BB10_30 Depth=1
	s_or_saveexec_b64 s[4:5], s[6:7]
	v_mov_b32_e32 v9, s14
	s_xor_b64 exec, exec, s[4:5]
	s_cbranch_execz .LBB10_54
; %bb.53:                               ;   in Loop: Header=BB10_30 Depth=1
	buffer_load_dword v14, v8, s[0:3], 0 offen offset:4
	buffer_load_dword v15, v8, s[0:3], 0 offen
	v_add_u32_e32 v9, -8, v16
	v_add_u32_e32 v8, 8, v8
	s_waitcnt vmcnt(1)
	v_and_b32_e32 v16, 0xff, v14
	v_and_b32_e32 v17, 0xff00, v14
	s_waitcnt vmcnt(0)
	v_or3_b32 v15, v15, 0, 0
	v_and_b32_e32 v18, 0xff0000, v14
	v_and_b32_e32 v19, 0xff000000, v14
	v_or3_b32 v16, 0, v16, v17
	v_or3_b32 v14, v15, 0, 0
	;; [unrolled: 1-line block ×3, first 2 shown]
.LBB10_54:                              ;   in Loop: Header=BB10_30 Depth=1
	s_or_b64 exec, exec, s[4:5]
	v_cmp_gt_u32_e64 s[4:5], 8, v9
                                        ; implicit-def: $vgpr16_vgpr17
                                        ; implicit-def: $sgpr14
	s_and_saveexec_b64 s[6:7], s[4:5]
	s_xor_b64 s[6:7], exec, s[6:7]
	s_cbranch_execz .LBB10_60
; %bb.55:                               ;   in Loop: Header=BB10_30 Depth=1
	v_cmp_ne_u32_e64 s[4:5], 0, v9
	v_pk_mov_b32 v[16:17], 0, 0
	s_and_saveexec_b64 s[14:15], s[4:5]
	s_cbranch_execz .LBB10_59
; %bb.56:                               ;   in Loop: Header=BB10_30 Depth=1
	s_mov_b32 s22, 0
	s_mov_b64 s[16:17], 0
	v_pk_mov_b32 v[16:17], 0, 0
	s_mov_b64 s[18:19], 0
.LBB10_57:                              ;   Parent Loop BB10_30 Depth=1
                                        ; =>  This Inner Loop Header: Depth=2
	v_add_u32_e32 v18, s22, v8
	buffer_load_ubyte v18, v18, s[0:3], 0 offen
	v_mov_b32_e32 v19, s20
	s_add_i32 s22, s22, 1
	v_cmp_eq_u32_e64 s[4:5], s22, v9
	s_waitcnt vmcnt(0)
	v_and_b32_e32 v18, 0xffff, v18
	v_lshlrev_b64 v[18:19], s18, v[18:19]
	s_add_u32 s18, s18, 8
	s_addc_u32 s19, s19, 0
	v_or_b32_e32 v17, v19, v17
	s_or_b64 s[16:17], s[4:5], s[16:17]
	v_or_b32_e32 v16, v18, v16
	s_andn2_b64 exec, exec, s[16:17]
	s_cbranch_execnz .LBB10_57
; %bb.58:                               ;   in Loop: Header=BB10_30 Depth=1
	s_or_b64 exec, exec, s[16:17]
.LBB10_59:                              ;   in Loop: Header=BB10_30 Depth=1
	s_or_b64 exec, exec, s[14:15]
	s_mov_b32 s14, 0
                                        ; implicit-def: $vgpr9
.LBB10_60:                              ;   in Loop: Header=BB10_30 Depth=1
	s_or_saveexec_b64 s[4:5], s[6:7]
	v_mov_b32_e32 v20, s14
	s_xor_b64 exec, exec, s[4:5]
	s_cbranch_execz .LBB10_62
; %bb.61:                               ;   in Loop: Header=BB10_30 Depth=1
	buffer_load_dword v16, v8, s[0:3], 0 offen offset:4
	buffer_load_dword v17, v8, s[0:3], 0 offen
	v_add_u32_e32 v20, -8, v9
	v_add_u32_e32 v8, 8, v8
	s_waitcnt vmcnt(1)
	v_and_b32_e32 v9, 0xff, v16
	v_and_b32_e32 v18, 0xff00, v16
	s_waitcnt vmcnt(0)
	v_or3_b32 v17, v17, 0, 0
	v_and_b32_e32 v19, 0xff0000, v16
	v_and_b32_e32 v21, 0xff000000, v16
	v_or3_b32 v9, 0, v9, v18
	v_or3_b32 v16, v17, 0, 0
	;; [unrolled: 1-line block ×3, first 2 shown]
.LBB10_62:                              ;   in Loop: Header=BB10_30 Depth=1
	s_or_b64 exec, exec, s[4:5]
	v_cmp_gt_u32_e64 s[4:5], 8, v20
                                        ; implicit-def: $sgpr14
	s_and_saveexec_b64 s[6:7], s[4:5]
	s_xor_b64 s[6:7], exec, s[6:7]
	s_cbranch_execz .LBB10_68
; %bb.63:                               ;   in Loop: Header=BB10_30 Depth=1
	v_cmp_ne_u32_e64 s[4:5], 0, v20
	v_pk_mov_b32 v[18:19], 0, 0
	s_and_saveexec_b64 s[14:15], s[4:5]
	s_cbranch_execz .LBB10_67
; %bb.64:                               ;   in Loop: Header=BB10_30 Depth=1
	s_mov_b32 s22, 0
	s_mov_b64 s[16:17], 0
	v_pk_mov_b32 v[18:19], 0, 0
	s_mov_b64 s[18:19], 0
.LBB10_65:                              ;   Parent Loop BB10_30 Depth=1
                                        ; =>  This Inner Loop Header: Depth=2
	v_add_u32_e32 v9, s22, v8
	buffer_load_ubyte v9, v9, s[0:3], 0 offen
	v_mov_b32_e32 v23, s20
	s_add_i32 s22, s22, 1
	v_cmp_eq_u32_e64 s[4:5], s22, v20
	s_waitcnt vmcnt(0)
	v_and_b32_e32 v22, 0xffff, v9
	v_lshlrev_b64 v[22:23], s18, v[22:23]
	s_add_u32 s18, s18, 8
	s_addc_u32 s19, s19, 0
	v_or_b32_e32 v19, v23, v19
	s_or_b64 s[16:17], s[4:5], s[16:17]
	v_or_b32_e32 v18, v22, v18
	s_andn2_b64 exec, exec, s[16:17]
	s_cbranch_execnz .LBB10_65
; %bb.66:                               ;   in Loop: Header=BB10_30 Depth=1
	s_or_b64 exec, exec, s[16:17]
.LBB10_67:                              ;   in Loop: Header=BB10_30 Depth=1
	s_or_b64 exec, exec, s[14:15]
	s_mov_b32 s14, 0
                                        ; implicit-def: $vgpr20
.LBB10_68:                              ;   in Loop: Header=BB10_30 Depth=1
	s_or_saveexec_b64 s[4:5], s[6:7]
	v_mov_b32_e32 v9, s14
	s_xor_b64 exec, exec, s[4:5]
	s_cbranch_execz .LBB10_70
; %bb.69:                               ;   in Loop: Header=BB10_30 Depth=1
	buffer_load_dword v18, v8, s[0:3], 0 offen offset:4
	buffer_load_dword v19, v8, s[0:3], 0 offen
	v_add_u32_e32 v9, -8, v20
	v_add_u32_e32 v8, 8, v8
	s_waitcnt vmcnt(1)
	v_and_b32_e32 v20, 0xff, v18
	v_and_b32_e32 v21, 0xff00, v18
	s_waitcnt vmcnt(0)
	v_or3_b32 v19, v19, 0, 0
	v_and_b32_e32 v22, 0xff0000, v18
	v_and_b32_e32 v23, 0xff000000, v18
	v_or3_b32 v20, 0, v20, v21
	v_or3_b32 v18, v19, 0, 0
	;; [unrolled: 1-line block ×3, first 2 shown]
.LBB10_70:                              ;   in Loop: Header=BB10_30 Depth=1
	s_or_b64 exec, exec, s[4:5]
	v_cmp_gt_u32_e64 s[4:5], 8, v9
                                        ; implicit-def: $vgpr20_vgpr21
                                        ; implicit-def: $sgpr14
	s_and_saveexec_b64 s[6:7], s[4:5]
	s_xor_b64 s[6:7], exec, s[6:7]
	s_cbranch_execz .LBB10_76
; %bb.71:                               ;   in Loop: Header=BB10_30 Depth=1
	v_cmp_ne_u32_e64 s[4:5], 0, v9
	v_pk_mov_b32 v[20:21], 0, 0
	s_and_saveexec_b64 s[14:15], s[4:5]
	s_cbranch_execz .LBB10_75
; %bb.72:                               ;   in Loop: Header=BB10_30 Depth=1
	s_mov_b32 s22, 0
	s_mov_b64 s[16:17], 0
	v_pk_mov_b32 v[20:21], 0, 0
	s_mov_b64 s[18:19], 0
.LBB10_73:                              ;   Parent Loop BB10_30 Depth=1
                                        ; =>  This Inner Loop Header: Depth=2
	v_add_u32_e32 v22, s22, v8
	buffer_load_ubyte v22, v22, s[0:3], 0 offen
	v_mov_b32_e32 v23, s20
	s_add_i32 s22, s22, 1
	v_cmp_eq_u32_e64 s[4:5], s22, v9
	s_waitcnt vmcnt(0)
	v_and_b32_e32 v22, 0xffff, v22
	v_lshlrev_b64 v[22:23], s18, v[22:23]
	s_add_u32 s18, s18, 8
	s_addc_u32 s19, s19, 0
	v_or_b32_e32 v21, v23, v21
	s_or_b64 s[16:17], s[4:5], s[16:17]
	v_or_b32_e32 v20, v22, v20
	s_andn2_b64 exec, exec, s[16:17]
	s_cbranch_execnz .LBB10_73
; %bb.74:                               ;   in Loop: Header=BB10_30 Depth=1
	s_or_b64 exec, exec, s[16:17]
.LBB10_75:                              ;   in Loop: Header=BB10_30 Depth=1
	s_or_b64 exec, exec, s[14:15]
	s_mov_b32 s14, 0
                                        ; implicit-def: $vgpr9
.LBB10_76:                              ;   in Loop: Header=BB10_30 Depth=1
	s_or_saveexec_b64 s[4:5], s[6:7]
	v_mov_b32_e32 v24, s14
	s_xor_b64 exec, exec, s[4:5]
	s_cbranch_execz .LBB10_78
; %bb.77:                               ;   in Loop: Header=BB10_30 Depth=1
	buffer_load_dword v20, v8, s[0:3], 0 offen offset:4
	buffer_load_dword v21, v8, s[0:3], 0 offen
	v_add_u32_e32 v24, -8, v9
	v_add_u32_e32 v8, 8, v8
	s_waitcnt vmcnt(1)
	v_and_b32_e32 v9, 0xff, v20
	v_and_b32_e32 v22, 0xff00, v20
	s_waitcnt vmcnt(0)
	v_or3_b32 v21, v21, 0, 0
	v_and_b32_e32 v23, 0xff0000, v20
	v_and_b32_e32 v25, 0xff000000, v20
	v_or3_b32 v9, 0, v9, v22
	v_or3_b32 v20, v21, 0, 0
	;; [unrolled: 1-line block ×3, first 2 shown]
.LBB10_78:                              ;   in Loop: Header=BB10_30 Depth=1
	s_or_b64 exec, exec, s[4:5]
	v_cmp_gt_u32_e64 s[4:5], 8, v24
	s_and_saveexec_b64 s[6:7], s[4:5]
	s_xor_b64 s[6:7], exec, s[6:7]
	s_cbranch_execz .LBB10_84
; %bb.79:                               ;   in Loop: Header=BB10_30 Depth=1
	v_cmp_ne_u32_e64 s[4:5], 0, v24
	v_pk_mov_b32 v[22:23], 0, 0
	s_and_saveexec_b64 s[14:15], s[4:5]
	s_cbranch_execz .LBB10_83
; %bb.80:                               ;   in Loop: Header=BB10_30 Depth=1
	s_mov_b64 s[16:17], 0
	v_pk_mov_b32 v[22:23], 0, 0
	s_mov_b64 s[18:19], 0
.LBB10_81:                              ;   Parent Loop BB10_30 Depth=1
                                        ; =>  This Inner Loop Header: Depth=2
	buffer_load_ubyte v9, v8, s[0:3], 0 offen
	v_mov_b32_e32 v27, s20
	v_add_u32_e32 v24, -1, v24
	v_cmp_eq_u32_e64 s[4:5], 0, v24
	v_add_u32_e32 v8, 1, v8
	s_waitcnt vmcnt(0)
	v_and_b32_e32 v26, 0xffff, v9
	v_lshlrev_b64 v[26:27], s18, v[26:27]
	s_add_u32 s18, s18, 8
	s_addc_u32 s19, s19, 0
	v_or_b32_e32 v23, v27, v23
	s_or_b64 s[16:17], s[4:5], s[16:17]
	v_or_b32_e32 v22, v26, v22
	s_andn2_b64 exec, exec, s[16:17]
	s_cbranch_execnz .LBB10_81
; %bb.82:                               ;   in Loop: Header=BB10_30 Depth=1
	s_or_b64 exec, exec, s[16:17]
.LBB10_83:                              ;   in Loop: Header=BB10_30 Depth=1
	s_or_b64 exec, exec, s[14:15]
                                        ; implicit-def: $vgpr8
.LBB10_84:                              ;   in Loop: Header=BB10_30 Depth=1
	s_andn2_saveexec_b64 s[4:5], s[6:7]
	s_cbranch_execz .LBB10_86
; %bb.85:                               ;   in Loop: Header=BB10_30 Depth=1
	buffer_load_dword v9, v8, s[0:3], 0 offen offset:4
	buffer_load_dword v22, v8, s[0:3], 0 offen
	s_waitcnt vmcnt(1)
	v_and_b32_e32 v8, 0xff, v9
	v_and_b32_e32 v23, 0xff00, v9
	s_waitcnt vmcnt(0)
	v_or3_b32 v22, v22, 0, 0
	v_and_b32_e32 v24, 0xff0000, v9
	v_and_b32_e32 v9, 0xff000000, v9
	v_or3_b32 v8, 0, v8, v23
	v_or3_b32 v23, v8, v24, v9
	;; [unrolled: 1-line block ×3, first 2 shown]
.LBB10_86:                              ;   in Loop: Header=BB10_30 Depth=1
	s_or_b64 exec, exec, s[4:5]
	v_readfirstlane_b32 s4, v37
	v_cmp_eq_u32_e64 s[4:5], s4, v37
	v_pk_mov_b32 v[8:9], 0, 0
	s_and_saveexec_b64 s[14:15], s[4:5]
	s_cbranch_execz .LBB10_92
; %bb.87:                               ;   in Loop: Header=BB10_30 Depth=1
	global_load_dwordx2 v[26:27], v33, s[10:11] offset:24 glc
	s_waitcnt vmcnt(0)
	buffer_invl2
	buffer_wbinvl1_vol
	global_load_dwordx2 v[8:9], v33, s[10:11] offset:40
	global_load_dwordx2 v[24:25], v33, s[10:11]
	s_waitcnt vmcnt(1)
	v_and_b32_e32 v8, v8, v26
	v_and_b32_e32 v9, v9, v27
	v_mul_lo_u32 v9, v9, 24
	v_mul_hi_u32 v32, v8, 24
	v_mul_lo_u32 v8, v8, 24
	v_add_u32_e32 v9, v32, v9
	s_waitcnt vmcnt(0)
	v_add_co_u32_e64 v8, s[6:7], v24, v8
	v_addc_co_u32_e64 v9, s[6:7], v25, v9, s[6:7]
	global_load_dwordx2 v[24:25], v[8:9], off glc
	s_waitcnt vmcnt(0)
	global_atomic_cmpswap_x2 v[8:9], v33, v[24:27], s[10:11] offset:24 glc
	s_waitcnt vmcnt(0)
	buffer_invl2
	buffer_wbinvl1_vol
	v_cmp_ne_u64_e64 s[6:7], v[8:9], v[26:27]
	s_and_saveexec_b64 s[16:17], s[6:7]
	s_cbranch_execz .LBB10_91
; %bb.88:                               ;   in Loop: Header=BB10_30 Depth=1
	s_mov_b64 s[18:19], 0
.LBB10_89:                              ;   Parent Loop BB10_30 Depth=1
                                        ; =>  This Inner Loop Header: Depth=2
	s_sleep 1
	global_load_dwordx2 v[24:25], v33, s[10:11] offset:40
	global_load_dwordx2 v[34:35], v33, s[10:11]
	v_pk_mov_b32 v[26:27], v[8:9], v[8:9] op_sel:[0,1]
	s_waitcnt vmcnt(1)
	v_and_b32_e32 v8, v24, v26
	s_waitcnt vmcnt(0)
	v_mad_u64_u32 v[8:9], s[6:7], v8, 24, v[34:35]
	v_and_b32_e32 v25, v25, v27
	v_mov_b32_e32 v24, v9
	v_mad_u64_u32 v[24:25], s[6:7], v25, 24, v[24:25]
	v_mov_b32_e32 v9, v24
	global_load_dwordx2 v[24:25], v[8:9], off glc
	s_waitcnt vmcnt(0)
	global_atomic_cmpswap_x2 v[8:9], v33, v[24:27], s[10:11] offset:24 glc
	s_waitcnt vmcnt(0)
	buffer_invl2
	buffer_wbinvl1_vol
	v_cmp_eq_u64_e64 s[6:7], v[8:9], v[26:27]
	s_or_b64 s[18:19], s[6:7], s[18:19]
	s_andn2_b64 exec, exec, s[18:19]
	s_cbranch_execnz .LBB10_89
; %bb.90:                               ;   in Loop: Header=BB10_30 Depth=1
	s_or_b64 exec, exec, s[18:19]
.LBB10_91:                              ;   in Loop: Header=BB10_30 Depth=1
	s_or_b64 exec, exec, s[16:17]
.LBB10_92:                              ;   in Loop: Header=BB10_30 Depth=1
	s_or_b64 exec, exec, s[14:15]
	global_load_dwordx2 v[34:35], v33, s[10:11] offset:40
	global_load_dwordx4 v[24:27], v33, s[10:11]
	v_readfirstlane_b32 s14, v8
	v_readfirstlane_b32 s15, v9
	s_mov_b64 s[16:17], exec
	s_waitcnt vmcnt(1)
	v_readfirstlane_b32 s6, v34
	v_readfirstlane_b32 s7, v35
	s_and_b64 s[18:19], s[14:15], s[6:7]
	s_mul_i32 s6, s19, 24
	s_mul_hi_u32 s7, s18, 24
	s_mul_i32 s22, s18, 24
	s_add_i32 s6, s7, s6
	v_mov_b32_e32 v8, s6
	s_waitcnt vmcnt(0)
	v_add_co_u32_e64 v34, s[6:7], s22, v24
	v_addc_co_u32_e64 v35, s[6:7], v25, v8, s[6:7]
	s_and_saveexec_b64 s[6:7], s[4:5]
	s_cbranch_execz .LBB10_94
; %bb.93:                               ;   in Loop: Header=BB10_30 Depth=1
	v_pk_mov_b32 v[8:9], s[16:17], s[16:17] op_sel:[0,1]
	global_store_dwordx4 v[34:35], v[8:11], off offset:8
.LBB10_94:                              ;   in Loop: Header=BB10_30 Depth=1
	s_or_b64 exec, exec, s[6:7]
	s_lshl_b64 s[6:7], s[18:19], 12
	v_cndmask_b32_e32 v39, 0, v29, vcc
	v_mov_b32_e32 v9, s7
	v_add_co_u32_e32 v8, vcc, s6, v26
	v_addc_co_u32_e32 v9, vcc, v27, v9, vcc
	v_or_b32_e32 v26, 0, v1
	v_cmp_lt_u64_e32 vcc, 56, v[28:29]
	v_or_b32_e32 v27, v0, v30
	v_cndmask_b32_e32 v1, v26, v1, vcc
	v_lshl_add_u32 v26, v38, 2, 28
	v_cndmask_b32_e32 v0, v27, v0, vcc
	v_and_b32_e32 v26, 0x1e0, v26
	v_and_or_b32 v0, v0, s21, v26
	v_readfirstlane_b32 s6, v8
	v_readfirstlane_b32 s7, v9
	s_nop 4
	global_store_dwordx4 v36, v[0:3], s[6:7]
	global_store_dwordx4 v36, v[12:15], s[6:7] offset:16
	global_store_dwordx4 v36, v[16:19], s[6:7] offset:32
	;; [unrolled: 1-line block ×3, first 2 shown]
	s_and_saveexec_b64 s[6:7], s[4:5]
	s_cbranch_execz .LBB10_102
; %bb.95:                               ;   in Loop: Header=BB10_30 Depth=1
	global_load_dwordx2 v[16:17], v33, s[10:11] offset:32 glc
	global_load_dwordx2 v[0:1], v33, s[10:11] offset:40
	v_mov_b32_e32 v14, s14
	v_mov_b32_e32 v15, s15
	s_waitcnt vmcnt(0)
	v_readfirstlane_b32 s16, v0
	v_readfirstlane_b32 s17, v1
	s_and_b64 s[16:17], s[16:17], s[14:15]
	s_mul_i32 s17, s17, 24
	s_mul_hi_u32 s18, s16, 24
	s_mul_i32 s16, s16, 24
	s_add_i32 s17, s18, s17
	v_mov_b32_e32 v0, s17
	v_add_co_u32_e32 v12, vcc, s16, v24
	v_addc_co_u32_e32 v13, vcc, v25, v0, vcc
	global_store_dwordx2 v[12:13], v[16:17], off
	buffer_wbl2
	s_waitcnt vmcnt(0)
	global_atomic_cmpswap_x2 v[2:3], v33, v[14:17], s[10:11] offset:32 glc
	s_waitcnt vmcnt(0)
	v_cmp_ne_u64_e32 vcc, v[2:3], v[16:17]
	s_and_saveexec_b64 s[16:17], vcc
	s_cbranch_execz .LBB10_98
; %bb.96:                               ;   in Loop: Header=BB10_30 Depth=1
	s_mov_b64 s[18:19], 0
.LBB10_97:                              ;   Parent Loop BB10_30 Depth=1
                                        ; =>  This Inner Loop Header: Depth=2
	s_sleep 1
	global_store_dwordx2 v[12:13], v[2:3], off
	v_mov_b32_e32 v0, s14
	v_mov_b32_e32 v1, s15
	buffer_wbl2
	s_waitcnt vmcnt(0)
	global_atomic_cmpswap_x2 v[0:1], v33, v[0:3], s[10:11] offset:32 glc
	s_waitcnt vmcnt(0)
	v_cmp_eq_u64_e32 vcc, v[0:1], v[2:3]
	s_or_b64 s[18:19], vcc, s[18:19]
	v_pk_mov_b32 v[2:3], v[0:1], v[0:1] op_sel:[0,1]
	s_andn2_b64 exec, exec, s[18:19]
	s_cbranch_execnz .LBB10_97
.LBB10_98:                              ;   in Loop: Header=BB10_30 Depth=1
	s_or_b64 exec, exec, s[16:17]
	global_load_dwordx2 v[0:1], v33, s[10:11] offset:16
	s_mov_b64 s[18:19], exec
	v_mbcnt_lo_u32_b32 v2, s18, 0
	v_mbcnt_hi_u32_b32 v2, s19, v2
	v_cmp_eq_u32_e32 vcc, 0, v2
	s_and_saveexec_b64 s[16:17], vcc
	s_cbranch_execz .LBB10_100
; %bb.99:                               ;   in Loop: Header=BB10_30 Depth=1
	s_bcnt1_i32_b64 s18, s[18:19]
	v_mov_b32_e32 v32, s18
	buffer_wbl2
	s_waitcnt vmcnt(0)
	global_atomic_add_x2 v[0:1], v[32:33], off offset:8
.LBB10_100:                             ;   in Loop: Header=BB10_30 Depth=1
	s_or_b64 exec, exec, s[16:17]
	s_waitcnt vmcnt(0)
	global_load_dwordx2 v[2:3], v[0:1], off offset:16
	s_waitcnt vmcnt(0)
	v_cmp_eq_u64_e32 vcc, 0, v[2:3]
	s_cbranch_vccnz .LBB10_102
; %bb.101:                              ;   in Loop: Header=BB10_30 Depth=1
	global_load_dword v32, v[0:1], off offset:24
	s_waitcnt vmcnt(0)
	v_and_b32_e32 v0, 0xffffff, v32
	v_readfirstlane_b32 m0, v0
	buffer_wbl2
	global_store_dwordx2 v[2:3], v[32:33], off
	s_sendmsg sendmsg(MSG_INTERRUPT)
.LBB10_102:                             ;   in Loop: Header=BB10_30 Depth=1
	s_or_b64 exec, exec, s[6:7]
	v_add_co_u32_e32 v0, vcc, v8, v36
	v_addc_co_u32_e32 v1, vcc, 0, v9, vcc
	s_branch .LBB10_106
.LBB10_103:                             ;   in Loop: Header=BB10_106 Depth=2
	s_or_b64 exec, exec, s[6:7]
	v_readfirstlane_b32 s6, v2
	s_cmp_eq_u32 s6, 0
	s_cbranch_scc1 .LBB10_105
; %bb.104:                              ;   in Loop: Header=BB10_106 Depth=2
	s_sleep 1
	s_cbranch_execnz .LBB10_106
	s_branch .LBB10_108
.LBB10_105:                             ;   in Loop: Header=BB10_30 Depth=1
	s_branch .LBB10_108
.LBB10_106:                             ;   Parent Loop BB10_30 Depth=1
                                        ; =>  This Inner Loop Header: Depth=2
	v_mov_b32_e32 v2, 1
	s_and_saveexec_b64 s[6:7], s[4:5]
	s_cbranch_execz .LBB10_103
; %bb.107:                              ;   in Loop: Header=BB10_106 Depth=2
	global_load_dword v2, v[34:35], off offset:20 glc
	s_waitcnt vmcnt(0)
	buffer_invl2
	buffer_wbinvl1_vol
	v_and_b32_e32 v2, 1, v2
	s_branch .LBB10_103
.LBB10_108:                             ;   in Loop: Header=BB10_30 Depth=1
	global_load_dwordx4 v[0:3], v[0:1], off
	s_and_saveexec_b64 s[6:7], s[4:5]
	s_cbranch_execz .LBB10_29
; %bb.109:                              ;   in Loop: Header=BB10_30 Depth=1
	global_load_dwordx2 v[2:3], v33, s[10:11] offset:40
	global_load_dwordx2 v[8:9], v33, s[10:11] offset:24 glc
	global_load_dwordx2 v[16:17], v33, s[10:11]
	v_mov_b32_e32 v13, s15
	s_waitcnt vmcnt(2)
	v_add_co_u32_e32 v15, vcc, 1, v2
	v_addc_co_u32_e32 v18, vcc, 0, v3, vcc
	v_add_co_u32_e32 v12, vcc, s14, v15
	v_addc_co_u32_e32 v13, vcc, v18, v13, vcc
	v_cmp_eq_u64_e32 vcc, 0, v[12:13]
	v_cndmask_b32_e32 v13, v13, v18, vcc
	v_cndmask_b32_e32 v12, v12, v15, vcc
	v_and_b32_e32 v3, v13, v3
	v_and_b32_e32 v2, v12, v2
	v_mul_lo_u32 v3, v3, 24
	v_mul_hi_u32 v15, v2, 24
	v_mul_lo_u32 v2, v2, 24
	v_add_u32_e32 v3, v15, v3
	s_waitcnt vmcnt(0)
	v_add_co_u32_e32 v2, vcc, v16, v2
	v_addc_co_u32_e32 v3, vcc, v17, v3, vcc
	v_mov_b32_e32 v14, v8
	global_store_dwordx2 v[2:3], v[8:9], off
	v_mov_b32_e32 v15, v9
	buffer_wbl2
	s_waitcnt vmcnt(0)
	global_atomic_cmpswap_x2 v[14:15], v33, v[12:15], s[10:11] offset:24 glc
	s_waitcnt vmcnt(0)
	v_cmp_ne_u64_e32 vcc, v[14:15], v[8:9]
	s_and_b64 exec, exec, vcc
	s_cbranch_execz .LBB10_29
; %bb.110:                              ;   in Loop: Header=BB10_30 Depth=1
	s_mov_b64 s[4:5], 0
.LBB10_111:                             ;   Parent Loop BB10_30 Depth=1
                                        ; =>  This Inner Loop Header: Depth=2
	s_sleep 1
	global_store_dwordx2 v[2:3], v[14:15], off
	buffer_wbl2
	s_waitcnt vmcnt(0)
	global_atomic_cmpswap_x2 v[8:9], v33, v[12:15], s[10:11] offset:24 glc
	s_waitcnt vmcnt(0)
	v_cmp_eq_u64_e32 vcc, v[8:9], v[14:15]
	s_or_b64 s[4:5], vcc, s[4:5]
	v_pk_mov_b32 v[14:15], v[8:9], v[8:9] op_sel:[0,1]
	s_andn2_b64 exec, exec, s[4:5]
	s_cbranch_execnz .LBB10_111
	s_branch .LBB10_29
.LBB10_112:
                                        ; implicit-def: $vgpr0_vgpr1
	s_cbranch_execnz .LBB10_114
	s_branch .LBB10_140
.LBB10_113:
	s_or_b64 exec, exec, s[12:13]
	s_branch .LBB10_140
.LBB10_114:
	v_readfirstlane_b32 s4, v37
	v_cmp_eq_u32_e64 s[4:5], s4, v37
	v_pk_mov_b32 v[10:11], 0, 0
	s_and_saveexec_b64 s[6:7], s[4:5]
	s_cbranch_execz .LBB10_120
; %bb.115:
	s_waitcnt vmcnt(0)
	v_mov_b32_e32 v0, 0
	global_load_dwordx2 v[12:13], v0, s[10:11] offset:24 glc
	s_waitcnt vmcnt(0)
	buffer_invl2
	buffer_wbinvl1_vol
	global_load_dwordx2 v[2:3], v0, s[10:11] offset:40
	global_load_dwordx2 v[8:9], v0, s[10:11]
	s_waitcnt vmcnt(1)
	v_and_b32_e32 v1, v2, v12
	v_and_b32_e32 v2, v3, v13
	v_mul_lo_u32 v2, v2, 24
	v_mul_hi_u32 v3, v1, 24
	v_mul_lo_u32 v1, v1, 24
	v_add_u32_e32 v3, v3, v2
	s_waitcnt vmcnt(0)
	v_add_co_u32_e32 v2, vcc, v8, v1
	v_addc_co_u32_e32 v3, vcc, v9, v3, vcc
	global_load_dwordx2 v[10:11], v[2:3], off glc
	s_waitcnt vmcnt(0)
	global_atomic_cmpswap_x2 v[10:11], v0, v[10:13], s[10:11] offset:24 glc
	s_waitcnt vmcnt(0)
	buffer_invl2
	buffer_wbinvl1_vol
	v_cmp_ne_u64_e32 vcc, v[10:11], v[12:13]
	s_and_saveexec_b64 s[12:13], vcc
	s_cbranch_execz .LBB10_119
; %bb.116:
	s_mov_b64 s[14:15], 0
.LBB10_117:                             ; =>This Inner Loop Header: Depth=1
	s_sleep 1
	global_load_dwordx2 v[2:3], v0, s[10:11] offset:40
	global_load_dwordx2 v[8:9], v0, s[10:11]
	v_pk_mov_b32 v[12:13], v[10:11], v[10:11] op_sel:[0,1]
	s_waitcnt vmcnt(1)
	v_and_b32_e32 v2, v2, v12
	v_and_b32_e32 v1, v3, v13
	s_waitcnt vmcnt(0)
	v_mad_u64_u32 v[2:3], s[16:17], v2, 24, v[8:9]
	v_mov_b32_e32 v8, v3
	v_mad_u64_u32 v[8:9], s[16:17], v1, 24, v[8:9]
	v_mov_b32_e32 v3, v8
	global_load_dwordx2 v[10:11], v[2:3], off glc
	s_waitcnt vmcnt(0)
	global_atomic_cmpswap_x2 v[10:11], v0, v[10:13], s[10:11] offset:24 glc
	s_waitcnt vmcnt(0)
	buffer_invl2
	buffer_wbinvl1_vol
	v_cmp_eq_u64_e32 vcc, v[10:11], v[12:13]
	s_or_b64 s[14:15], vcc, s[14:15]
	s_andn2_b64 exec, exec, s[14:15]
	s_cbranch_execnz .LBB10_117
; %bb.118:
	s_or_b64 exec, exec, s[14:15]
.LBB10_119:
	s_or_b64 exec, exec, s[12:13]
.LBB10_120:
	s_or_b64 exec, exec, s[6:7]
	v_mov_b32_e32 v8, 0
	global_load_dwordx2 v[12:13], v8, s[10:11] offset:40
	global_load_dwordx4 v[0:3], v8, s[10:11]
	v_readfirstlane_b32 s6, v10
	v_readfirstlane_b32 s7, v11
	s_mov_b64 s[12:13], exec
	s_waitcnt vmcnt(1)
	v_readfirstlane_b32 s14, v12
	v_readfirstlane_b32 s15, v13
	s_and_b64 s[14:15], s[6:7], s[14:15]
	s_mul_i32 s16, s15, 24
	s_mul_hi_u32 s17, s14, 24
	s_mul_i32 s18, s14, 24
	s_add_i32 s16, s17, s16
	v_mov_b32_e32 v9, s16
	s_waitcnt vmcnt(0)
	v_add_co_u32_e32 v10, vcc, s18, v0
	v_addc_co_u32_e32 v11, vcc, v1, v9, vcc
	s_and_saveexec_b64 s[16:17], s[4:5]
	s_cbranch_execz .LBB10_122
; %bb.121:
	v_pk_mov_b32 v[12:13], s[12:13], s[12:13] op_sel:[0,1]
	v_mov_b32_e32 v14, 2
	v_mov_b32_e32 v15, 1
	global_store_dwordx4 v[10:11], v[12:15], off offset:8
.LBB10_122:
	s_or_b64 exec, exec, s[16:17]
	s_lshl_b64 s[12:13], s[14:15], 12
	v_mov_b32_e32 v9, s13
	v_add_co_u32_e32 v2, vcc, s12, v2
	s_movk_i32 s12, 0xff1f
	v_addc_co_u32_e32 v3, vcc, v3, v9, vcc
	v_and_or_b32 v6, v6, s12, 32
	s_mov_b32 s12, 0
	v_mov_b32_e32 v9, v8
	v_readfirstlane_b32 s16, v2
	v_readfirstlane_b32 s17, v3
	s_mov_b32 s13, s12
	v_add_co_u32_e32 v12, vcc, v2, v36
	s_mov_b32 s14, s12
	s_mov_b32 s15, s12
	s_nop 0
	global_store_dwordx4 v36, v[6:9], s[16:17]
	v_addc_co_u32_e32 v13, vcc, 0, v3, vcc
	v_pk_mov_b32 v[6:7], s[12:13], s[12:13] op_sel:[0,1]
	v_pk_mov_b32 v[8:9], s[14:15], s[14:15] op_sel:[0,1]
	global_store_dwordx4 v36, v[6:9], s[16:17] offset:16
	global_store_dwordx4 v36, v[6:9], s[16:17] offset:32
	;; [unrolled: 1-line block ×3, first 2 shown]
	s_and_saveexec_b64 s[12:13], s[4:5]
	s_cbranch_execz .LBB10_130
; %bb.123:
	v_mov_b32_e32 v8, 0
	global_load_dwordx2 v[16:17], v8, s[10:11] offset:32 glc
	global_load_dwordx2 v[2:3], v8, s[10:11] offset:40
	v_mov_b32_e32 v14, s6
	v_mov_b32_e32 v15, s7
	s_waitcnt vmcnt(0)
	v_readfirstlane_b32 s14, v2
	v_readfirstlane_b32 s15, v3
	s_and_b64 s[14:15], s[14:15], s[6:7]
	s_mul_i32 s15, s15, 24
	s_mul_hi_u32 s16, s14, 24
	s_mul_i32 s14, s14, 24
	s_add_i32 s15, s16, s15
	v_mov_b32_e32 v2, s15
	v_add_co_u32_e32 v6, vcc, s14, v0
	v_addc_co_u32_e32 v7, vcc, v1, v2, vcc
	global_store_dwordx2 v[6:7], v[16:17], off
	buffer_wbl2
	s_waitcnt vmcnt(0)
	global_atomic_cmpswap_x2 v[2:3], v8, v[14:17], s[10:11] offset:32 glc
	s_waitcnt vmcnt(0)
	v_cmp_ne_u64_e32 vcc, v[2:3], v[16:17]
	s_and_saveexec_b64 s[14:15], vcc
	s_cbranch_execz .LBB10_126
; %bb.124:
	s_mov_b64 s[16:17], 0
.LBB10_125:                             ; =>This Inner Loop Header: Depth=1
	s_sleep 1
	global_store_dwordx2 v[6:7], v[2:3], off
	v_mov_b32_e32 v0, s6
	v_mov_b32_e32 v1, s7
	buffer_wbl2
	s_waitcnt vmcnt(0)
	global_atomic_cmpswap_x2 v[0:1], v8, v[0:3], s[10:11] offset:32 glc
	s_waitcnt vmcnt(0)
	v_cmp_eq_u64_e32 vcc, v[0:1], v[2:3]
	s_or_b64 s[16:17], vcc, s[16:17]
	v_pk_mov_b32 v[2:3], v[0:1], v[0:1] op_sel:[0,1]
	s_andn2_b64 exec, exec, s[16:17]
	s_cbranch_execnz .LBB10_125
.LBB10_126:
	s_or_b64 exec, exec, s[14:15]
	v_mov_b32_e32 v3, 0
	global_load_dwordx2 v[0:1], v3, s[10:11] offset:16
	s_mov_b64 s[14:15], exec
	v_mbcnt_lo_u32_b32 v2, s14, 0
	v_mbcnt_hi_u32_b32 v2, s15, v2
	v_cmp_eq_u32_e32 vcc, 0, v2
	s_and_saveexec_b64 s[16:17], vcc
	s_cbranch_execz .LBB10_128
; %bb.127:
	s_bcnt1_i32_b64 s14, s[14:15]
	v_mov_b32_e32 v2, s14
	buffer_wbl2
	s_waitcnt vmcnt(0)
	global_atomic_add_x2 v[0:1], v[2:3], off offset:8
.LBB10_128:
	s_or_b64 exec, exec, s[16:17]
	s_waitcnt vmcnt(0)
	global_load_dwordx2 v[2:3], v[0:1], off offset:16
	s_waitcnt vmcnt(0)
	v_cmp_eq_u64_e32 vcc, 0, v[2:3]
	s_cbranch_vccnz .LBB10_130
; %bb.129:
	global_load_dword v0, v[0:1], off offset:24
	v_mov_b32_e32 v1, 0
	buffer_wbl2
	s_waitcnt vmcnt(0)
	global_store_dwordx2 v[2:3], v[0:1], off
	v_and_b32_e32 v0, 0xffffff, v0
	v_readfirstlane_b32 m0, v0
	s_sendmsg sendmsg(MSG_INTERRUPT)
.LBB10_130:
	s_or_b64 exec, exec, s[12:13]
	s_branch .LBB10_134
.LBB10_131:                             ;   in Loop: Header=BB10_134 Depth=1
	s_or_b64 exec, exec, s[12:13]
	v_readfirstlane_b32 s12, v0
	s_cmp_eq_u32 s12, 0
	s_cbranch_scc1 .LBB10_133
; %bb.132:                              ;   in Loop: Header=BB10_134 Depth=1
	s_sleep 1
	s_cbranch_execnz .LBB10_134
	s_branch .LBB10_136
.LBB10_133:
	s_branch .LBB10_136
.LBB10_134:                             ; =>This Inner Loop Header: Depth=1
	v_mov_b32_e32 v0, 1
	s_and_saveexec_b64 s[12:13], s[4:5]
	s_cbranch_execz .LBB10_131
; %bb.135:                              ;   in Loop: Header=BB10_134 Depth=1
	global_load_dword v0, v[10:11], off offset:20 glc
	s_waitcnt vmcnt(0)
	buffer_invl2
	buffer_wbinvl1_vol
	v_and_b32_e32 v0, 1, v0
	s_branch .LBB10_131
.LBB10_136:
	global_load_dwordx2 v[0:1], v[12:13], off
	s_and_saveexec_b64 s[12:13], s[4:5]
	s_cbranch_execz .LBB10_139
; %bb.137:
	v_mov_b32_e32 v10, 0
	global_load_dwordx2 v[2:3], v10, s[10:11] offset:40
	global_load_dwordx2 v[12:13], v10, s[10:11] offset:24 glc
	global_load_dwordx2 v[14:15], v10, s[10:11]
	v_mov_b32_e32 v7, s7
	s_mov_b64 s[4:5], 0
	s_waitcnt vmcnt(2)
	v_add_co_u32_e32 v9, vcc, 1, v2
	v_addc_co_u32_e32 v11, vcc, 0, v3, vcc
	v_add_co_u32_e32 v6, vcc, s6, v9
	v_addc_co_u32_e32 v7, vcc, v11, v7, vcc
	v_cmp_eq_u64_e32 vcc, 0, v[6:7]
	v_cndmask_b32_e32 v7, v7, v11, vcc
	v_cndmask_b32_e32 v6, v6, v9, vcc
	v_and_b32_e32 v3, v7, v3
	v_and_b32_e32 v2, v6, v2
	v_mul_lo_u32 v3, v3, 24
	v_mul_hi_u32 v9, v2, 24
	v_mul_lo_u32 v2, v2, 24
	v_add_u32_e32 v3, v9, v3
	s_waitcnt vmcnt(0)
	v_add_co_u32_e32 v2, vcc, v14, v2
	v_addc_co_u32_e32 v3, vcc, v15, v3, vcc
	v_mov_b32_e32 v8, v12
	global_store_dwordx2 v[2:3], v[12:13], off
	v_mov_b32_e32 v9, v13
	buffer_wbl2
	s_waitcnt vmcnt(0)
	global_atomic_cmpswap_x2 v[8:9], v10, v[6:9], s[10:11] offset:24 glc
	s_waitcnt vmcnt(0)
	v_cmp_ne_u64_e32 vcc, v[8:9], v[12:13]
	s_and_b64 exec, exec, vcc
	s_cbranch_execz .LBB10_139
.LBB10_138:                             ; =>This Inner Loop Header: Depth=1
	s_sleep 1
	global_store_dwordx2 v[2:3], v[8:9], off
	buffer_wbl2
	s_waitcnt vmcnt(0)
	global_atomic_cmpswap_x2 v[12:13], v10, v[6:9], s[10:11] offset:24 glc
	s_waitcnt vmcnt(0)
	v_cmp_eq_u64_e32 vcc, v[12:13], v[8:9]
	s_or_b64 s[4:5], vcc, s[4:5]
	v_pk_mov_b32 v[8:9], v[12:13], v[12:13] op_sel:[0,1]
	s_andn2_b64 exec, exec, s[4:5]
	s_cbranch_execnz .LBB10_138
.LBB10_139:
	s_or_b64 exec, exec, s[12:13]
.LBB10_140:
	s_getpc_b64 s[6:7]
	s_add_u32 s6, s6, .str.2@rel32@lo+4
	s_addc_u32 s7, s7, .str.2@rel32@hi+12
	s_cmp_lg_u64 s[6:7], 0
	s_cbranch_scc0 .LBB10_224
; %bb.141:
	s_getpc_b64 s[4:5]
	s_add_u32 s4, s4, .str.2@rel32@lo+97
	s_addc_u32 s5, s5, .str.2@rel32@hi+105
	s_sub_i32 s12, s4, s6
	s_ashr_i32 s13, s12, 31
	s_waitcnt vmcnt(0)
	v_and_b32_e32 v2, 2, v0
	v_mov_b32_e32 v33, 0
	v_and_b32_e32 v6, -3, v0
	v_mov_b32_e32 v7, v1
	v_mov_b32_e32 v10, 2
	;; [unrolled: 1-line block ×3, first 2 shown]
	s_branch .LBB10_143
.LBB10_142:                             ;   in Loop: Header=BB10_143 Depth=1
	s_or_b64 exec, exec, s[18:19]
	s_sub_u32 s12, s12, s14
	s_subb_u32 s13, s13, s15
	s_add_u32 s6, s6, s14
	s_addc_u32 s7, s7, s15
	s_cmp_lg_u64 s[12:13], 0
	s_cbranch_scc0 .LBB10_225
.LBB10_143:                             ; =>This Loop Header: Depth=1
                                        ;     Child Loop BB10_146 Depth 2
                                        ;     Child Loop BB10_153 Depth 2
	;; [unrolled: 1-line block ×11, first 2 shown]
	v_cmp_lt_u64_e64 s[4:5], s[12:13], 56
	s_and_b64 s[4:5], s[4:5], exec
	v_cmp_gt_u64_e64 s[4:5], s[12:13], 7
	s_cselect_b32 s15, s13, 0
	s_cselect_b32 s14, s12, 56
	s_and_b64 vcc, exec, s[4:5]
	s_cbranch_vccnz .LBB10_148
; %bb.144:                              ;   in Loop: Header=BB10_143 Depth=1
	s_mov_b64 s[4:5], 0
	s_cmp_eq_u64 s[12:13], 0
	v_pk_mov_b32 v[14:15], 0, 0
	s_cbranch_scc1 .LBB10_147
; %bb.145:                              ;   in Loop: Header=BB10_143 Depth=1
	s_lshl_b64 s[16:17], s[14:15], 3
	s_mov_b64 s[18:19], 0
	v_pk_mov_b32 v[14:15], 0, 0
	s_mov_b64 s[20:21], s[6:7]
.LBB10_146:                             ;   Parent Loop BB10_143 Depth=1
                                        ; =>  This Inner Loop Header: Depth=2
	global_load_ubyte v3, v33, s[20:21]
	s_waitcnt vmcnt(0)
	v_and_b32_e32 v32, 0xffff, v3
	v_lshlrev_b64 v[8:9], s18, v[32:33]
	s_add_u32 s18, s18, 8
	s_addc_u32 s19, s19, 0
	s_add_u32 s20, s20, 1
	s_addc_u32 s21, s21, 0
	v_or_b32_e32 v14, v8, v14
	s_cmp_lg_u32 s16, s18
	v_or_b32_e32 v15, v9, v15
	s_cbranch_scc1 .LBB10_146
.LBB10_147:                             ;   in Loop: Header=BB10_143 Depth=1
	s_mov_b32 s20, 0
	s_andn2_b64 vcc, exec, s[4:5]
	s_mov_b64 s[4:5], s[6:7]
	s_cbranch_vccz .LBB10_149
	s_branch .LBB10_150
.LBB10_148:                             ;   in Loop: Header=BB10_143 Depth=1
                                        ; implicit-def: $vgpr14_vgpr15
                                        ; implicit-def: $sgpr20
	s_mov_b64 s[4:5], s[6:7]
.LBB10_149:                             ;   in Loop: Header=BB10_143 Depth=1
	global_load_dwordx2 v[14:15], v33, s[6:7]
	s_add_i32 s20, s14, -8
	s_add_u32 s4, s6, 8
	s_addc_u32 s5, s7, 0
.LBB10_150:                             ;   in Loop: Header=BB10_143 Depth=1
	s_cmp_gt_u32 s20, 7
	s_cbranch_scc1 .LBB10_154
; %bb.151:                              ;   in Loop: Header=BB10_143 Depth=1
	s_cmp_eq_u32 s20, 0
	s_cbranch_scc1 .LBB10_155
; %bb.152:                              ;   in Loop: Header=BB10_143 Depth=1
	s_mov_b64 s[16:17], 0
	v_pk_mov_b32 v[16:17], 0, 0
	s_mov_b64 s[18:19], 0
.LBB10_153:                             ;   Parent Loop BB10_143 Depth=1
                                        ; =>  This Inner Loop Header: Depth=2
	s_add_u32 s22, s4, s18
	s_addc_u32 s23, s5, s19
	global_load_ubyte v3, v33, s[22:23]
	s_add_u32 s18, s18, 1
	s_addc_u32 s19, s19, 0
	s_waitcnt vmcnt(0)
	v_and_b32_e32 v32, 0xffff, v3
	v_lshlrev_b64 v[8:9], s16, v[32:33]
	s_add_u32 s16, s16, 8
	s_addc_u32 s17, s17, 0
	v_or_b32_e32 v16, v8, v16
	s_cmp_lg_u32 s20, s18
	v_or_b32_e32 v17, v9, v17
	s_cbranch_scc1 .LBB10_153
	s_branch .LBB10_156
.LBB10_154:                             ;   in Loop: Header=BB10_143 Depth=1
                                        ; implicit-def: $vgpr16_vgpr17
                                        ; implicit-def: $sgpr21
	s_branch .LBB10_157
.LBB10_155:                             ;   in Loop: Header=BB10_143 Depth=1
	v_pk_mov_b32 v[16:17], 0, 0
.LBB10_156:                             ;   in Loop: Header=BB10_143 Depth=1
	s_mov_b32 s21, 0
	s_cbranch_execnz .LBB10_158
.LBB10_157:                             ;   in Loop: Header=BB10_143 Depth=1
	global_load_dwordx2 v[16:17], v33, s[4:5]
	s_add_i32 s21, s20, -8
	s_add_u32 s4, s4, 8
	s_addc_u32 s5, s5, 0
.LBB10_158:                             ;   in Loop: Header=BB10_143 Depth=1
	s_cmp_gt_u32 s21, 7
	s_cbranch_scc1 .LBB10_162
; %bb.159:                              ;   in Loop: Header=BB10_143 Depth=1
	s_cmp_eq_u32 s21, 0
	s_cbranch_scc1 .LBB10_163
; %bb.160:                              ;   in Loop: Header=BB10_143 Depth=1
	s_mov_b64 s[16:17], 0
	v_pk_mov_b32 v[18:19], 0, 0
	s_mov_b64 s[18:19], 0
.LBB10_161:                             ;   Parent Loop BB10_143 Depth=1
                                        ; =>  This Inner Loop Header: Depth=2
	s_add_u32 s22, s4, s18
	s_addc_u32 s23, s5, s19
	global_load_ubyte v3, v33, s[22:23]
	s_add_u32 s18, s18, 1
	s_addc_u32 s19, s19, 0
	s_waitcnt vmcnt(0)
	v_and_b32_e32 v32, 0xffff, v3
	v_lshlrev_b64 v[8:9], s16, v[32:33]
	s_add_u32 s16, s16, 8
	s_addc_u32 s17, s17, 0
	v_or_b32_e32 v18, v8, v18
	s_cmp_lg_u32 s21, s18
	v_or_b32_e32 v19, v9, v19
	s_cbranch_scc1 .LBB10_161
	s_branch .LBB10_164
.LBB10_162:                             ;   in Loop: Header=BB10_143 Depth=1
                                        ; implicit-def: $sgpr20
	s_branch .LBB10_165
.LBB10_163:                             ;   in Loop: Header=BB10_143 Depth=1
	v_pk_mov_b32 v[18:19], 0, 0
.LBB10_164:                             ;   in Loop: Header=BB10_143 Depth=1
	s_mov_b32 s20, 0
	s_cbranch_execnz .LBB10_166
.LBB10_165:                             ;   in Loop: Header=BB10_143 Depth=1
	global_load_dwordx2 v[18:19], v33, s[4:5]
	s_add_i32 s20, s21, -8
	s_add_u32 s4, s4, 8
	s_addc_u32 s5, s5, 0
.LBB10_166:                             ;   in Loop: Header=BB10_143 Depth=1
	s_cmp_gt_u32 s20, 7
	s_cbranch_scc1 .LBB10_170
; %bb.167:                              ;   in Loop: Header=BB10_143 Depth=1
	s_cmp_eq_u32 s20, 0
	s_cbranch_scc1 .LBB10_171
; %bb.168:                              ;   in Loop: Header=BB10_143 Depth=1
	s_mov_b64 s[16:17], 0
	v_pk_mov_b32 v[20:21], 0, 0
	s_mov_b64 s[18:19], 0
.LBB10_169:                             ;   Parent Loop BB10_143 Depth=1
                                        ; =>  This Inner Loop Header: Depth=2
	s_add_u32 s22, s4, s18
	s_addc_u32 s23, s5, s19
	global_load_ubyte v3, v33, s[22:23]
	s_add_u32 s18, s18, 1
	s_addc_u32 s19, s19, 0
	s_waitcnt vmcnt(0)
	v_and_b32_e32 v32, 0xffff, v3
	v_lshlrev_b64 v[8:9], s16, v[32:33]
	s_add_u32 s16, s16, 8
	s_addc_u32 s17, s17, 0
	v_or_b32_e32 v20, v8, v20
	s_cmp_lg_u32 s20, s18
	v_or_b32_e32 v21, v9, v21
	s_cbranch_scc1 .LBB10_169
	s_branch .LBB10_172
.LBB10_170:                             ;   in Loop: Header=BB10_143 Depth=1
                                        ; implicit-def: $vgpr20_vgpr21
                                        ; implicit-def: $sgpr21
	s_branch .LBB10_173
.LBB10_171:                             ;   in Loop: Header=BB10_143 Depth=1
	v_pk_mov_b32 v[20:21], 0, 0
.LBB10_172:                             ;   in Loop: Header=BB10_143 Depth=1
	s_mov_b32 s21, 0
	s_cbranch_execnz .LBB10_174
.LBB10_173:                             ;   in Loop: Header=BB10_143 Depth=1
	global_load_dwordx2 v[20:21], v33, s[4:5]
	s_add_i32 s21, s20, -8
	s_add_u32 s4, s4, 8
	s_addc_u32 s5, s5, 0
.LBB10_174:                             ;   in Loop: Header=BB10_143 Depth=1
	s_cmp_gt_u32 s21, 7
	s_cbranch_scc1 .LBB10_178
; %bb.175:                              ;   in Loop: Header=BB10_143 Depth=1
	s_cmp_eq_u32 s21, 0
	s_cbranch_scc1 .LBB10_179
; %bb.176:                              ;   in Loop: Header=BB10_143 Depth=1
	s_mov_b64 s[16:17], 0
	v_pk_mov_b32 v[22:23], 0, 0
	s_mov_b64 s[18:19], 0
.LBB10_177:                             ;   Parent Loop BB10_143 Depth=1
                                        ; =>  This Inner Loop Header: Depth=2
	s_add_u32 s22, s4, s18
	s_addc_u32 s23, s5, s19
	global_load_ubyte v3, v33, s[22:23]
	s_add_u32 s18, s18, 1
	s_addc_u32 s19, s19, 0
	s_waitcnt vmcnt(0)
	v_and_b32_e32 v32, 0xffff, v3
	v_lshlrev_b64 v[8:9], s16, v[32:33]
	s_add_u32 s16, s16, 8
	s_addc_u32 s17, s17, 0
	v_or_b32_e32 v22, v8, v22
	s_cmp_lg_u32 s21, s18
	v_or_b32_e32 v23, v9, v23
	s_cbranch_scc1 .LBB10_177
	s_branch .LBB10_180
.LBB10_178:                             ;   in Loop: Header=BB10_143 Depth=1
                                        ; implicit-def: $sgpr20
	s_branch .LBB10_181
.LBB10_179:                             ;   in Loop: Header=BB10_143 Depth=1
	v_pk_mov_b32 v[22:23], 0, 0
.LBB10_180:                             ;   in Loop: Header=BB10_143 Depth=1
	s_mov_b32 s20, 0
	s_cbranch_execnz .LBB10_182
.LBB10_181:                             ;   in Loop: Header=BB10_143 Depth=1
	global_load_dwordx2 v[22:23], v33, s[4:5]
	s_add_i32 s20, s21, -8
	s_add_u32 s4, s4, 8
	s_addc_u32 s5, s5, 0
.LBB10_182:                             ;   in Loop: Header=BB10_143 Depth=1
	s_cmp_gt_u32 s20, 7
	s_cbranch_scc1 .LBB10_186
; %bb.183:                              ;   in Loop: Header=BB10_143 Depth=1
	s_cmp_eq_u32 s20, 0
	s_cbranch_scc1 .LBB10_187
; %bb.184:                              ;   in Loop: Header=BB10_143 Depth=1
	s_mov_b64 s[16:17], 0
	v_pk_mov_b32 v[24:25], 0, 0
	s_mov_b64 s[18:19], 0
.LBB10_185:                             ;   Parent Loop BB10_143 Depth=1
                                        ; =>  This Inner Loop Header: Depth=2
	s_add_u32 s22, s4, s18
	s_addc_u32 s23, s5, s19
	global_load_ubyte v3, v33, s[22:23]
	s_add_u32 s18, s18, 1
	s_addc_u32 s19, s19, 0
	s_waitcnt vmcnt(0)
	v_and_b32_e32 v32, 0xffff, v3
	v_lshlrev_b64 v[8:9], s16, v[32:33]
	s_add_u32 s16, s16, 8
	s_addc_u32 s17, s17, 0
	v_or_b32_e32 v24, v8, v24
	s_cmp_lg_u32 s20, s18
	v_or_b32_e32 v25, v9, v25
	s_cbranch_scc1 .LBB10_185
	s_branch .LBB10_188
.LBB10_186:                             ;   in Loop: Header=BB10_143 Depth=1
                                        ; implicit-def: $vgpr24_vgpr25
                                        ; implicit-def: $sgpr21
	s_branch .LBB10_189
.LBB10_187:                             ;   in Loop: Header=BB10_143 Depth=1
	v_pk_mov_b32 v[24:25], 0, 0
.LBB10_188:                             ;   in Loop: Header=BB10_143 Depth=1
	s_mov_b32 s21, 0
	s_cbranch_execnz .LBB10_190
.LBB10_189:                             ;   in Loop: Header=BB10_143 Depth=1
	global_load_dwordx2 v[24:25], v33, s[4:5]
	s_add_i32 s21, s20, -8
	s_add_u32 s4, s4, 8
	s_addc_u32 s5, s5, 0
.LBB10_190:                             ;   in Loop: Header=BB10_143 Depth=1
	s_cmp_gt_u32 s21, 7
	s_cbranch_scc1 .LBB10_194
; %bb.191:                              ;   in Loop: Header=BB10_143 Depth=1
	s_cmp_eq_u32 s21, 0
	s_cbranch_scc1 .LBB10_195
; %bb.192:                              ;   in Loop: Header=BB10_143 Depth=1
	s_mov_b64 s[16:17], 0
	v_pk_mov_b32 v[26:27], 0, 0
	s_mov_b64 s[18:19], s[4:5]
.LBB10_193:                             ;   Parent Loop BB10_143 Depth=1
                                        ; =>  This Inner Loop Header: Depth=2
	global_load_ubyte v3, v33, s[18:19]
	s_add_i32 s21, s21, -1
	s_waitcnt vmcnt(0)
	v_and_b32_e32 v32, 0xffff, v3
	v_lshlrev_b64 v[8:9], s16, v[32:33]
	s_add_u32 s16, s16, 8
	s_addc_u32 s17, s17, 0
	s_add_u32 s18, s18, 1
	s_addc_u32 s19, s19, 0
	v_or_b32_e32 v26, v8, v26
	s_cmp_lg_u32 s21, 0
	v_or_b32_e32 v27, v9, v27
	s_cbranch_scc1 .LBB10_193
	s_branch .LBB10_196
.LBB10_194:                             ;   in Loop: Header=BB10_143 Depth=1
	s_branch .LBB10_197
.LBB10_195:                             ;   in Loop: Header=BB10_143 Depth=1
	v_pk_mov_b32 v[26:27], 0, 0
.LBB10_196:                             ;   in Loop: Header=BB10_143 Depth=1
	s_cbranch_execnz .LBB10_198
.LBB10_197:                             ;   in Loop: Header=BB10_143 Depth=1
	global_load_dwordx2 v[26:27], v33, s[4:5]
.LBB10_198:                             ;   in Loop: Header=BB10_143 Depth=1
	v_readfirstlane_b32 s4, v37
	v_cmp_eq_u32_e64 s[4:5], s4, v37
	s_waitcnt vmcnt(0)
	v_pk_mov_b32 v[8:9], 0, 0
	s_and_saveexec_b64 s[16:17], s[4:5]
	s_cbranch_execz .LBB10_204
; %bb.199:                              ;   in Loop: Header=BB10_143 Depth=1
	global_load_dwordx2 v[30:31], v33, s[10:11] offset:24 glc
	s_waitcnt vmcnt(0)
	buffer_invl2
	buffer_wbinvl1_vol
	global_load_dwordx2 v[8:9], v33, s[10:11] offset:40
	global_load_dwordx2 v[12:13], v33, s[10:11]
	s_waitcnt vmcnt(1)
	v_and_b32_e32 v3, v8, v30
	v_and_b32_e32 v8, v9, v31
	v_mul_lo_u32 v8, v8, 24
	v_mul_hi_u32 v9, v3, 24
	v_mul_lo_u32 v3, v3, 24
	v_add_u32_e32 v9, v9, v8
	s_waitcnt vmcnt(0)
	v_add_co_u32_e32 v8, vcc, v12, v3
	v_addc_co_u32_e32 v9, vcc, v13, v9, vcc
	global_load_dwordx2 v[28:29], v[8:9], off glc
	s_waitcnt vmcnt(0)
	global_atomic_cmpswap_x2 v[8:9], v33, v[28:31], s[10:11] offset:24 glc
	s_waitcnt vmcnt(0)
	buffer_invl2
	buffer_wbinvl1_vol
	v_cmp_ne_u64_e32 vcc, v[8:9], v[30:31]
	s_and_saveexec_b64 s[18:19], vcc
	s_cbranch_execz .LBB10_203
; %bb.200:                              ;   in Loop: Header=BB10_143 Depth=1
	s_mov_b64 s[20:21], 0
.LBB10_201:                             ;   Parent Loop BB10_143 Depth=1
                                        ; =>  This Inner Loop Header: Depth=2
	s_sleep 1
	global_load_dwordx2 v[12:13], v33, s[10:11] offset:40
	global_load_dwordx2 v[28:29], v33, s[10:11]
	v_pk_mov_b32 v[30:31], v[8:9], v[8:9] op_sel:[0,1]
	s_waitcnt vmcnt(1)
	v_and_b32_e32 v8, v12, v30
	s_waitcnt vmcnt(0)
	v_mad_u64_u32 v[8:9], s[22:23], v8, 24, v[28:29]
	v_and_b32_e32 v3, v13, v31
	v_mov_b32_e32 v12, v9
	v_mad_u64_u32 v[12:13], s[22:23], v3, 24, v[12:13]
	v_mov_b32_e32 v9, v12
	global_load_dwordx2 v[28:29], v[8:9], off glc
	s_waitcnt vmcnt(0)
	global_atomic_cmpswap_x2 v[8:9], v33, v[28:31], s[10:11] offset:24 glc
	s_waitcnt vmcnt(0)
	buffer_invl2
	buffer_wbinvl1_vol
	v_cmp_eq_u64_e32 vcc, v[8:9], v[30:31]
	s_or_b64 s[20:21], vcc, s[20:21]
	s_andn2_b64 exec, exec, s[20:21]
	s_cbranch_execnz .LBB10_201
; %bb.202:                              ;   in Loop: Header=BB10_143 Depth=1
	s_or_b64 exec, exec, s[20:21]
.LBB10_203:                             ;   in Loop: Header=BB10_143 Depth=1
	s_or_b64 exec, exec, s[18:19]
.LBB10_204:                             ;   in Loop: Header=BB10_143 Depth=1
	s_or_b64 exec, exec, s[16:17]
	global_load_dwordx2 v[12:13], v33, s[10:11] offset:40
	global_load_dwordx4 v[28:31], v33, s[10:11]
	v_readfirstlane_b32 s16, v8
	v_readfirstlane_b32 s17, v9
	s_mov_b64 s[18:19], exec
	s_waitcnt vmcnt(1)
	v_readfirstlane_b32 s20, v12
	v_readfirstlane_b32 s21, v13
	s_and_b64 s[20:21], s[16:17], s[20:21]
	s_mul_i32 s22, s21, 24
	s_mul_hi_u32 s23, s20, 24
	s_mul_i32 s24, s20, 24
	s_add_i32 s22, s23, s22
	v_mov_b32_e32 v3, s22
	s_waitcnt vmcnt(0)
	v_add_co_u32_e32 v34, vcc, s24, v28
	v_addc_co_u32_e32 v35, vcc, v29, v3, vcc
	s_and_saveexec_b64 s[22:23], s[4:5]
	s_cbranch_execz .LBB10_206
; %bb.205:                              ;   in Loop: Header=BB10_143 Depth=1
	v_pk_mov_b32 v[8:9], s[18:19], s[18:19] op_sel:[0,1]
	global_store_dwordx4 v[34:35], v[8:11], off offset:8
.LBB10_206:                             ;   in Loop: Header=BB10_143 Depth=1
	s_or_b64 exec, exec, s[22:23]
	s_lshl_b64 s[18:19], s[20:21], 12
	v_mov_b32_e32 v3, s19
	v_add_co_u32_e32 v30, vcc, s18, v30
	v_addc_co_u32_e32 v3, vcc, v31, v3, vcc
	v_or_b32_e32 v9, v6, v2
	v_cmp_gt_u64_e64 vcc, s[12:13], 56
	s_lshl_b32 s18, s14, 2
	v_cndmask_b32_e32 v6, v9, v6, vcc
	s_add_i32 s18, s18, 28
	v_or_b32_e32 v8, 0, v7
	s_and_b32 s18, s18, 0x1e0
	v_and_b32_e32 v6, 0xffffff1f, v6
	v_cndmask_b32_e32 v13, v8, v7, vcc
	v_or_b32_e32 v12, s18, v6
	v_readfirstlane_b32 s18, v30
	v_readfirstlane_b32 s19, v3
	s_nop 4
	global_store_dwordx4 v36, v[12:15], s[18:19]
	global_store_dwordx4 v36, v[16:19], s[18:19] offset:16
	global_store_dwordx4 v36, v[20:23], s[18:19] offset:32
	;; [unrolled: 1-line block ×3, first 2 shown]
	s_and_saveexec_b64 s[18:19], s[4:5]
	s_cbranch_execz .LBB10_214
; %bb.207:                              ;   in Loop: Header=BB10_143 Depth=1
	global_load_dwordx2 v[16:17], v33, s[10:11] offset:32 glc
	global_load_dwordx2 v[6:7], v33, s[10:11] offset:40
	v_mov_b32_e32 v14, s16
	v_mov_b32_e32 v15, s17
	s_waitcnt vmcnt(0)
	v_readfirstlane_b32 s20, v6
	v_readfirstlane_b32 s21, v7
	s_and_b64 s[20:21], s[20:21], s[16:17]
	s_mul_i32 s21, s21, 24
	s_mul_hi_u32 s22, s20, 24
	s_mul_i32 s20, s20, 24
	s_add_i32 s21, s22, s21
	v_mov_b32_e32 v6, s21
	v_add_co_u32_e32 v12, vcc, s20, v28
	v_addc_co_u32_e32 v13, vcc, v29, v6, vcc
	global_store_dwordx2 v[12:13], v[16:17], off
	buffer_wbl2
	s_waitcnt vmcnt(0)
	global_atomic_cmpswap_x2 v[8:9], v33, v[14:17], s[10:11] offset:32 glc
	s_waitcnt vmcnt(0)
	v_cmp_ne_u64_e32 vcc, v[8:9], v[16:17]
	s_and_saveexec_b64 s[20:21], vcc
	s_cbranch_execz .LBB10_210
; %bb.208:                              ;   in Loop: Header=BB10_143 Depth=1
	s_mov_b64 s[22:23], 0
.LBB10_209:                             ;   Parent Loop BB10_143 Depth=1
                                        ; =>  This Inner Loop Header: Depth=2
	s_sleep 1
	global_store_dwordx2 v[12:13], v[8:9], off
	v_mov_b32_e32 v6, s16
	v_mov_b32_e32 v7, s17
	buffer_wbl2
	s_waitcnt vmcnt(0)
	global_atomic_cmpswap_x2 v[6:7], v33, v[6:9], s[10:11] offset:32 glc
	s_waitcnt vmcnt(0)
	v_cmp_eq_u64_e32 vcc, v[6:7], v[8:9]
	s_or_b64 s[22:23], vcc, s[22:23]
	v_pk_mov_b32 v[8:9], v[6:7], v[6:7] op_sel:[0,1]
	s_andn2_b64 exec, exec, s[22:23]
	s_cbranch_execnz .LBB10_209
.LBB10_210:                             ;   in Loop: Header=BB10_143 Depth=1
	s_or_b64 exec, exec, s[20:21]
	global_load_dwordx2 v[6:7], v33, s[10:11] offset:16
	s_mov_b64 s[22:23], exec
	v_mbcnt_lo_u32_b32 v8, s22, 0
	v_mbcnt_hi_u32_b32 v8, s23, v8
	v_cmp_eq_u32_e32 vcc, 0, v8
	s_and_saveexec_b64 s[20:21], vcc
	s_cbranch_execz .LBB10_212
; %bb.211:                              ;   in Loop: Header=BB10_143 Depth=1
	s_bcnt1_i32_b64 s22, s[22:23]
	v_mov_b32_e32 v32, s22
	buffer_wbl2
	s_waitcnt vmcnt(0)
	global_atomic_add_x2 v[6:7], v[32:33], off offset:8
.LBB10_212:                             ;   in Loop: Header=BB10_143 Depth=1
	s_or_b64 exec, exec, s[20:21]
	s_waitcnt vmcnt(0)
	global_load_dwordx2 v[8:9], v[6:7], off offset:16
	s_waitcnt vmcnt(0)
	v_cmp_eq_u64_e32 vcc, 0, v[8:9]
	s_cbranch_vccnz .LBB10_214
; %bb.213:                              ;   in Loop: Header=BB10_143 Depth=1
	global_load_dword v32, v[6:7], off offset:24
	s_waitcnt vmcnt(0)
	v_and_b32_e32 v6, 0xffffff, v32
	v_readfirstlane_b32 m0, v6
	buffer_wbl2
	global_store_dwordx2 v[8:9], v[32:33], off
	s_sendmsg sendmsg(MSG_INTERRUPT)
.LBB10_214:                             ;   in Loop: Header=BB10_143 Depth=1
	s_or_b64 exec, exec, s[18:19]
	v_add_co_u32_e32 v6, vcc, v30, v36
	v_addc_co_u32_e32 v7, vcc, 0, v3, vcc
	s_branch .LBB10_218
.LBB10_215:                             ;   in Loop: Header=BB10_218 Depth=2
	s_or_b64 exec, exec, s[18:19]
	v_readfirstlane_b32 s18, v3
	s_cmp_eq_u32 s18, 0
	s_cbranch_scc1 .LBB10_217
; %bb.216:                              ;   in Loop: Header=BB10_218 Depth=2
	s_sleep 1
	s_cbranch_execnz .LBB10_218
	s_branch .LBB10_220
.LBB10_217:                             ;   in Loop: Header=BB10_143 Depth=1
	s_branch .LBB10_220
.LBB10_218:                             ;   Parent Loop BB10_143 Depth=1
                                        ; =>  This Inner Loop Header: Depth=2
	v_mov_b32_e32 v3, 1
	s_and_saveexec_b64 s[18:19], s[4:5]
	s_cbranch_execz .LBB10_215
; %bb.219:                              ;   in Loop: Header=BB10_218 Depth=2
	global_load_dword v3, v[34:35], off offset:20 glc
	s_waitcnt vmcnt(0)
	buffer_invl2
	buffer_wbinvl1_vol
	v_and_b32_e32 v3, 1, v3
	s_branch .LBB10_215
.LBB10_220:                             ;   in Loop: Header=BB10_143 Depth=1
	global_load_dwordx4 v[6:9], v[6:7], off
	s_and_saveexec_b64 s[18:19], s[4:5]
	s_cbranch_execz .LBB10_142
; %bb.221:                              ;   in Loop: Header=BB10_143 Depth=1
	global_load_dwordx2 v[8:9], v33, s[10:11] offset:40
	global_load_dwordx2 v[16:17], v33, s[10:11] offset:24 glc
	global_load_dwordx2 v[18:19], v33, s[10:11]
	v_mov_b32_e32 v3, s17
	s_waitcnt vmcnt(2)
	v_add_co_u32_e32 v15, vcc, 1, v8
	v_addc_co_u32_e32 v20, vcc, 0, v9, vcc
	v_add_co_u32_e32 v12, vcc, s16, v15
	v_addc_co_u32_e32 v13, vcc, v20, v3, vcc
	v_cmp_eq_u64_e32 vcc, 0, v[12:13]
	v_cndmask_b32_e32 v13, v13, v20, vcc
	v_cndmask_b32_e32 v12, v12, v15, vcc
	v_and_b32_e32 v3, v13, v9
	v_and_b32_e32 v8, v12, v8
	v_mul_lo_u32 v3, v3, 24
	v_mul_hi_u32 v9, v8, 24
	v_mul_lo_u32 v8, v8, 24
	v_add_u32_e32 v3, v9, v3
	s_waitcnt vmcnt(0)
	v_add_co_u32_e32 v8, vcc, v18, v8
	v_addc_co_u32_e32 v9, vcc, v19, v3, vcc
	v_mov_b32_e32 v14, v16
	global_store_dwordx2 v[8:9], v[16:17], off
	v_mov_b32_e32 v15, v17
	buffer_wbl2
	s_waitcnt vmcnt(0)
	global_atomic_cmpswap_x2 v[14:15], v33, v[12:15], s[10:11] offset:24 glc
	s_waitcnt vmcnt(0)
	v_cmp_ne_u64_e32 vcc, v[14:15], v[16:17]
	s_and_b64 exec, exec, vcc
	s_cbranch_execz .LBB10_142
; %bb.222:                              ;   in Loop: Header=BB10_143 Depth=1
	s_mov_b64 s[4:5], 0
.LBB10_223:                             ;   Parent Loop BB10_143 Depth=1
                                        ; =>  This Inner Loop Header: Depth=2
	s_sleep 1
	global_store_dwordx2 v[8:9], v[14:15], off
	buffer_wbl2
	s_waitcnt vmcnt(0)
	global_atomic_cmpswap_x2 v[16:17], v33, v[12:15], s[10:11] offset:24 glc
	s_waitcnt vmcnt(0)
	v_cmp_eq_u64_e32 vcc, v[16:17], v[14:15]
	s_or_b64 s[4:5], vcc, s[4:5]
	v_pk_mov_b32 v[14:15], v[16:17], v[16:17] op_sel:[0,1]
	s_andn2_b64 exec, exec, s[4:5]
	s_cbranch_execnz .LBB10_223
	s_branch .LBB10_142
.LBB10_224:
                                        ; implicit-def: $vgpr6_vgpr7
	s_cbranch_execnz .LBB10_226
	s_branch .LBB10_252
.LBB10_225:
	s_branch .LBB10_252
.LBB10_226:
	v_readfirstlane_b32 s4, v37
	v_cmp_eq_u32_e64 s[4:5], s4, v37
	v_pk_mov_b32 v[10:11], 0, 0
	s_and_saveexec_b64 s[6:7], s[4:5]
	s_cbranch_execz .LBB10_232
; %bb.227:
	s_waitcnt vmcnt(0)
	v_mov_b32_e32 v2, 0
	global_load_dwordx2 v[8:9], v2, s[10:11] offset:24 glc
	s_waitcnt vmcnt(0)
	buffer_invl2
	buffer_wbinvl1_vol
	global_load_dwordx2 v[6:7], v2, s[10:11] offset:40
	global_load_dwordx2 v[10:11], v2, s[10:11]
	s_waitcnt vmcnt(1)
	v_and_b32_e32 v3, v6, v8
	v_and_b32_e32 v6, v7, v9
	v_mul_lo_u32 v6, v6, 24
	v_mul_hi_u32 v7, v3, 24
	v_mul_lo_u32 v3, v3, 24
	v_add_u32_e32 v7, v7, v6
	s_waitcnt vmcnt(0)
	v_add_co_u32_e32 v6, vcc, v10, v3
	v_addc_co_u32_e32 v7, vcc, v11, v7, vcc
	global_load_dwordx2 v[6:7], v[6:7], off glc
	s_waitcnt vmcnt(0)
	global_atomic_cmpswap_x2 v[10:11], v2, v[6:9], s[10:11] offset:24 glc
	s_waitcnt vmcnt(0)
	buffer_invl2
	buffer_wbinvl1_vol
	v_cmp_ne_u64_e32 vcc, v[10:11], v[8:9]
	s_and_saveexec_b64 s[12:13], vcc
	s_cbranch_execz .LBB10_231
; %bb.228:
	s_mov_b64 s[14:15], 0
.LBB10_229:                             ; =>This Inner Loop Header: Depth=1
	s_sleep 1
	global_load_dwordx2 v[6:7], v2, s[10:11] offset:40
	global_load_dwordx2 v[12:13], v2, s[10:11]
	v_pk_mov_b32 v[8:9], v[10:11], v[10:11] op_sel:[0,1]
	s_waitcnt vmcnt(1)
	v_and_b32_e32 v6, v6, v8
	v_and_b32_e32 v3, v7, v9
	s_waitcnt vmcnt(0)
	v_mad_u64_u32 v[6:7], s[16:17], v6, 24, v[12:13]
	v_mov_b32_e32 v10, v7
	v_mad_u64_u32 v[10:11], s[16:17], v3, 24, v[10:11]
	v_mov_b32_e32 v7, v10
	global_load_dwordx2 v[6:7], v[6:7], off glc
	s_waitcnt vmcnt(0)
	global_atomic_cmpswap_x2 v[10:11], v2, v[6:9], s[10:11] offset:24 glc
	s_waitcnt vmcnt(0)
	buffer_invl2
	buffer_wbinvl1_vol
	v_cmp_eq_u64_e32 vcc, v[10:11], v[8:9]
	s_or_b64 s[14:15], vcc, s[14:15]
	s_andn2_b64 exec, exec, s[14:15]
	s_cbranch_execnz .LBB10_229
; %bb.230:
	s_or_b64 exec, exec, s[14:15]
.LBB10_231:
	s_or_b64 exec, exec, s[12:13]
.LBB10_232:
	s_or_b64 exec, exec, s[6:7]
	s_waitcnt vmcnt(0)
	v_mov_b32_e32 v2, 0
	global_load_dwordx2 v[12:13], v2, s[10:11] offset:40
	global_load_dwordx4 v[6:9], v2, s[10:11]
	v_readfirstlane_b32 s6, v10
	v_readfirstlane_b32 s7, v11
	s_mov_b64 s[12:13], exec
	s_waitcnt vmcnt(1)
	v_readfirstlane_b32 s14, v12
	v_readfirstlane_b32 s15, v13
	s_and_b64 s[14:15], s[6:7], s[14:15]
	s_mul_i32 s16, s15, 24
	s_mul_hi_u32 s17, s14, 24
	s_mul_i32 s18, s14, 24
	s_add_i32 s16, s17, s16
	v_mov_b32_e32 v3, s16
	s_waitcnt vmcnt(0)
	v_add_co_u32_e32 v10, vcc, s18, v6
	v_addc_co_u32_e32 v11, vcc, v7, v3, vcc
	s_and_saveexec_b64 s[16:17], s[4:5]
	s_cbranch_execz .LBB10_234
; %bb.233:
	v_pk_mov_b32 v[12:13], s[12:13], s[12:13] op_sel:[0,1]
	v_mov_b32_e32 v14, 2
	v_mov_b32_e32 v15, 1
	global_store_dwordx4 v[10:11], v[12:15], off offset:8
.LBB10_234:
	s_or_b64 exec, exec, s[16:17]
	s_lshl_b64 s[12:13], s[14:15], 12
	v_mov_b32_e32 v3, s13
	v_add_co_u32_e32 v12, vcc, s12, v8
	s_movk_i32 s12, 0xff1f
	v_addc_co_u32_e32 v13, vcc, v9, v3, vcc
	v_and_or_b32 v0, v0, s12, 32
	s_mov_b32 s12, 0
	v_mov_b32_e32 v3, v2
	v_readfirstlane_b32 s16, v12
	v_readfirstlane_b32 s17, v13
	s_mov_b32 s13, s12
	v_add_co_u32_e32 v8, vcc, v12, v36
	s_mov_b32 s14, s12
	s_mov_b32 s15, s12
	s_nop 0
	global_store_dwordx4 v36, v[0:3], s[16:17]
	v_addc_co_u32_e32 v9, vcc, 0, v13, vcc
	v_pk_mov_b32 v[0:1], s[12:13], s[12:13] op_sel:[0,1]
	v_pk_mov_b32 v[2:3], s[14:15], s[14:15] op_sel:[0,1]
	global_store_dwordx4 v36, v[0:3], s[16:17] offset:16
	global_store_dwordx4 v36, v[0:3], s[16:17] offset:32
	;; [unrolled: 1-line block ×3, first 2 shown]
	s_and_saveexec_b64 s[12:13], s[4:5]
	s_cbranch_execz .LBB10_242
; %bb.235:
	v_mov_b32_e32 v12, 0
	global_load_dwordx2 v[16:17], v12, s[10:11] offset:32 glc
	global_load_dwordx2 v[0:1], v12, s[10:11] offset:40
	v_mov_b32_e32 v14, s6
	v_mov_b32_e32 v15, s7
	s_waitcnt vmcnt(0)
	v_readfirstlane_b32 s14, v0
	v_readfirstlane_b32 s15, v1
	s_and_b64 s[14:15], s[14:15], s[6:7]
	s_mul_i32 s15, s15, 24
	s_mul_hi_u32 s16, s14, 24
	s_mul_i32 s14, s14, 24
	s_add_i32 s15, s16, s15
	v_mov_b32_e32 v0, s15
	v_add_co_u32_e32 v6, vcc, s14, v6
	v_addc_co_u32_e32 v7, vcc, v7, v0, vcc
	global_store_dwordx2 v[6:7], v[16:17], off
	buffer_wbl2
	s_waitcnt vmcnt(0)
	global_atomic_cmpswap_x2 v[2:3], v12, v[14:17], s[10:11] offset:32 glc
	s_waitcnt vmcnt(0)
	v_cmp_ne_u64_e32 vcc, v[2:3], v[16:17]
	s_and_saveexec_b64 s[14:15], vcc
	s_cbranch_execz .LBB10_238
; %bb.236:
	s_mov_b64 s[16:17], 0
.LBB10_237:                             ; =>This Inner Loop Header: Depth=1
	s_sleep 1
	global_store_dwordx2 v[6:7], v[2:3], off
	v_mov_b32_e32 v0, s6
	v_mov_b32_e32 v1, s7
	buffer_wbl2
	s_waitcnt vmcnt(0)
	global_atomic_cmpswap_x2 v[0:1], v12, v[0:3], s[10:11] offset:32 glc
	s_waitcnt vmcnt(0)
	v_cmp_eq_u64_e32 vcc, v[0:1], v[2:3]
	s_or_b64 s[16:17], vcc, s[16:17]
	v_pk_mov_b32 v[2:3], v[0:1], v[0:1] op_sel:[0,1]
	s_andn2_b64 exec, exec, s[16:17]
	s_cbranch_execnz .LBB10_237
.LBB10_238:
	s_or_b64 exec, exec, s[14:15]
	v_mov_b32_e32 v3, 0
	global_load_dwordx2 v[0:1], v3, s[10:11] offset:16
	s_mov_b64 s[14:15], exec
	v_mbcnt_lo_u32_b32 v2, s14, 0
	v_mbcnt_hi_u32_b32 v2, s15, v2
	v_cmp_eq_u32_e32 vcc, 0, v2
	s_and_saveexec_b64 s[16:17], vcc
	s_cbranch_execz .LBB10_240
; %bb.239:
	s_bcnt1_i32_b64 s14, s[14:15]
	v_mov_b32_e32 v2, s14
	buffer_wbl2
	s_waitcnt vmcnt(0)
	global_atomic_add_x2 v[0:1], v[2:3], off offset:8
.LBB10_240:
	s_or_b64 exec, exec, s[16:17]
	s_waitcnt vmcnt(0)
	global_load_dwordx2 v[2:3], v[0:1], off offset:16
	s_waitcnt vmcnt(0)
	v_cmp_eq_u64_e32 vcc, 0, v[2:3]
	s_cbranch_vccnz .LBB10_242
; %bb.241:
	global_load_dword v0, v[0:1], off offset:24
	v_mov_b32_e32 v1, 0
	buffer_wbl2
	s_waitcnt vmcnt(0)
	global_store_dwordx2 v[2:3], v[0:1], off
	v_and_b32_e32 v0, 0xffffff, v0
	v_readfirstlane_b32 m0, v0
	s_sendmsg sendmsg(MSG_INTERRUPT)
.LBB10_242:
	s_or_b64 exec, exec, s[12:13]
	s_branch .LBB10_246
.LBB10_243:                             ;   in Loop: Header=BB10_246 Depth=1
	s_or_b64 exec, exec, s[12:13]
	v_readfirstlane_b32 s12, v0
	s_cmp_eq_u32 s12, 0
	s_cbranch_scc1 .LBB10_245
; %bb.244:                              ;   in Loop: Header=BB10_246 Depth=1
	s_sleep 1
	s_cbranch_execnz .LBB10_246
	s_branch .LBB10_248
.LBB10_245:
	s_branch .LBB10_248
.LBB10_246:                             ; =>This Inner Loop Header: Depth=1
	v_mov_b32_e32 v0, 1
	s_and_saveexec_b64 s[12:13], s[4:5]
	s_cbranch_execz .LBB10_243
; %bb.247:                              ;   in Loop: Header=BB10_246 Depth=1
	global_load_dword v0, v[10:11], off offset:20 glc
	s_waitcnt vmcnt(0)
	buffer_invl2
	buffer_wbinvl1_vol
	v_and_b32_e32 v0, 1, v0
	s_branch .LBB10_243
.LBB10_248:
	global_load_dwordx2 v[6:7], v[8:9], off
	s_and_saveexec_b64 s[12:13], s[4:5]
	s_cbranch_execz .LBB10_251
; %bb.249:
	v_mov_b32_e32 v10, 0
	global_load_dwordx2 v[8:9], v10, s[10:11] offset:40
	global_load_dwordx2 v[12:13], v10, s[10:11] offset:24 glc
	global_load_dwordx2 v[14:15], v10, s[10:11]
	v_mov_b32_e32 v1, s7
	s_mov_b64 s[4:5], 0
	s_waitcnt vmcnt(2)
	v_add_co_u32_e32 v3, vcc, 1, v8
	v_addc_co_u32_e32 v11, vcc, 0, v9, vcc
	v_add_co_u32_e32 v0, vcc, s6, v3
	v_addc_co_u32_e32 v1, vcc, v11, v1, vcc
	v_cmp_eq_u64_e32 vcc, 0, v[0:1]
	v_cndmask_b32_e32 v1, v1, v11, vcc
	v_cndmask_b32_e32 v0, v0, v3, vcc
	v_and_b32_e32 v3, v1, v9
	v_and_b32_e32 v8, v0, v8
	v_mul_lo_u32 v3, v3, 24
	v_mul_hi_u32 v9, v8, 24
	v_mul_lo_u32 v8, v8, 24
	v_add_u32_e32 v3, v9, v3
	s_waitcnt vmcnt(0)
	v_add_co_u32_e32 v8, vcc, v14, v8
	v_addc_co_u32_e32 v9, vcc, v15, v3, vcc
	v_mov_b32_e32 v2, v12
	global_store_dwordx2 v[8:9], v[12:13], off
	v_mov_b32_e32 v3, v13
	buffer_wbl2
	s_waitcnt vmcnt(0)
	global_atomic_cmpswap_x2 v[2:3], v10, v[0:3], s[10:11] offset:24 glc
	s_waitcnt vmcnt(0)
	v_cmp_ne_u64_e32 vcc, v[2:3], v[12:13]
	s_and_b64 exec, exec, vcc
	s_cbranch_execz .LBB10_251
.LBB10_250:                             ; =>This Inner Loop Header: Depth=1
	s_sleep 1
	global_store_dwordx2 v[8:9], v[2:3], off
	buffer_wbl2
	s_waitcnt vmcnt(0)
	global_atomic_cmpswap_x2 v[12:13], v10, v[0:3], s[10:11] offset:24 glc
	s_waitcnt vmcnt(0)
	v_cmp_eq_u64_e32 vcc, v[12:13], v[2:3]
	s_or_b64 s[4:5], vcc, s[4:5]
	v_pk_mov_b32 v[2:3], v[12:13], v[12:13] op_sel:[0,1]
	s_andn2_b64 exec, exec, s[4:5]
	s_cbranch_execnz .LBB10_250
.LBB10_251:
	s_or_b64 exec, exec, s[12:13]
.LBB10_252:
	v_readfirstlane_b32 s4, v37
	v_cmp_eq_u32_e64 s[4:5], s4, v37
	v_pk_mov_b32 v[10:11], 0, 0
	s_and_saveexec_b64 s[6:7], s[4:5]
	s_cbranch_execz .LBB10_258
; %bb.253:
	s_waitcnt vmcnt(0)
	v_mov_b32_e32 v0, 0
	global_load_dwordx2 v[12:13], v0, s[10:11] offset:24 glc
	s_waitcnt vmcnt(0)
	buffer_invl2
	buffer_wbinvl1_vol
	global_load_dwordx2 v[2:3], v0, s[10:11] offset:40
	global_load_dwordx2 v[8:9], v0, s[10:11]
	s_waitcnt vmcnt(1)
	v_and_b32_e32 v1, v2, v12
	v_and_b32_e32 v2, v3, v13
	v_mul_lo_u32 v2, v2, 24
	v_mul_hi_u32 v3, v1, 24
	v_mul_lo_u32 v1, v1, 24
	v_add_u32_e32 v3, v3, v2
	s_waitcnt vmcnt(0)
	v_add_co_u32_e32 v2, vcc, v8, v1
	v_addc_co_u32_e32 v3, vcc, v9, v3, vcc
	global_load_dwordx2 v[10:11], v[2:3], off glc
	s_waitcnt vmcnt(0)
	global_atomic_cmpswap_x2 v[10:11], v0, v[10:13], s[10:11] offset:24 glc
	s_waitcnt vmcnt(0)
	buffer_invl2
	buffer_wbinvl1_vol
	v_cmp_ne_u64_e32 vcc, v[10:11], v[12:13]
	s_and_saveexec_b64 s[12:13], vcc
	s_cbranch_execz .LBB10_257
; %bb.254:
	s_mov_b64 s[14:15], 0
.LBB10_255:                             ; =>This Inner Loop Header: Depth=1
	s_sleep 1
	global_load_dwordx2 v[2:3], v0, s[10:11] offset:40
	global_load_dwordx2 v[8:9], v0, s[10:11]
	v_pk_mov_b32 v[12:13], v[10:11], v[10:11] op_sel:[0,1]
	s_waitcnt vmcnt(1)
	v_and_b32_e32 v2, v2, v12
	v_and_b32_e32 v1, v3, v13
	s_waitcnt vmcnt(0)
	v_mad_u64_u32 v[2:3], s[16:17], v2, 24, v[8:9]
	v_mov_b32_e32 v8, v3
	v_mad_u64_u32 v[8:9], s[16:17], v1, 24, v[8:9]
	v_mov_b32_e32 v3, v8
	global_load_dwordx2 v[10:11], v[2:3], off glc
	s_waitcnt vmcnt(0)
	global_atomic_cmpswap_x2 v[10:11], v0, v[10:13], s[10:11] offset:24 glc
	s_waitcnt vmcnt(0)
	buffer_invl2
	buffer_wbinvl1_vol
	v_cmp_eq_u64_e32 vcc, v[10:11], v[12:13]
	s_or_b64 s[14:15], vcc, s[14:15]
	s_andn2_b64 exec, exec, s[14:15]
	s_cbranch_execnz .LBB10_255
; %bb.256:
	s_or_b64 exec, exec, s[14:15]
.LBB10_257:
	s_or_b64 exec, exec, s[12:13]
.LBB10_258:
	s_or_b64 exec, exec, s[6:7]
	s_waitcnt vmcnt(0)
	v_mov_b32_e32 v9, 0
	global_load_dwordx2 v[12:13], v9, s[10:11] offset:40
	global_load_dwordx4 v[0:3], v9, s[10:11]
	v_readfirstlane_b32 s6, v10
	v_readfirstlane_b32 s7, v11
	s_mov_b64 s[12:13], exec
	s_waitcnt vmcnt(1)
	v_readfirstlane_b32 s14, v12
	v_readfirstlane_b32 s15, v13
	s_and_b64 s[14:15], s[6:7], s[14:15]
	s_mul_i32 s16, s15, 24
	s_mul_hi_u32 s17, s14, 24
	s_mul_i32 s18, s14, 24
	s_add_i32 s16, s17, s16
	v_mov_b32_e32 v8, s16
	s_waitcnt vmcnt(0)
	v_add_co_u32_e32 v10, vcc, s18, v0
	v_addc_co_u32_e32 v11, vcc, v1, v8, vcc
	s_and_saveexec_b64 s[16:17], s[4:5]
	s_cbranch_execz .LBB10_260
; %bb.259:
	v_pk_mov_b32 v[12:13], s[12:13], s[12:13] op_sel:[0,1]
	v_mov_b32_e32 v14, 2
	v_mov_b32_e32 v15, 1
	global_store_dwordx4 v[10:11], v[12:15], off offset:8
.LBB10_260:
	s_or_b64 exec, exec, s[16:17]
	s_lshl_b64 s[12:13], s[14:15], 12
	v_mov_b32_e32 v8, s13
	v_add_co_u32_e32 v2, vcc, s12, v2
	s_movk_i32 s12, 0xff1f
	v_addc_co_u32_e32 v3, vcc, v3, v8, vcc
	v_and_or_b32 v6, v6, s12, 32
	s_mov_b32 s12, 0
	v_mov_b32_e32 v8, 0x385
	v_readfirstlane_b32 s16, v2
	v_readfirstlane_b32 s17, v3
	s_mov_b32 s13, s12
	v_add_co_u32_e32 v12, vcc, v2, v36
	s_mov_b32 s14, s12
	s_mov_b32 s15, s12
	s_nop 0
	global_store_dwordx4 v36, v[6:9], s[16:17]
	v_addc_co_u32_e32 v13, vcc, 0, v3, vcc
	v_pk_mov_b32 v[6:7], s[12:13], s[12:13] op_sel:[0,1]
	v_pk_mov_b32 v[8:9], s[14:15], s[14:15] op_sel:[0,1]
	global_store_dwordx4 v36, v[6:9], s[16:17] offset:16
	global_store_dwordx4 v36, v[6:9], s[16:17] offset:32
	;; [unrolled: 1-line block ×3, first 2 shown]
	s_and_saveexec_b64 s[12:13], s[4:5]
	s_cbranch_execz .LBB10_268
; %bb.261:
	v_mov_b32_e32 v8, 0
	global_load_dwordx2 v[16:17], v8, s[10:11] offset:32 glc
	global_load_dwordx2 v[2:3], v8, s[10:11] offset:40
	v_mov_b32_e32 v14, s6
	v_mov_b32_e32 v15, s7
	s_waitcnt vmcnt(0)
	v_readfirstlane_b32 s14, v2
	v_readfirstlane_b32 s15, v3
	s_and_b64 s[14:15], s[14:15], s[6:7]
	s_mul_i32 s15, s15, 24
	s_mul_hi_u32 s16, s14, 24
	s_mul_i32 s14, s14, 24
	s_add_i32 s15, s16, s15
	v_mov_b32_e32 v2, s15
	v_add_co_u32_e32 v6, vcc, s14, v0
	v_addc_co_u32_e32 v7, vcc, v1, v2, vcc
	global_store_dwordx2 v[6:7], v[16:17], off
	buffer_wbl2
	s_waitcnt vmcnt(0)
	global_atomic_cmpswap_x2 v[2:3], v8, v[14:17], s[10:11] offset:32 glc
	s_waitcnt vmcnt(0)
	v_cmp_ne_u64_e32 vcc, v[2:3], v[16:17]
	s_and_saveexec_b64 s[14:15], vcc
	s_cbranch_execz .LBB10_264
; %bb.262:
	s_mov_b64 s[16:17], 0
.LBB10_263:                             ; =>This Inner Loop Header: Depth=1
	s_sleep 1
	global_store_dwordx2 v[6:7], v[2:3], off
	v_mov_b32_e32 v0, s6
	v_mov_b32_e32 v1, s7
	buffer_wbl2
	s_waitcnt vmcnt(0)
	global_atomic_cmpswap_x2 v[0:1], v8, v[0:3], s[10:11] offset:32 glc
	s_waitcnt vmcnt(0)
	v_cmp_eq_u64_e32 vcc, v[0:1], v[2:3]
	s_or_b64 s[16:17], vcc, s[16:17]
	v_pk_mov_b32 v[2:3], v[0:1], v[0:1] op_sel:[0,1]
	s_andn2_b64 exec, exec, s[16:17]
	s_cbranch_execnz .LBB10_263
.LBB10_264:
	s_or_b64 exec, exec, s[14:15]
	v_mov_b32_e32 v3, 0
	global_load_dwordx2 v[0:1], v3, s[10:11] offset:16
	s_mov_b64 s[14:15], exec
	v_mbcnt_lo_u32_b32 v2, s14, 0
	v_mbcnt_hi_u32_b32 v2, s15, v2
	v_cmp_eq_u32_e32 vcc, 0, v2
	s_and_saveexec_b64 s[16:17], vcc
	s_cbranch_execz .LBB10_266
; %bb.265:
	s_bcnt1_i32_b64 s14, s[14:15]
	v_mov_b32_e32 v2, s14
	buffer_wbl2
	s_waitcnt vmcnt(0)
	global_atomic_add_x2 v[0:1], v[2:3], off offset:8
.LBB10_266:
	s_or_b64 exec, exec, s[16:17]
	s_waitcnt vmcnt(0)
	global_load_dwordx2 v[2:3], v[0:1], off offset:16
	s_waitcnt vmcnt(0)
	v_cmp_eq_u64_e32 vcc, 0, v[2:3]
	s_cbranch_vccnz .LBB10_268
; %bb.267:
	global_load_dword v0, v[0:1], off offset:24
	v_mov_b32_e32 v1, 0
	buffer_wbl2
	s_waitcnt vmcnt(0)
	global_store_dwordx2 v[2:3], v[0:1], off
	v_and_b32_e32 v0, 0xffffff, v0
	v_readfirstlane_b32 m0, v0
	s_sendmsg sendmsg(MSG_INTERRUPT)
.LBB10_268:
	s_or_b64 exec, exec, s[12:13]
	s_branch .LBB10_272
.LBB10_269:                             ;   in Loop: Header=BB10_272 Depth=1
	s_or_b64 exec, exec, s[12:13]
	v_readfirstlane_b32 s12, v0
	s_cmp_eq_u32 s12, 0
	s_cbranch_scc1 .LBB10_271
; %bb.270:                              ;   in Loop: Header=BB10_272 Depth=1
	s_sleep 1
	s_cbranch_execnz .LBB10_272
	s_branch .LBB10_274
.LBB10_271:
	s_branch .LBB10_274
.LBB10_272:                             ; =>This Inner Loop Header: Depth=1
	v_mov_b32_e32 v0, 1
	s_and_saveexec_b64 s[12:13], s[4:5]
	s_cbranch_execz .LBB10_269
; %bb.273:                              ;   in Loop: Header=BB10_272 Depth=1
	global_load_dword v0, v[10:11], off offset:20 glc
	s_waitcnt vmcnt(0)
	buffer_invl2
	buffer_wbinvl1_vol
	v_and_b32_e32 v0, 1, v0
	s_branch .LBB10_269
.LBB10_274:
	global_load_dwordx2 v[0:1], v[12:13], off
	s_and_saveexec_b64 s[12:13], s[4:5]
	s_cbranch_execz .LBB10_277
; %bb.275:
	v_mov_b32_e32 v10, 0
	global_load_dwordx2 v[2:3], v10, s[10:11] offset:40
	global_load_dwordx2 v[12:13], v10, s[10:11] offset:24 glc
	global_load_dwordx2 v[14:15], v10, s[10:11]
	v_mov_b32_e32 v7, s7
	s_mov_b64 s[4:5], 0
	s_waitcnt vmcnt(2)
	v_add_co_u32_e32 v9, vcc, 1, v2
	v_addc_co_u32_e32 v11, vcc, 0, v3, vcc
	v_add_co_u32_e32 v6, vcc, s6, v9
	v_addc_co_u32_e32 v7, vcc, v11, v7, vcc
	v_cmp_eq_u64_e32 vcc, 0, v[6:7]
	v_cndmask_b32_e32 v7, v7, v11, vcc
	v_cndmask_b32_e32 v6, v6, v9, vcc
	v_and_b32_e32 v3, v7, v3
	v_and_b32_e32 v2, v6, v2
	v_mul_lo_u32 v3, v3, 24
	v_mul_hi_u32 v9, v2, 24
	v_mul_lo_u32 v2, v2, 24
	v_add_u32_e32 v3, v9, v3
	s_waitcnt vmcnt(0)
	v_add_co_u32_e32 v2, vcc, v14, v2
	v_addc_co_u32_e32 v3, vcc, v15, v3, vcc
	v_mov_b32_e32 v8, v12
	global_store_dwordx2 v[2:3], v[12:13], off
	v_mov_b32_e32 v9, v13
	buffer_wbl2
	s_waitcnt vmcnt(0)
	global_atomic_cmpswap_x2 v[8:9], v10, v[6:9], s[10:11] offset:24 glc
	s_waitcnt vmcnt(0)
	v_cmp_ne_u64_e32 vcc, v[8:9], v[12:13]
	s_and_b64 exec, exec, vcc
	s_cbranch_execz .LBB10_277
.LBB10_276:                             ; =>This Inner Loop Header: Depth=1
	s_sleep 1
	global_store_dwordx2 v[2:3], v[8:9], off
	buffer_wbl2
	s_waitcnt vmcnt(0)
	global_atomic_cmpswap_x2 v[12:13], v10, v[6:9], s[10:11] offset:24 glc
	s_waitcnt vmcnt(0)
	v_cmp_eq_u64_e32 vcc, v[12:13], v[8:9]
	s_or_b64 s[4:5], vcc, s[4:5]
	v_pk_mov_b32 v[8:9], v[12:13], v[12:13] op_sel:[0,1]
	s_andn2_b64 exec, exec, s[4:5]
	s_cbranch_execnz .LBB10_276
.LBB10_277:
	s_or_b64 exec, exec, s[12:13]
	s_mov_b64 s[4:5], 0
	v_pk_mov_b32 v[6:7], v[4:5], v[4:5] op_sel:[0,1]
.LBB10_278:                             ; =>This Inner Loop Header: Depth=1
	flat_load_ubyte v8, v[6:7]
	v_add_co_u32_e32 v2, vcc, 1, v6
	v_addc_co_u32_e32 v3, vcc, 0, v7, vcc
	v_pk_mov_b32 v[6:7], v[2:3], v[2:3] op_sel:[0,1]
	s_waitcnt vmcnt(0) lgkmcnt(0)
	v_cmp_eq_u16_e32 vcc, 0, v8
	s_or_b64 s[4:5], vcc, s[4:5]
	s_andn2_b64 exec, exec, s[4:5]
	s_cbranch_execnz .LBB10_278
; %bb.279:
	s_or_b64 exec, exec, s[4:5]
	s_mov_b64 s[6:7], 0
	v_cmp_ne_u64_e32 vcc, 0, v[4:5]
	s_and_saveexec_b64 s[4:5], vcc
	s_xor_b64 s[12:13], exec, s[4:5]
	s_cbranch_execz .LBB10_365
; %bb.280:
	v_sub_u32_e32 v26, v2, v4
	v_ashrrev_i32_e32 v27, 31, v26
	v_and_b32_e32 v28, 2, v0
	v_mov_b32_e32 v31, 0
	v_and_b32_e32 v0, -3, v0
	s_mov_b32 s22, 0
	s_movk_i32 s23, 0xff1f
	v_mov_b32_e32 v8, 2
	v_mov_b32_e32 v9, 1
	s_branch .LBB10_282
.LBB10_281:                             ;   in Loop: Header=BB10_282 Depth=1
	s_or_b64 exec, exec, s[16:17]
	v_sub_co_u32_e32 v26, vcc, v26, v32
	v_subb_co_u32_e32 v27, vcc, v27, v33, vcc
	v_cmp_eq_u64_e32 vcc, 0, v[26:27]
	s_or_b64 s[6:7], vcc, s[6:7]
	v_add_co_u32_e32 v4, vcc, v4, v32
	v_addc_co_u32_e32 v5, vcc, v5, v33, vcc
	s_andn2_b64 exec, exec, s[6:7]
	s_cbranch_execz .LBB10_364
.LBB10_282:                             ; =>This Loop Header: Depth=1
                                        ;     Child Loop BB10_285 Depth 2
                                        ;     Child Loop BB10_293 Depth 2
	;; [unrolled: 1-line block ×11, first 2 shown]
	v_cmp_gt_u64_e32 vcc, 56, v[26:27]
	v_cndmask_b32_e32 v33, 0, v27, vcc
	v_cndmask_b32_e32 v32, 56, v26, vcc
	v_cmp_gt_u64_e32 vcc, 8, v[26:27]
                                        ; implicit-def: $vgpr2_vgpr3
                                        ; implicit-def: $sgpr14
	s_and_saveexec_b64 s[4:5], vcc
	s_xor_b64 s[4:5], exec, s[4:5]
	s_cbranch_execz .LBB10_288
; %bb.283:                              ;   in Loop: Header=BB10_282 Depth=1
	s_mov_b64 s[16:17], 0
	v_cmp_ne_u64_e32 vcc, 0, v[26:27]
	s_waitcnt vmcnt(0)
	v_pk_mov_b32 v[2:3], 0, 0
	s_and_saveexec_b64 s[14:15], vcc
	s_cbranch_execz .LBB10_287
; %bb.284:                              ;   in Loop: Header=BB10_282 Depth=1
	v_lshlrev_b64 v[6:7], 3, v[32:33]
	v_pk_mov_b32 v[2:3], 0, 0
	v_pk_mov_b32 v[10:11], v[4:5], v[4:5] op_sel:[0,1]
	s_mov_b64 s[18:19], 0
.LBB10_285:                             ;   Parent Loop BB10_282 Depth=1
                                        ; =>  This Inner Loop Header: Depth=2
	flat_load_ubyte v7, v[10:11]
	v_mov_b32_e32 v13, s22
	v_add_co_u32_e32 v10, vcc, 1, v10
	v_addc_co_u32_e32 v11, vcc, 0, v11, vcc
	s_waitcnt vmcnt(0) lgkmcnt(0)
	v_and_b32_e32 v12, 0xffff, v7
	v_lshlrev_b64 v[12:13], s18, v[12:13]
	s_add_u32 s18, s18, 8
	s_addc_u32 s19, s19, 0
	v_cmp_eq_u32_e32 vcc, s18, v6
	v_or_b32_e32 v3, v13, v3
	s_or_b64 s[16:17], vcc, s[16:17]
	v_or_b32_e32 v2, v12, v2
	s_andn2_b64 exec, exec, s[16:17]
	s_cbranch_execnz .LBB10_285
; %bb.286:                              ;   in Loop: Header=BB10_282 Depth=1
	s_or_b64 exec, exec, s[16:17]
.LBB10_287:                             ;   in Loop: Header=BB10_282 Depth=1
	s_or_b64 exec, exec, s[14:15]
	s_mov_b32 s14, 0
.LBB10_288:                             ;   in Loop: Header=BB10_282 Depth=1
	s_or_saveexec_b64 s[4:5], s[4:5]
	v_mov_b32_e32 v12, s14
	v_pk_mov_b32 v[6:7], v[4:5], v[4:5] op_sel:[0,1]
	s_xor_b64 exec, exec, s[4:5]
	s_cbranch_execz .LBB10_290
; %bb.289:                              ;   in Loop: Header=BB10_282 Depth=1
	s_waitcnt vmcnt(0)
	flat_load_dwordx2 v[2:3], v[4:5]
	v_add_u32_e32 v12, -8, v32
	s_waitcnt vmcnt(0) lgkmcnt(0)
	v_and_b32_e32 v6, 0xff, v3
	v_and_b32_e32 v7, 0xff00, v3
	;; [unrolled: 1-line block ×4, first 2 shown]
	v_or_b32_e32 v6, v6, v7
	v_or3_b32 v3, v6, v10, v3
	v_add_co_u32_e32 v6, vcc, 8, v4
	v_or3_b32 v2, v2, 0, 0
	v_addc_co_u32_e32 v7, vcc, 0, v5, vcc
.LBB10_290:                             ;   in Loop: Header=BB10_282 Depth=1
	s_or_b64 exec, exec, s[4:5]
	v_cmp_gt_u32_e32 vcc, 8, v12
                                        ; implicit-def: $vgpr10_vgpr11
                                        ; implicit-def: $sgpr14
	s_and_saveexec_b64 s[4:5], vcc
	s_xor_b64 s[4:5], exec, s[4:5]
	s_cbranch_execz .LBB10_296
; %bb.291:                              ;   in Loop: Header=BB10_282 Depth=1
	v_cmp_ne_u32_e32 vcc, 0, v12
	v_pk_mov_b32 v[10:11], 0, 0
	s_and_saveexec_b64 s[14:15], vcc
	s_cbranch_execz .LBB10_295
; %bb.292:                              ;   in Loop: Header=BB10_282 Depth=1
	s_mov_b64 s[16:17], 0
	v_pk_mov_b32 v[10:11], 0, 0
	s_mov_b64 s[18:19], 0
	s_mov_b64 s[20:21], 0
.LBB10_293:                             ;   Parent Loop BB10_282 Depth=1
                                        ; =>  This Inner Loop Header: Depth=2
	v_mov_b32_e32 v13, s21
	v_add_co_u32_e32 v14, vcc, s20, v6
	v_addc_co_u32_e32 v15, vcc, v7, v13, vcc
	flat_load_ubyte v13, v[14:15]
	s_add_u32 s20, s20, 1
	v_mov_b32_e32 v15, s22
	s_addc_u32 s21, s21, 0
	v_cmp_eq_u32_e32 vcc, s20, v12
	s_waitcnt vmcnt(0) lgkmcnt(0)
	v_and_b32_e32 v14, 0xffff, v13
	v_lshlrev_b64 v[14:15], s18, v[14:15]
	s_add_u32 s18, s18, 8
	s_addc_u32 s19, s19, 0
	v_or_b32_e32 v11, v15, v11
	s_or_b64 s[16:17], vcc, s[16:17]
	v_or_b32_e32 v10, v14, v10
	s_andn2_b64 exec, exec, s[16:17]
	s_cbranch_execnz .LBB10_293
; %bb.294:                              ;   in Loop: Header=BB10_282 Depth=1
	s_or_b64 exec, exec, s[16:17]
.LBB10_295:                             ;   in Loop: Header=BB10_282 Depth=1
	s_or_b64 exec, exec, s[14:15]
	s_mov_b32 s14, 0
                                        ; implicit-def: $vgpr12
.LBB10_296:                             ;   in Loop: Header=BB10_282 Depth=1
	s_or_saveexec_b64 s[4:5], s[4:5]
	v_mov_b32_e32 v14, s14
	s_xor_b64 exec, exec, s[4:5]
	s_cbranch_execz .LBB10_298
; %bb.297:                              ;   in Loop: Header=BB10_282 Depth=1
	flat_load_dwordx2 v[10:11], v[6:7]
	v_add_u32_e32 v14, -8, v12
	v_add_co_u32_e32 v6, vcc, 8, v6
	v_addc_co_u32_e32 v7, vcc, 0, v7, vcc
	s_waitcnt vmcnt(0) lgkmcnt(0)
	v_and_b32_e32 v12, 0xff, v11
	v_and_b32_e32 v13, 0xff00, v11
	v_and_b32_e32 v15, 0xff0000, v11
	v_and_b32_e32 v11, 0xff000000, v11
	v_or_b32_e32 v12, v12, v13
	v_or3_b32 v10, v10, 0, 0
	v_or3_b32 v11, v12, v15, v11
.LBB10_298:                             ;   in Loop: Header=BB10_282 Depth=1
	s_or_b64 exec, exec, s[4:5]
	v_cmp_gt_u32_e32 vcc, 8, v14
                                        ; implicit-def: $sgpr14
	s_and_saveexec_b64 s[4:5], vcc
	s_xor_b64 s[4:5], exec, s[4:5]
	s_cbranch_execz .LBB10_304
; %bb.299:                              ;   in Loop: Header=BB10_282 Depth=1
	v_cmp_ne_u32_e32 vcc, 0, v14
	v_pk_mov_b32 v[12:13], 0, 0
	s_and_saveexec_b64 s[14:15], vcc
	s_cbranch_execz .LBB10_303
; %bb.300:                              ;   in Loop: Header=BB10_282 Depth=1
	s_mov_b64 s[16:17], 0
	v_pk_mov_b32 v[12:13], 0, 0
	s_mov_b64 s[18:19], 0
	s_mov_b64 s[20:21], 0
.LBB10_301:                             ;   Parent Loop BB10_282 Depth=1
                                        ; =>  This Inner Loop Header: Depth=2
	v_mov_b32_e32 v15, s21
	v_add_co_u32_e32 v16, vcc, s20, v6
	v_addc_co_u32_e32 v17, vcc, v7, v15, vcc
	flat_load_ubyte v15, v[16:17]
	s_add_u32 s20, s20, 1
	v_mov_b32_e32 v17, s22
	s_addc_u32 s21, s21, 0
	v_cmp_eq_u32_e32 vcc, s20, v14
	s_waitcnt vmcnt(0) lgkmcnt(0)
	v_and_b32_e32 v16, 0xffff, v15
	v_lshlrev_b64 v[16:17], s18, v[16:17]
	s_add_u32 s18, s18, 8
	s_addc_u32 s19, s19, 0
	v_or_b32_e32 v13, v17, v13
	s_or_b64 s[16:17], vcc, s[16:17]
	v_or_b32_e32 v12, v16, v12
	s_andn2_b64 exec, exec, s[16:17]
	s_cbranch_execnz .LBB10_301
; %bb.302:                              ;   in Loop: Header=BB10_282 Depth=1
	s_or_b64 exec, exec, s[16:17]
.LBB10_303:                             ;   in Loop: Header=BB10_282 Depth=1
	s_or_b64 exec, exec, s[14:15]
	s_mov_b32 s14, 0
                                        ; implicit-def: $vgpr14
.LBB10_304:                             ;   in Loop: Header=BB10_282 Depth=1
	s_or_saveexec_b64 s[4:5], s[4:5]
	v_mov_b32_e32 v16, s14
	s_xor_b64 exec, exec, s[4:5]
	s_cbranch_execz .LBB10_306
; %bb.305:                              ;   in Loop: Header=BB10_282 Depth=1
	flat_load_dwordx2 v[12:13], v[6:7]
	v_add_u32_e32 v16, -8, v14
	v_add_co_u32_e32 v6, vcc, 8, v6
	v_addc_co_u32_e32 v7, vcc, 0, v7, vcc
	s_waitcnt vmcnt(0) lgkmcnt(0)
	v_and_b32_e32 v14, 0xff, v13
	v_and_b32_e32 v15, 0xff00, v13
	;; [unrolled: 1-line block ×4, first 2 shown]
	v_or_b32_e32 v14, v14, v15
	v_or3_b32 v12, v12, 0, 0
	v_or3_b32 v13, v14, v17, v13
.LBB10_306:                             ;   in Loop: Header=BB10_282 Depth=1
	s_or_b64 exec, exec, s[4:5]
	v_cmp_gt_u32_e32 vcc, 8, v16
                                        ; implicit-def: $vgpr14_vgpr15
                                        ; implicit-def: $sgpr14
	s_and_saveexec_b64 s[4:5], vcc
	s_xor_b64 s[4:5], exec, s[4:5]
	s_cbranch_execz .LBB10_312
; %bb.307:                              ;   in Loop: Header=BB10_282 Depth=1
	v_cmp_ne_u32_e32 vcc, 0, v16
	v_pk_mov_b32 v[14:15], 0, 0
	s_and_saveexec_b64 s[14:15], vcc
	s_cbranch_execz .LBB10_311
; %bb.308:                              ;   in Loop: Header=BB10_282 Depth=1
	s_mov_b64 s[16:17], 0
	v_pk_mov_b32 v[14:15], 0, 0
	s_mov_b64 s[18:19], 0
	s_mov_b64 s[20:21], 0
.LBB10_309:                             ;   Parent Loop BB10_282 Depth=1
                                        ; =>  This Inner Loop Header: Depth=2
	v_mov_b32_e32 v17, s21
	v_add_co_u32_e32 v18, vcc, s20, v6
	v_addc_co_u32_e32 v19, vcc, v7, v17, vcc
	flat_load_ubyte v17, v[18:19]
	s_add_u32 s20, s20, 1
	v_mov_b32_e32 v19, s22
	s_addc_u32 s21, s21, 0
	v_cmp_eq_u32_e32 vcc, s20, v16
	s_waitcnt vmcnt(0) lgkmcnt(0)
	v_and_b32_e32 v18, 0xffff, v17
	v_lshlrev_b64 v[18:19], s18, v[18:19]
	s_add_u32 s18, s18, 8
	s_addc_u32 s19, s19, 0
	v_or_b32_e32 v15, v19, v15
	s_or_b64 s[16:17], vcc, s[16:17]
	v_or_b32_e32 v14, v18, v14
	s_andn2_b64 exec, exec, s[16:17]
	s_cbranch_execnz .LBB10_309
; %bb.310:                              ;   in Loop: Header=BB10_282 Depth=1
	s_or_b64 exec, exec, s[16:17]
.LBB10_311:                             ;   in Loop: Header=BB10_282 Depth=1
	s_or_b64 exec, exec, s[14:15]
	s_mov_b32 s14, 0
                                        ; implicit-def: $vgpr16
.LBB10_312:                             ;   in Loop: Header=BB10_282 Depth=1
	s_or_saveexec_b64 s[4:5], s[4:5]
	v_mov_b32_e32 v18, s14
	s_xor_b64 exec, exec, s[4:5]
	s_cbranch_execz .LBB10_314
; %bb.313:                              ;   in Loop: Header=BB10_282 Depth=1
	flat_load_dwordx2 v[14:15], v[6:7]
	v_add_u32_e32 v18, -8, v16
	v_add_co_u32_e32 v6, vcc, 8, v6
	v_addc_co_u32_e32 v7, vcc, 0, v7, vcc
	s_waitcnt vmcnt(0) lgkmcnt(0)
	v_and_b32_e32 v16, 0xff, v15
	v_and_b32_e32 v17, 0xff00, v15
	;; [unrolled: 1-line block ×4, first 2 shown]
	v_or_b32_e32 v16, v16, v17
	v_or3_b32 v14, v14, 0, 0
	v_or3_b32 v15, v16, v19, v15
.LBB10_314:                             ;   in Loop: Header=BB10_282 Depth=1
	s_or_b64 exec, exec, s[4:5]
	v_cmp_gt_u32_e32 vcc, 8, v18
                                        ; implicit-def: $sgpr14
	s_and_saveexec_b64 s[4:5], vcc
	s_xor_b64 s[4:5], exec, s[4:5]
	s_cbranch_execz .LBB10_320
; %bb.315:                              ;   in Loop: Header=BB10_282 Depth=1
	v_cmp_ne_u32_e32 vcc, 0, v18
	v_pk_mov_b32 v[16:17], 0, 0
	s_and_saveexec_b64 s[14:15], vcc
	s_cbranch_execz .LBB10_319
; %bb.316:                              ;   in Loop: Header=BB10_282 Depth=1
	s_mov_b64 s[16:17], 0
	v_pk_mov_b32 v[16:17], 0, 0
	s_mov_b64 s[18:19], 0
	s_mov_b64 s[20:21], 0
.LBB10_317:                             ;   Parent Loop BB10_282 Depth=1
                                        ; =>  This Inner Loop Header: Depth=2
	v_mov_b32_e32 v19, s21
	v_add_co_u32_e32 v20, vcc, s20, v6
	v_addc_co_u32_e32 v21, vcc, v7, v19, vcc
	flat_load_ubyte v19, v[20:21]
	s_add_u32 s20, s20, 1
	v_mov_b32_e32 v21, s22
	s_addc_u32 s21, s21, 0
	v_cmp_eq_u32_e32 vcc, s20, v18
	s_waitcnt vmcnt(0) lgkmcnt(0)
	v_and_b32_e32 v20, 0xffff, v19
	v_lshlrev_b64 v[20:21], s18, v[20:21]
	s_add_u32 s18, s18, 8
	s_addc_u32 s19, s19, 0
	v_or_b32_e32 v17, v21, v17
	s_or_b64 s[16:17], vcc, s[16:17]
	v_or_b32_e32 v16, v20, v16
	s_andn2_b64 exec, exec, s[16:17]
	s_cbranch_execnz .LBB10_317
; %bb.318:                              ;   in Loop: Header=BB10_282 Depth=1
	s_or_b64 exec, exec, s[16:17]
.LBB10_319:                             ;   in Loop: Header=BB10_282 Depth=1
	s_or_b64 exec, exec, s[14:15]
	s_mov_b32 s14, 0
                                        ; implicit-def: $vgpr18
.LBB10_320:                             ;   in Loop: Header=BB10_282 Depth=1
	s_or_saveexec_b64 s[4:5], s[4:5]
	v_mov_b32_e32 v20, s14
	s_xor_b64 exec, exec, s[4:5]
	s_cbranch_execz .LBB10_322
; %bb.321:                              ;   in Loop: Header=BB10_282 Depth=1
	flat_load_dwordx2 v[16:17], v[6:7]
	v_add_u32_e32 v20, -8, v18
	v_add_co_u32_e32 v6, vcc, 8, v6
	v_addc_co_u32_e32 v7, vcc, 0, v7, vcc
	s_waitcnt vmcnt(0) lgkmcnt(0)
	v_and_b32_e32 v18, 0xff, v17
	v_and_b32_e32 v19, 0xff00, v17
	;; [unrolled: 1-line block ×4, first 2 shown]
	v_or_b32_e32 v18, v18, v19
	v_or3_b32 v16, v16, 0, 0
	v_or3_b32 v17, v18, v21, v17
.LBB10_322:                             ;   in Loop: Header=BB10_282 Depth=1
	s_or_b64 exec, exec, s[4:5]
	v_cmp_gt_u32_e32 vcc, 8, v20
                                        ; implicit-def: $vgpr18_vgpr19
                                        ; implicit-def: $sgpr14
	s_and_saveexec_b64 s[4:5], vcc
	s_xor_b64 s[4:5], exec, s[4:5]
	s_cbranch_execz .LBB10_328
; %bb.323:                              ;   in Loop: Header=BB10_282 Depth=1
	v_cmp_ne_u32_e32 vcc, 0, v20
	v_pk_mov_b32 v[18:19], 0, 0
	s_and_saveexec_b64 s[14:15], vcc
	s_cbranch_execz .LBB10_327
; %bb.324:                              ;   in Loop: Header=BB10_282 Depth=1
	s_mov_b64 s[16:17], 0
	v_pk_mov_b32 v[18:19], 0, 0
	s_mov_b64 s[18:19], 0
	s_mov_b64 s[20:21], 0
.LBB10_325:                             ;   Parent Loop BB10_282 Depth=1
                                        ; =>  This Inner Loop Header: Depth=2
	v_mov_b32_e32 v21, s21
	v_add_co_u32_e32 v22, vcc, s20, v6
	v_addc_co_u32_e32 v23, vcc, v7, v21, vcc
	flat_load_ubyte v21, v[22:23]
	s_add_u32 s20, s20, 1
	v_mov_b32_e32 v23, s22
	s_addc_u32 s21, s21, 0
	v_cmp_eq_u32_e32 vcc, s20, v20
	s_waitcnt vmcnt(0) lgkmcnt(0)
	v_and_b32_e32 v22, 0xffff, v21
	v_lshlrev_b64 v[22:23], s18, v[22:23]
	s_add_u32 s18, s18, 8
	s_addc_u32 s19, s19, 0
	v_or_b32_e32 v19, v23, v19
	s_or_b64 s[16:17], vcc, s[16:17]
	v_or_b32_e32 v18, v22, v18
	s_andn2_b64 exec, exec, s[16:17]
	s_cbranch_execnz .LBB10_325
; %bb.326:                              ;   in Loop: Header=BB10_282 Depth=1
	s_or_b64 exec, exec, s[16:17]
.LBB10_327:                             ;   in Loop: Header=BB10_282 Depth=1
	s_or_b64 exec, exec, s[14:15]
	s_mov_b32 s14, 0
                                        ; implicit-def: $vgpr20
.LBB10_328:                             ;   in Loop: Header=BB10_282 Depth=1
	s_or_saveexec_b64 s[4:5], s[4:5]
	v_mov_b32_e32 v22, s14
	s_xor_b64 exec, exec, s[4:5]
	s_cbranch_execz .LBB10_330
; %bb.329:                              ;   in Loop: Header=BB10_282 Depth=1
	flat_load_dwordx2 v[18:19], v[6:7]
	v_add_u32_e32 v22, -8, v20
	v_add_co_u32_e32 v6, vcc, 8, v6
	v_addc_co_u32_e32 v7, vcc, 0, v7, vcc
	s_waitcnt vmcnt(0) lgkmcnt(0)
	v_and_b32_e32 v20, 0xff, v19
	v_and_b32_e32 v21, 0xff00, v19
	;; [unrolled: 1-line block ×4, first 2 shown]
	v_or_b32_e32 v20, v20, v21
	v_or3_b32 v18, v18, 0, 0
	v_or3_b32 v19, v20, v23, v19
.LBB10_330:                             ;   in Loop: Header=BB10_282 Depth=1
	s_or_b64 exec, exec, s[4:5]
	v_cmp_gt_u32_e32 vcc, 8, v22
	s_and_saveexec_b64 s[4:5], vcc
	s_xor_b64 s[4:5], exec, s[4:5]
	s_cbranch_execz .LBB10_336
; %bb.331:                              ;   in Loop: Header=BB10_282 Depth=1
	v_cmp_ne_u32_e32 vcc, 0, v22
	v_pk_mov_b32 v[20:21], 0, 0
	s_and_saveexec_b64 s[14:15], vcc
	s_cbranch_execz .LBB10_335
; %bb.332:                              ;   in Loop: Header=BB10_282 Depth=1
	s_mov_b64 s[16:17], 0
	v_pk_mov_b32 v[20:21], 0, 0
	s_mov_b64 s[18:19], 0
.LBB10_333:                             ;   Parent Loop BB10_282 Depth=1
                                        ; =>  This Inner Loop Header: Depth=2
	flat_load_ubyte v23, v[6:7]
	v_mov_b32_e32 v25, s22
	v_add_co_u32_e32 v6, vcc, 1, v6
	v_add_u32_e32 v22, -1, v22
	v_addc_co_u32_e32 v7, vcc, 0, v7, vcc
	v_cmp_eq_u32_e32 vcc, 0, v22
	s_waitcnt vmcnt(0) lgkmcnt(0)
	v_and_b32_e32 v24, 0xffff, v23
	v_lshlrev_b64 v[24:25], s18, v[24:25]
	s_add_u32 s18, s18, 8
	s_addc_u32 s19, s19, 0
	v_or_b32_e32 v21, v25, v21
	s_or_b64 s[16:17], vcc, s[16:17]
	v_or_b32_e32 v20, v24, v20
	s_andn2_b64 exec, exec, s[16:17]
	s_cbranch_execnz .LBB10_333
; %bb.334:                              ;   in Loop: Header=BB10_282 Depth=1
	s_or_b64 exec, exec, s[16:17]
.LBB10_335:                             ;   in Loop: Header=BB10_282 Depth=1
	s_or_b64 exec, exec, s[14:15]
                                        ; implicit-def: $vgpr6_vgpr7
.LBB10_336:                             ;   in Loop: Header=BB10_282 Depth=1
	s_andn2_saveexec_b64 s[4:5], s[4:5]
	s_cbranch_execz .LBB10_338
; %bb.337:                              ;   in Loop: Header=BB10_282 Depth=1
	flat_load_dwordx2 v[6:7], v[6:7]
	s_waitcnt vmcnt(0) lgkmcnt(0)
	v_and_b32_e32 v20, 0xff, v7
	v_and_b32_e32 v21, 0xff00, v7
	v_and_b32_e32 v22, 0xff0000, v7
	v_and_b32_e32 v7, 0xff000000, v7
	v_or_b32_e32 v20, v20, v21
	v_or3_b32 v21, v20, v22, v7
	v_or3_b32 v20, v6, 0, 0
.LBB10_338:                             ;   in Loop: Header=BB10_282 Depth=1
	s_or_b64 exec, exec, s[4:5]
	v_readfirstlane_b32 s4, v37
	v_cmp_eq_u32_e64 s[4:5], s4, v37
	v_pk_mov_b32 v[6:7], 0, 0
	s_and_saveexec_b64 s[14:15], s[4:5]
	s_cbranch_execz .LBB10_344
; %bb.339:                              ;   in Loop: Header=BB10_282 Depth=1
	global_load_dwordx2 v[24:25], v31, s[10:11] offset:24 glc
	s_waitcnt vmcnt(0)
	buffer_invl2
	buffer_wbinvl1_vol
	global_load_dwordx2 v[6:7], v31, s[10:11] offset:40
	global_load_dwordx2 v[22:23], v31, s[10:11]
	s_waitcnt vmcnt(1)
	v_and_b32_e32 v6, v6, v24
	v_and_b32_e32 v7, v7, v25
	v_mul_lo_u32 v7, v7, 24
	v_mul_hi_u32 v29, v6, 24
	v_mul_lo_u32 v6, v6, 24
	v_add_u32_e32 v7, v29, v7
	s_waitcnt vmcnt(0)
	v_add_co_u32_e32 v6, vcc, v22, v6
	v_addc_co_u32_e32 v7, vcc, v23, v7, vcc
	global_load_dwordx2 v[22:23], v[6:7], off glc
	s_waitcnt vmcnt(0)
	global_atomic_cmpswap_x2 v[6:7], v31, v[22:25], s[10:11] offset:24 glc
	s_waitcnt vmcnt(0)
	buffer_invl2
	buffer_wbinvl1_vol
	v_cmp_ne_u64_e32 vcc, v[6:7], v[24:25]
	s_and_saveexec_b64 s[16:17], vcc
	s_cbranch_execz .LBB10_343
; %bb.340:                              ;   in Loop: Header=BB10_282 Depth=1
	s_mov_b64 s[18:19], 0
.LBB10_341:                             ;   Parent Loop BB10_282 Depth=1
                                        ; =>  This Inner Loop Header: Depth=2
	s_sleep 1
	global_load_dwordx2 v[22:23], v31, s[10:11] offset:40
	global_load_dwordx2 v[34:35], v31, s[10:11]
	v_pk_mov_b32 v[24:25], v[6:7], v[6:7] op_sel:[0,1]
	s_waitcnt vmcnt(1)
	v_and_b32_e32 v6, v22, v24
	s_waitcnt vmcnt(0)
	v_mad_u64_u32 v[6:7], s[20:21], v6, 24, v[34:35]
	v_and_b32_e32 v23, v23, v25
	v_mov_b32_e32 v22, v7
	v_mad_u64_u32 v[22:23], s[20:21], v23, 24, v[22:23]
	v_mov_b32_e32 v7, v22
	global_load_dwordx2 v[22:23], v[6:7], off glc
	s_waitcnt vmcnt(0)
	global_atomic_cmpswap_x2 v[6:7], v31, v[22:25], s[10:11] offset:24 glc
	s_waitcnt vmcnt(0)
	buffer_invl2
	buffer_wbinvl1_vol
	v_cmp_eq_u64_e32 vcc, v[6:7], v[24:25]
	s_or_b64 s[18:19], vcc, s[18:19]
	s_andn2_b64 exec, exec, s[18:19]
	s_cbranch_execnz .LBB10_341
; %bb.342:                              ;   in Loop: Header=BB10_282 Depth=1
	s_or_b64 exec, exec, s[18:19]
.LBB10_343:                             ;   in Loop: Header=BB10_282 Depth=1
	s_or_b64 exec, exec, s[16:17]
.LBB10_344:                             ;   in Loop: Header=BB10_282 Depth=1
	s_or_b64 exec, exec, s[14:15]
	global_load_dwordx2 v[34:35], v31, s[10:11] offset:40
	global_load_dwordx4 v[22:25], v31, s[10:11]
	v_readfirstlane_b32 s14, v6
	v_readfirstlane_b32 s15, v7
	s_mov_b64 s[16:17], exec
	s_waitcnt vmcnt(1)
	v_readfirstlane_b32 s18, v34
	v_readfirstlane_b32 s19, v35
	s_and_b64 s[18:19], s[14:15], s[18:19]
	s_mul_i32 s20, s19, 24
	s_mul_hi_u32 s21, s18, 24
	s_mul_i32 s24, s18, 24
	s_add_i32 s20, s21, s20
	v_mov_b32_e32 v6, s20
	s_waitcnt vmcnt(0)
	v_add_co_u32_e32 v34, vcc, s24, v22
	v_addc_co_u32_e32 v35, vcc, v23, v6, vcc
	s_and_saveexec_b64 s[20:21], s[4:5]
	s_cbranch_execz .LBB10_346
; %bb.345:                              ;   in Loop: Header=BB10_282 Depth=1
	v_pk_mov_b32 v[6:7], s[16:17], s[16:17] op_sel:[0,1]
	global_store_dwordx4 v[34:35], v[6:9], off offset:8
.LBB10_346:                             ;   in Loop: Header=BB10_282 Depth=1
	s_or_b64 exec, exec, s[20:21]
	s_lshl_b64 s[16:17], s[18:19], 12
	v_mov_b32_e32 v7, s17
	v_add_co_u32_e32 v6, vcc, s16, v24
	v_addc_co_u32_e32 v7, vcc, v25, v7, vcc
	v_or_b32_e32 v24, 0, v1
	v_cmp_lt_u64_e32 vcc, 56, v[26:27]
	v_or_b32_e32 v25, v0, v28
	v_cndmask_b32_e32 v1, v24, v1, vcc
	v_lshl_add_u32 v24, v32, 2, 28
	v_cndmask_b32_e32 v0, v25, v0, vcc
	v_and_b32_e32 v24, 0x1e0, v24
	v_and_or_b32 v0, v0, s23, v24
	v_readfirstlane_b32 s16, v6
	v_readfirstlane_b32 s17, v7
	s_nop 4
	global_store_dwordx4 v36, v[0:3], s[16:17]
	global_store_dwordx4 v36, v[10:13], s[16:17] offset:16
	global_store_dwordx4 v36, v[14:17], s[16:17] offset:32
	;; [unrolled: 1-line block ×3, first 2 shown]
	s_and_saveexec_b64 s[16:17], s[4:5]
	s_cbranch_execz .LBB10_354
; %bb.347:                              ;   in Loop: Header=BB10_282 Depth=1
	global_load_dwordx2 v[14:15], v31, s[10:11] offset:32 glc
	global_load_dwordx2 v[0:1], v31, s[10:11] offset:40
	v_mov_b32_e32 v12, s14
	v_mov_b32_e32 v13, s15
	s_waitcnt vmcnt(0)
	v_readfirstlane_b32 s18, v0
	v_readfirstlane_b32 s19, v1
	s_and_b64 s[18:19], s[18:19], s[14:15]
	s_mul_i32 s19, s19, 24
	s_mul_hi_u32 s20, s18, 24
	s_mul_i32 s18, s18, 24
	s_add_i32 s19, s20, s19
	v_mov_b32_e32 v0, s19
	v_add_co_u32_e32 v10, vcc, s18, v22
	v_addc_co_u32_e32 v11, vcc, v23, v0, vcc
	global_store_dwordx2 v[10:11], v[14:15], off
	buffer_wbl2
	s_waitcnt vmcnt(0)
	global_atomic_cmpswap_x2 v[2:3], v31, v[12:15], s[10:11] offset:32 glc
	s_waitcnt vmcnt(0)
	v_cmp_ne_u64_e32 vcc, v[2:3], v[14:15]
	s_and_saveexec_b64 s[18:19], vcc
	s_cbranch_execz .LBB10_350
; %bb.348:                              ;   in Loop: Header=BB10_282 Depth=1
	s_mov_b64 s[20:21], 0
.LBB10_349:                             ;   Parent Loop BB10_282 Depth=1
                                        ; =>  This Inner Loop Header: Depth=2
	s_sleep 1
	global_store_dwordx2 v[10:11], v[2:3], off
	v_mov_b32_e32 v0, s14
	v_mov_b32_e32 v1, s15
	buffer_wbl2
	s_waitcnt vmcnt(0)
	global_atomic_cmpswap_x2 v[0:1], v31, v[0:3], s[10:11] offset:32 glc
	s_waitcnt vmcnt(0)
	v_cmp_eq_u64_e32 vcc, v[0:1], v[2:3]
	s_or_b64 s[20:21], vcc, s[20:21]
	v_pk_mov_b32 v[2:3], v[0:1], v[0:1] op_sel:[0,1]
	s_andn2_b64 exec, exec, s[20:21]
	s_cbranch_execnz .LBB10_349
.LBB10_350:                             ;   in Loop: Header=BB10_282 Depth=1
	s_or_b64 exec, exec, s[18:19]
	global_load_dwordx2 v[0:1], v31, s[10:11] offset:16
	s_mov_b64 s[20:21], exec
	v_mbcnt_lo_u32_b32 v2, s20, 0
	v_mbcnt_hi_u32_b32 v2, s21, v2
	v_cmp_eq_u32_e32 vcc, 0, v2
	s_and_saveexec_b64 s[18:19], vcc
	s_cbranch_execz .LBB10_352
; %bb.351:                              ;   in Loop: Header=BB10_282 Depth=1
	s_bcnt1_i32_b64 s20, s[20:21]
	v_mov_b32_e32 v30, s20
	buffer_wbl2
	s_waitcnt vmcnt(0)
	global_atomic_add_x2 v[0:1], v[30:31], off offset:8
.LBB10_352:                             ;   in Loop: Header=BB10_282 Depth=1
	s_or_b64 exec, exec, s[18:19]
	s_waitcnt vmcnt(0)
	global_load_dwordx2 v[2:3], v[0:1], off offset:16
	s_waitcnt vmcnt(0)
	v_cmp_eq_u64_e32 vcc, 0, v[2:3]
	s_cbranch_vccnz .LBB10_354
; %bb.353:                              ;   in Loop: Header=BB10_282 Depth=1
	global_load_dword v30, v[0:1], off offset:24
	s_waitcnt vmcnt(0)
	v_and_b32_e32 v0, 0xffffff, v30
	v_readfirstlane_b32 m0, v0
	buffer_wbl2
	global_store_dwordx2 v[2:3], v[30:31], off
	s_sendmsg sendmsg(MSG_INTERRUPT)
.LBB10_354:                             ;   in Loop: Header=BB10_282 Depth=1
	s_or_b64 exec, exec, s[16:17]
	v_add_co_u32_e32 v0, vcc, v6, v36
	v_addc_co_u32_e32 v1, vcc, 0, v7, vcc
	s_branch .LBB10_358
.LBB10_355:                             ;   in Loop: Header=BB10_358 Depth=2
	s_or_b64 exec, exec, s[16:17]
	v_readfirstlane_b32 s16, v2
	s_cmp_eq_u32 s16, 0
	s_cbranch_scc1 .LBB10_357
; %bb.356:                              ;   in Loop: Header=BB10_358 Depth=2
	s_sleep 1
	s_cbranch_execnz .LBB10_358
	s_branch .LBB10_360
.LBB10_357:                             ;   in Loop: Header=BB10_282 Depth=1
	s_branch .LBB10_360
.LBB10_358:                             ;   Parent Loop BB10_282 Depth=1
                                        ; =>  This Inner Loop Header: Depth=2
	v_mov_b32_e32 v2, 1
	s_and_saveexec_b64 s[16:17], s[4:5]
	s_cbranch_execz .LBB10_355
; %bb.359:                              ;   in Loop: Header=BB10_358 Depth=2
	global_load_dword v2, v[34:35], off offset:20 glc
	s_waitcnt vmcnt(0)
	buffer_invl2
	buffer_wbinvl1_vol
	v_and_b32_e32 v2, 1, v2
	s_branch .LBB10_355
.LBB10_360:                             ;   in Loop: Header=BB10_282 Depth=1
	global_load_dwordx4 v[0:3], v[0:1], off
	s_and_saveexec_b64 s[16:17], s[4:5]
	s_cbranch_execz .LBB10_281
; %bb.361:                              ;   in Loop: Header=BB10_282 Depth=1
	global_load_dwordx2 v[2:3], v31, s[10:11] offset:40
	global_load_dwordx2 v[6:7], v31, s[10:11] offset:24 glc
	global_load_dwordx2 v[14:15], v31, s[10:11]
	v_mov_b32_e32 v11, s15
	s_waitcnt vmcnt(2)
	v_add_co_u32_e32 v13, vcc, 1, v2
	v_addc_co_u32_e32 v16, vcc, 0, v3, vcc
	v_add_co_u32_e32 v10, vcc, s14, v13
	v_addc_co_u32_e32 v11, vcc, v16, v11, vcc
	v_cmp_eq_u64_e32 vcc, 0, v[10:11]
	v_cndmask_b32_e32 v11, v11, v16, vcc
	v_cndmask_b32_e32 v10, v10, v13, vcc
	v_and_b32_e32 v3, v11, v3
	v_and_b32_e32 v2, v10, v2
	v_mul_lo_u32 v3, v3, 24
	v_mul_hi_u32 v13, v2, 24
	v_mul_lo_u32 v2, v2, 24
	v_add_u32_e32 v3, v13, v3
	s_waitcnt vmcnt(0)
	v_add_co_u32_e32 v2, vcc, v14, v2
	v_addc_co_u32_e32 v3, vcc, v15, v3, vcc
	v_mov_b32_e32 v12, v6
	global_store_dwordx2 v[2:3], v[6:7], off
	v_mov_b32_e32 v13, v7
	buffer_wbl2
	s_waitcnt vmcnt(0)
	global_atomic_cmpswap_x2 v[12:13], v31, v[10:13], s[10:11] offset:24 glc
	s_waitcnt vmcnt(0)
	v_cmp_ne_u64_e32 vcc, v[12:13], v[6:7]
	s_and_b64 exec, exec, vcc
	s_cbranch_execz .LBB10_281
; %bb.362:                              ;   in Loop: Header=BB10_282 Depth=1
	s_mov_b64 s[4:5], 0
.LBB10_363:                             ;   Parent Loop BB10_282 Depth=1
                                        ; =>  This Inner Loop Header: Depth=2
	s_sleep 1
	global_store_dwordx2 v[2:3], v[12:13], off
	buffer_wbl2
	s_waitcnt vmcnt(0)
	global_atomic_cmpswap_x2 v[6:7], v31, v[10:13], s[10:11] offset:24 glc
	s_waitcnt vmcnt(0)
	v_cmp_eq_u64_e32 vcc, v[6:7], v[12:13]
	s_or_b64 s[4:5], vcc, s[4:5]
	v_pk_mov_b32 v[12:13], v[6:7], v[6:7] op_sel:[0,1]
	s_andn2_b64 exec, exec, s[4:5]
	s_cbranch_execnz .LBB10_363
	s_branch .LBB10_281
.LBB10_364:
	s_or_b64 exec, exec, s[6:7]
                                        ; implicit-def: $vgpr36
                                        ; implicit-def: $vgpr37
.LBB10_365:
	s_andn2_saveexec_b64 s[6:7], s[12:13]
	s_cbranch_execz .LBB10_392
; %bb.366:
	v_readfirstlane_b32 s4, v37
	v_cmp_eq_u32_e64 s[4:5], s4, v37
	v_pk_mov_b32 v[8:9], 0, 0
	s_and_saveexec_b64 s[12:13], s[4:5]
	s_cbranch_execz .LBB10_372
; %bb.367:
	s_waitcnt vmcnt(0)
	v_mov_b32_e32 v2, 0
	global_load_dwordx2 v[6:7], v2, s[10:11] offset:24 glc
	s_waitcnt vmcnt(0)
	buffer_invl2
	buffer_wbinvl1_vol
	global_load_dwordx2 v[4:5], v2, s[10:11] offset:40
	global_load_dwordx2 v[8:9], v2, s[10:11]
	s_waitcnt vmcnt(1)
	v_and_b32_e32 v3, v4, v6
	v_and_b32_e32 v4, v5, v7
	v_mul_lo_u32 v4, v4, 24
	v_mul_hi_u32 v5, v3, 24
	v_mul_lo_u32 v3, v3, 24
	v_add_u32_e32 v5, v5, v4
	s_waitcnt vmcnt(0)
	v_add_co_u32_e32 v4, vcc, v8, v3
	v_addc_co_u32_e32 v5, vcc, v9, v5, vcc
	global_load_dwordx2 v[4:5], v[4:5], off glc
	s_waitcnt vmcnt(0)
	global_atomic_cmpswap_x2 v[8:9], v2, v[4:7], s[10:11] offset:24 glc
	s_waitcnt vmcnt(0)
	buffer_invl2
	buffer_wbinvl1_vol
	v_cmp_ne_u64_e32 vcc, v[8:9], v[6:7]
	s_and_saveexec_b64 s[14:15], vcc
	s_cbranch_execz .LBB10_371
; %bb.368:
	s_mov_b64 s[16:17], 0
.LBB10_369:                             ; =>This Inner Loop Header: Depth=1
	s_sleep 1
	global_load_dwordx2 v[4:5], v2, s[10:11] offset:40
	global_load_dwordx2 v[10:11], v2, s[10:11]
	v_pk_mov_b32 v[6:7], v[8:9], v[8:9] op_sel:[0,1]
	s_waitcnt vmcnt(1)
	v_and_b32_e32 v4, v4, v6
	v_and_b32_e32 v3, v5, v7
	s_waitcnt vmcnt(0)
	v_mad_u64_u32 v[4:5], s[18:19], v4, 24, v[10:11]
	v_mov_b32_e32 v8, v5
	v_mad_u64_u32 v[8:9], s[18:19], v3, 24, v[8:9]
	v_mov_b32_e32 v5, v8
	global_load_dwordx2 v[4:5], v[4:5], off glc
	s_waitcnt vmcnt(0)
	global_atomic_cmpswap_x2 v[8:9], v2, v[4:7], s[10:11] offset:24 glc
	s_waitcnt vmcnt(0)
	buffer_invl2
	buffer_wbinvl1_vol
	v_cmp_eq_u64_e32 vcc, v[8:9], v[6:7]
	s_or_b64 s[16:17], vcc, s[16:17]
	s_andn2_b64 exec, exec, s[16:17]
	s_cbranch_execnz .LBB10_369
; %bb.370:
	s_or_b64 exec, exec, s[16:17]
.LBB10_371:
	s_or_b64 exec, exec, s[14:15]
.LBB10_372:
	s_or_b64 exec, exec, s[12:13]
	s_waitcnt vmcnt(0)
	v_mov_b32_e32 v2, 0
	global_load_dwordx2 v[10:11], v2, s[10:11] offset:40
	global_load_dwordx4 v[4:7], v2, s[10:11]
	v_readfirstlane_b32 s12, v8
	v_readfirstlane_b32 s13, v9
	s_mov_b64 s[14:15], exec
	s_waitcnt vmcnt(1)
	v_readfirstlane_b32 s16, v10
	v_readfirstlane_b32 s17, v11
	s_and_b64 s[16:17], s[12:13], s[16:17]
	s_mul_i32 s18, s17, 24
	s_mul_hi_u32 s19, s16, 24
	s_mul_i32 s20, s16, 24
	s_add_i32 s18, s19, s18
	v_mov_b32_e32 v3, s18
	s_waitcnt vmcnt(0)
	v_add_co_u32_e32 v8, vcc, s20, v4
	v_addc_co_u32_e32 v9, vcc, v5, v3, vcc
	s_and_saveexec_b64 s[18:19], s[4:5]
	s_cbranch_execz .LBB10_374
; %bb.373:
	v_pk_mov_b32 v[10:11], s[14:15], s[14:15] op_sel:[0,1]
	v_mov_b32_e32 v12, 2
	v_mov_b32_e32 v13, 1
	global_store_dwordx4 v[8:9], v[10:13], off offset:8
.LBB10_374:
	s_or_b64 exec, exec, s[18:19]
	s_lshl_b64 s[14:15], s[16:17], 12
	v_mov_b32_e32 v3, s15
	v_add_co_u32_e32 v10, vcc, s14, v6
	v_addc_co_u32_e32 v11, vcc, v7, v3, vcc
	s_movk_i32 s14, 0xff1f
	s_mov_b32 s16, 0
	v_and_or_b32 v0, v0, s14, 32
	v_mov_b32_e32 v3, v2
	v_readfirstlane_b32 s14, v10
	v_readfirstlane_b32 s15, v11
	s_mov_b32 s17, s16
	v_add_co_u32_e32 v6, vcc, v10, v36
	s_mov_b32 s18, s16
	s_mov_b32 s19, s16
	s_nop 0
	global_store_dwordx4 v36, v[0:3], s[14:15]
	v_addc_co_u32_e32 v7, vcc, 0, v11, vcc
	v_pk_mov_b32 v[0:1], s[16:17], s[16:17] op_sel:[0,1]
	v_pk_mov_b32 v[2:3], s[18:19], s[18:19] op_sel:[0,1]
	global_store_dwordx4 v36, v[0:3], s[14:15] offset:16
	global_store_dwordx4 v36, v[0:3], s[14:15] offset:32
	;; [unrolled: 1-line block ×3, first 2 shown]
	s_and_saveexec_b64 s[14:15], s[4:5]
	s_cbranch_execz .LBB10_382
; %bb.375:
	v_mov_b32_e32 v10, 0
	global_load_dwordx2 v[14:15], v10, s[10:11] offset:32 glc
	global_load_dwordx2 v[0:1], v10, s[10:11] offset:40
	v_mov_b32_e32 v12, s12
	v_mov_b32_e32 v13, s13
	s_waitcnt vmcnt(0)
	v_readfirstlane_b32 s16, v0
	v_readfirstlane_b32 s17, v1
	s_and_b64 s[16:17], s[16:17], s[12:13]
	s_mul_i32 s17, s17, 24
	s_mul_hi_u32 s18, s16, 24
	s_mul_i32 s16, s16, 24
	s_add_i32 s17, s18, s17
	v_mov_b32_e32 v0, s17
	v_add_co_u32_e32 v4, vcc, s16, v4
	v_addc_co_u32_e32 v5, vcc, v5, v0, vcc
	global_store_dwordx2 v[4:5], v[14:15], off
	buffer_wbl2
	s_waitcnt vmcnt(0)
	global_atomic_cmpswap_x2 v[2:3], v10, v[12:15], s[10:11] offset:32 glc
	s_waitcnt vmcnt(0)
	v_cmp_ne_u64_e32 vcc, v[2:3], v[14:15]
	s_and_saveexec_b64 s[16:17], vcc
	s_cbranch_execz .LBB10_378
; %bb.376:
	s_mov_b64 s[18:19], 0
.LBB10_377:                             ; =>This Inner Loop Header: Depth=1
	s_sleep 1
	global_store_dwordx2 v[4:5], v[2:3], off
	v_mov_b32_e32 v0, s12
	v_mov_b32_e32 v1, s13
	buffer_wbl2
	s_waitcnt vmcnt(0)
	global_atomic_cmpswap_x2 v[0:1], v10, v[0:3], s[10:11] offset:32 glc
	s_waitcnt vmcnt(0)
	v_cmp_eq_u64_e32 vcc, v[0:1], v[2:3]
	s_or_b64 s[18:19], vcc, s[18:19]
	v_pk_mov_b32 v[2:3], v[0:1], v[0:1] op_sel:[0,1]
	s_andn2_b64 exec, exec, s[18:19]
	s_cbranch_execnz .LBB10_377
.LBB10_378:
	s_or_b64 exec, exec, s[16:17]
	v_mov_b32_e32 v3, 0
	global_load_dwordx2 v[0:1], v3, s[10:11] offset:16
	s_mov_b64 s[16:17], exec
	v_mbcnt_lo_u32_b32 v2, s16, 0
	v_mbcnt_hi_u32_b32 v2, s17, v2
	v_cmp_eq_u32_e32 vcc, 0, v2
	s_and_saveexec_b64 s[18:19], vcc
	s_cbranch_execz .LBB10_380
; %bb.379:
	s_bcnt1_i32_b64 s16, s[16:17]
	v_mov_b32_e32 v2, s16
	buffer_wbl2
	s_waitcnt vmcnt(0)
	global_atomic_add_x2 v[0:1], v[2:3], off offset:8
.LBB10_380:
	s_or_b64 exec, exec, s[18:19]
	s_waitcnt vmcnt(0)
	global_load_dwordx2 v[2:3], v[0:1], off offset:16
	s_waitcnt vmcnt(0)
	v_cmp_eq_u64_e32 vcc, 0, v[2:3]
	s_cbranch_vccnz .LBB10_382
; %bb.381:
	global_load_dword v0, v[0:1], off offset:24
	v_mov_b32_e32 v1, 0
	buffer_wbl2
	s_waitcnt vmcnt(0)
	global_store_dwordx2 v[2:3], v[0:1], off
	v_and_b32_e32 v0, 0xffffff, v0
	v_readfirstlane_b32 m0, v0
	s_sendmsg sendmsg(MSG_INTERRUPT)
.LBB10_382:
	s_or_b64 exec, exec, s[14:15]
	s_branch .LBB10_386
.LBB10_383:                             ;   in Loop: Header=BB10_386 Depth=1
	s_or_b64 exec, exec, s[14:15]
	v_readfirstlane_b32 s14, v0
	s_cmp_eq_u32 s14, 0
	s_cbranch_scc1 .LBB10_385
; %bb.384:                              ;   in Loop: Header=BB10_386 Depth=1
	s_sleep 1
	s_cbranch_execnz .LBB10_386
	s_branch .LBB10_388
.LBB10_385:
	s_branch .LBB10_388
.LBB10_386:                             ; =>This Inner Loop Header: Depth=1
	v_mov_b32_e32 v0, 1
	s_and_saveexec_b64 s[14:15], s[4:5]
	s_cbranch_execz .LBB10_383
; %bb.387:                              ;   in Loop: Header=BB10_386 Depth=1
	global_load_dword v0, v[8:9], off offset:20 glc
	s_waitcnt vmcnt(0)
	buffer_invl2
	buffer_wbinvl1_vol
	v_and_b32_e32 v0, 1, v0
	s_branch .LBB10_383
.LBB10_388:
	global_load_dwordx2 v[0:1], v[6:7], off
	s_and_saveexec_b64 s[14:15], s[4:5]
	s_cbranch_execz .LBB10_391
; %bb.389:
	v_mov_b32_e32 v8, 0
	global_load_dwordx2 v[6:7], v8, s[10:11] offset:40
	global_load_dwordx2 v[10:11], v8, s[10:11] offset:24 glc
	global_load_dwordx2 v[12:13], v8, s[10:11]
	v_mov_b32_e32 v3, s13
	s_mov_b64 s[4:5], 0
	s_waitcnt vmcnt(2)
	v_add_co_u32_e32 v5, vcc, 1, v6
	v_addc_co_u32_e32 v9, vcc, 0, v7, vcc
	v_add_co_u32_e32 v2, vcc, s12, v5
	v_addc_co_u32_e32 v3, vcc, v9, v3, vcc
	v_cmp_eq_u64_e32 vcc, 0, v[2:3]
	v_cndmask_b32_e32 v3, v3, v9, vcc
	v_cndmask_b32_e32 v2, v2, v5, vcc
	v_and_b32_e32 v5, v3, v7
	v_and_b32_e32 v6, v2, v6
	v_mul_lo_u32 v5, v5, 24
	v_mul_hi_u32 v7, v6, 24
	v_mul_lo_u32 v6, v6, 24
	v_add_u32_e32 v5, v7, v5
	s_waitcnt vmcnt(0)
	v_add_co_u32_e32 v6, vcc, v12, v6
	v_addc_co_u32_e32 v7, vcc, v13, v5, vcc
	v_mov_b32_e32 v4, v10
	global_store_dwordx2 v[6:7], v[10:11], off
	v_mov_b32_e32 v5, v11
	buffer_wbl2
	s_waitcnt vmcnt(0)
	global_atomic_cmpswap_x2 v[4:5], v8, v[2:5], s[10:11] offset:24 glc
	s_waitcnt vmcnt(0)
	v_cmp_ne_u64_e32 vcc, v[4:5], v[10:11]
	s_and_b64 exec, exec, vcc
	s_cbranch_execz .LBB10_391
.LBB10_390:                             ; =>This Inner Loop Header: Depth=1
	s_sleep 1
	global_store_dwordx2 v[6:7], v[4:5], off
	buffer_wbl2
	s_waitcnt vmcnt(0)
	global_atomic_cmpswap_x2 v[10:11], v8, v[2:5], s[10:11] offset:24 glc
	s_waitcnt vmcnt(0)
	v_cmp_eq_u64_e32 vcc, v[10:11], v[4:5]
	s_or_b64 s[4:5], vcc, s[4:5]
	v_pk_mov_b32 v[4:5], v[10:11], v[10:11] op_sel:[0,1]
	s_andn2_b64 exec, exec, s[4:5]
	s_cbranch_execnz .LBB10_390
.LBB10_391:
	s_or_b64 exec, exec, s[14:15]
.LBB10_392:
	s_or_b64 exec, exec, s[6:7]
	s_getpc_b64 s[4:5]
	s_add_u32 s4, s4, .str.1@rel32@lo+4
	s_addc_u32 s5, s5, .str.1@rel32@hi+12
	s_getpc_b64 s[6:7]
	s_add_u32 s6, s6, .str.1@rel32@lo+27
	s_addc_u32 s7, s7, .str.1@rel32@hi+35
	s_sub_i32 s10, s6, s4
	s_ashr_i32 s11, s10, 31
	s_waitcnt vmcnt(0)
	v_mov_b32_e32 v2, s4
	v_mov_b32_e32 v3, s5
	;; [unrolled: 1-line block ×5, first 2 shown]
	s_getpc_b64 s[6:7]
	s_add_u32 s6, s6, __ockl_fprintf_append_string_n@rel32@lo+4
	s_addc_u32 s7, s7, __ockl_fprintf_append_string_n@rel32@hi+12
	s_swappc_b64 s[30:31], s[6:7]
	s_trap 2
.Lfunc_end10:
	.size	__assert_fail, .Lfunc_end10-__assert_fail
                                        ; -- End function
	.section	.AMDGPU.csdata,"",@progbits
; Function info:
; codeLenInByte = 15360
; NumSgprs: 38
; NumVgprs: 41
; NumAgprs: 0
; TotalNumVgprs: 41
; ScratchSize: 64
; MemoryBound: 0
	.section	.text._ZN9rocsolver6v33100L17syevj_diag_rotateILb0EffPfEEvbiiT2_iilPT0_Pii,"axG",@progbits,_ZN9rocsolver6v33100L17syevj_diag_rotateILb0EffPfEEvbiiT2_iilPT0_Pii,comdat
	.globl	_ZN9rocsolver6v33100L17syevj_diag_rotateILb0EffPfEEvbiiT2_iilPT0_Pii ; -- Begin function _ZN9rocsolver6v33100L17syevj_diag_rotateILb0EffPfEEvbiiT2_iilPT0_Pii
	.p2align	8
	.type	_ZN9rocsolver6v33100L17syevj_diag_rotateILb0EffPfEEvbiiT2_iilPT0_Pii,@function
_ZN9rocsolver6v33100L17syevj_diag_rotateILb0EffPfEEvbiiT2_iilPT0_Pii: ; @_ZN9rocsolver6v33100L17syevj_diag_rotateILb0EffPfEEvbiiT2_iilPT0_Pii
; %bb.0:
	s_load_dwordx4 s[36:39], s[4:5], 0x0
	s_add_u32 flat_scratch_lo, s6, s11
	s_addc_u32 flat_scratch_hi, s7, 0
	s_add_u32 s0, s0, s11
	s_addc_u32 s1, s1, 0
	s_waitcnt lgkmcnt(0)
	s_abs_i32 s27, s37
	v_mov_b32_e32 v41, v0
	v_cvt_f32_u32_e32 v0, s27
	s_mul_i32 s46, s37, s37
	s_mov_b32 s26, s10
	s_mov_b64 s[28:29], s[4:5]
	v_rcp_iflag_f32_e32 v0, v0
	s_mov_b32 s34, s9
	s_mov_b32 s35, s8
	s_cmpk_lt_u32 s46, 0x4001
	v_mul_f32_e32 v0, 0x4f7ffffe, v0
	v_cvt_u32_f32_e32 v0, v0
	s_mov_b64 s[4:5], -1
	s_mov_b32 s32, 0
	v_readfirstlane_b32 s39, v0
	s_cbranch_scc1 .LBB11_2
; %bb.1:
	s_add_u32 s8, s28, 64
	s_addc_u32 s9, s29, 0
	s_getpc_b64 s[4:5]
	s_add_u32 s4, s4, __PRETTY_FUNCTION__._ZN9rocsolver6v33100L17syevj_diag_rotateILb0EffPfEEvbiiT2_iilPT0_Pii@rel32@lo+4
	s_addc_u32 s5, s5, __PRETTY_FUNCTION__._ZN9rocsolver6v33100L17syevj_diag_rotateILb0EffPfEEvbiiT2_iilPT0_Pii@rel32@hi+12
	v_mov_b32_e32 v0, s4
	v_mov_b32_e32 v1, s5
	s_getpc_b64 s[6:7]
	s_add_u32 s6, s6, __assert_fail@rel32@lo+4
	s_addc_u32 s7, s7, __assert_fail@rel32@hi+12
	s_swappc_b64 s[30:31], s[6:7]
	s_mov_b64 s[4:5], 0
	; divergent unreachable
.LBB11_2:
	s_andn2_b64 vcc, exec, s[4:5]
	s_cbranch_vccnz .LBB11_35
; %bb.3:
	s_load_dword s33, s[28:29], 0x38
	s_waitcnt lgkmcnt(0)
	s_cmp_ge_u32 s26, s33
	s_cbranch_scc1 .LBB11_35
; %bb.4:
	s_sub_i32 s4, 0, s27
	s_mul_i32 s4, s4, s39
	s_add_i32 s5, s38, -1
	s_mul_hi_u32 s4, s39, s4
	s_abs_i32 s24, s5
	s_add_i32 s39, s39, s4
	s_ashr_i32 s5, s5, 31
	s_ashr_i32 s25, s37, 31
	s_load_dwordx4 s[16:19], s[28:29], 0x40
	s_cmpk_lt_u32 s46, 0x2001
	s_mul_hi_u32 s4, s24, s39
	s_cselect_b64 s[20:21], -1, 0
	s_bitcmp1_b32 s36, 0
	s_cselect_b64 s[22:23], -1, 0
	s_xor_b32 s5, s5, s25
	s_mul_i32 s25, s4, s27
	s_sub_i32 s24, s24, s25
	s_load_dwordx8 s[8:15], s[28:29], 0x10
	s_load_dwordx2 s[6:7], s[28:29], 0x30
	s_waitcnt lgkmcnt(0)
	s_lshr_b32 s36, s19, 16
	s_and_b32 s19, s19, 0xffff
	s_add_i32 s25, s4, 1
	s_sub_i32 s28, s24, s27
	s_cmp_ge_u32 s24, s27
	s_cselect_b32 s4, s25, s4
	s_cselect_b32 s24, s28, s24
	s_add_i32 s25, s4, 1
	s_cmp_ge_u32 s24, s27
	s_cselect_b32 s4, s25, s4
	s_xor_b32 s4, s4, s5
	s_sub_i32 s47, s4, s5
	s_lshl_b32 s4, s46, 2
	s_add_i32 s48, s47, 1
	s_add_i32 s49, s4, 0
	s_mov_b64 s[4:5], src_shared_base
	s_ashr_i32 s41, s10, 31
	s_cmp_lt_u32 s35, s48
	s_mul_i32 s4, s47, s37
	s_cselect_b64 s[28:29], -1, 0
	s_sub_i32 s51, s38, s4
	s_cmp_lt_u32 s34, s48
	s_cselect_b64 s[30:31], -1, 0
	s_ashr_i32 s53, s11, 31
	s_mov_b32 s40, s10
	s_add_u32 s55, s6, 4
	s_addc_u32 s56, s7, 0
	s_lshl_b64 s[6:7], s[40:41], 2
	v_and_b32_e32 v0, 0x3ff, v41
	v_bfe_u32 v1, v41, 10, 10
	s_add_u32 s57, s8, s6
	s_addc_u32 s58, s9, s7
	v_mad_u64_u32 v[2:3], s[6:7], v1, s37, v[0:1]
	v_mad_u32_u24 v4, v1, s19, v0
	s_mul_i32 s52, s36, s19
	s_mul_i32 s6, s37, s36
	s_mov_b32 s25, 0
	s_mov_b32 s50, s5
	v_cmp_gt_u32_e64 s[4:5], s46, v4
	s_mov_b32 s54, s11
	v_lshl_add_u32 v5, v4, 2, s49
	s_lshl_b32 s59, s52, 2
	s_mul_i32 s60, s34, s37
	s_mul_i32 s61, s17, s37
	v_lshl_add_u32 v6, v2, 2, 0
	s_lshl_b32 s62, s6, 2
	s_lshl_b32 s63, s19, 2
	v_lshl_add_u32 v7, v0, 2, 0
	s_lshl_b32 s64, s37, 2
	v_mov_b32_e32 v3, 0
	s_branch .LBB11_6
.LBB11_5:                               ;   in Loop: Header=BB11_6 Depth=1
	s_add_i32 s26, s26, s18
	s_cmp_lt_u32 s26, s33
	s_cbranch_scc0 .LBB11_35
.LBB11_6:                               ; =>This Loop Header: Depth=1
                                        ;     Child Loop BB11_10 Depth 2
                                        ;       Child Loop BB11_13 Depth 3
                                        ;       Child Loop BB11_19 Depth 3
                                        ;         Child Loop BB11_23 Depth 4
                                        ;           Child Loop BB11_25 Depth 5
                                        ;         Child Loop BB11_29 Depth 4
                                        ;           Child Loop BB11_32 Depth 5
                                        ;             Child Loop BB11_34 Depth 6
	s_mov_b32 s27, s25
	s_lshl_b64 s[6:7], s[26:27], 2
	s_add_u32 s6, s55, s6
	s_addc_u32 s7, s56, s7
	global_load_dword v2, v3, s[6:7]
	s_waitcnt vmcnt(0)
	v_cmp_ne_u32_e32 vcc, 0, v2
	s_cbranch_vccnz .LBB11_5
; %bb.7:                                ;   in Loop: Header=BB11_6 Depth=1
	s_andn2_b64 vcc, exec, s[28:29]
	s_cbranch_vccnz .LBB11_5
; %bb.8:                                ;   in Loop: Header=BB11_6 Depth=1
	s_mul_i32 s6, s26, s13
	s_mul_hi_u32 s7, s26, s12
	s_add_i32 s7, s7, s6
	s_mul_i32 s6, s26, s12
	s_lshl_b64 s[6:7], s[6:7], 2
	s_add_u32 s27, s57, s6
	s_addc_u32 s65, s58, s7
	s_mul_i32 s66, s26, s48
	s_mov_b32 s67, s35
	s_branch .LBB11_10
.LBB11_9:                               ;   in Loop: Header=BB11_10 Depth=2
	s_add_i32 s67, s67, s16
	s_cmp_ge_u32 s67, s48
	s_cbranch_scc1 .LBB11_5
.LBB11_10:                              ;   Parent Loop BB11_6 Depth=1
                                        ; =>  This Loop Header: Depth=2
                                        ;       Child Loop BB11_13 Depth 3
                                        ;       Child Loop BB11_19 Depth 3
                                        ;         Child Loop BB11_23 Depth 4
                                        ;           Child Loop BB11_25 Depth 5
                                        ;         Child Loop BB11_29 Depth 4
                                        ;           Child Loop BB11_32 Depth 5
                                        ;             Child Loop BB11_34 Depth 6
	s_add_i32 s6, s67, s66
	s_mul_i32 s24, s6, s46
	s_lshl_b64 s[6:7], s[24:25], 2
	s_add_u32 s10, s14, s6
	s_addc_u32 s11, s15, s7
	s_andn2_b64 vcc, exec, s[20:21]
	s_cbranch_vccnz .LBB11_15
; %bb.11:                               ;   in Loop: Header=BB11_10 Depth=2
	s_barrier
	s_and_saveexec_b64 s[6:7], s[4:5]
	s_cbranch_execz .LBB11_14
; %bb.12:                               ;   in Loop: Header=BB11_10 Depth=2
	s_mov_b64 s[8:9], 0
	v_mov_b32_e32 v8, s11
	v_mov_b32_e32 v9, v5
	;; [unrolled: 1-line block ×3, first 2 shown]
.LBB11_13:                              ;   Parent Loop BB11_6 Depth=1
                                        ;     Parent Loop BB11_10 Depth=2
                                        ; =>    This Inner Loop Header: Depth=3
	v_lshlrev_b64 v[10:11], 2, v[2:3]
	v_add_co_u32_e32 v10, vcc, s10, v10
	v_addc_co_u32_e32 v11, vcc, v8, v11, vcc
	global_load_dword v10, v[10:11], off
	v_add_u32_e32 v2, s52, v2
	v_cmp_le_u32_e32 vcc, s46, v2
	s_or_b64 s[8:9], vcc, s[8:9]
	s_waitcnt vmcnt(0)
	ds_write_b32 v9, v10
	v_add_u32_e32 v9, s59, v9
	s_andn2_b64 exec, exec, s[8:9]
	s_cbranch_execnz .LBB11_13
.LBB11_14:                              ;   in Loop: Header=BB11_10 Depth=2
	s_or_b64 exec, exec, s[6:7]
	s_waitcnt lgkmcnt(0)
	s_barrier
.LBB11_15:                              ;   in Loop: Header=BB11_10 Depth=2
	s_andn2_b64 vcc, exec, s[30:31]
	s_cbranch_vccnz .LBB11_9
; %bb.16:                               ;   in Loop: Header=BB11_10 Depth=2
	s_and_b64 s[6:7], s[20:21], exec
	s_cselect_b32 s8, s50, s11
	s_cselect_b32 s24, s49, s10
	s_cmp_eq_u32 s47, s67
	s_cselect_b32 s68, s51, s37
	s_cmp_gt_i32 s68, 0
	s_mul_i32 s69, s67, s37
	v_cmp_gt_u32_e64 s[6:7], s68, v1
	s_cselect_b64 s[10:11], -1, 0
	v_mov_b32_e32 v8, s8
	s_mov_b32 s70, s60
	s_mov_b32 s71, s34
	s_branch .LBB11_19
.LBB11_17:                              ;   in Loop: Header=BB11_19 Depth=3
	s_or_b64 exec, exec, s[38:39]
	s_barrier
.LBB11_18:                              ;   in Loop: Header=BB11_19 Depth=3
	s_add_i32 s71, s71, s17
	s_add_i32 s70, s70, s61
	s_cmp_ge_u32 s71, s48
	s_cbranch_scc1 .LBB11_9
.LBB11_19:                              ;   Parent Loop BB11_6 Depth=1
                                        ;     Parent Loop BB11_10 Depth=2
                                        ; =>    This Loop Header: Depth=3
                                        ;         Child Loop BB11_23 Depth 4
                                        ;           Child Loop BB11_25 Depth 5
                                        ;         Child Loop BB11_29 Depth 4
                                        ;           Child Loop BB11_32 Depth 5
                                        ;             Child Loop BB11_34 Depth 6
	s_cmp_eq_u32 s67, s71
	s_cselect_b64 s[8:9], -1, 0
	s_and_b64 s[8:9], s[8:9], s[22:23]
	s_and_b64 vcc, exec, s[8:9]
	s_cbranch_vccnz .LBB11_18
; %bb.20:                               ;   in Loop: Header=BB11_19 Depth=3
	s_cmp_eq_u32 s47, s71
	s_cselect_b32 s72, s51, s37
	s_barrier
	s_and_saveexec_b64 s[38:39], s[6:7]
	s_cbranch_execz .LBB11_26
; %bb.21:                               ;   in Loop: Header=BB11_19 Depth=3
	v_cmp_gt_u32_e32 vcc, s72, v0
	s_mov_b64 s[40:41], 0
	v_mov_b32_e32 v9, v6
	v_mov_b32_e32 v10, v1
	s_branch .LBB11_23
.LBB11_22:                              ;   in Loop: Header=BB11_23 Depth=4
	s_or_b64 exec, exec, s[42:43]
	v_add_u32_e32 v10, s36, v10
	v_cmp_le_u32_e64 s[8:9], s68, v10
	s_or_b64 s[40:41], s[8:9], s[40:41]
	v_add_u32_e32 v9, s62, v9
	s_andn2_b64 exec, exec, s[40:41]
	s_cbranch_execz .LBB11_26
.LBB11_23:                              ;   Parent Loop BB11_6 Depth=1
                                        ;     Parent Loop BB11_10 Depth=2
                                        ;       Parent Loop BB11_19 Depth=3
                                        ; =>      This Loop Header: Depth=4
                                        ;           Child Loop BB11_25 Depth 5
	s_and_saveexec_b64 s[42:43], vcc
	s_cbranch_execz .LBB11_22
; %bb.24:                               ;   in Loop: Header=BB11_23 Depth=4
	v_add_u32_e32 v11, s69, v10
	v_mad_u64_u32 v[12:13], s[8:9], v11, s54, 0
	v_mov_b32_e32 v2, v13
	v_mad_u64_u32 v[14:15], s[8:9], v11, s53, v[2:3]
	v_mov_b32_e32 v13, v14
	v_lshlrev_b64 v[12:13], 2, v[12:13]
	v_mov_b32_e32 v2, s65
	v_add_co_u32_e64 v11, s[8:9], s27, v12
	v_addc_co_u32_e64 v12, s[8:9], v2, v13, s[8:9]
	s_mov_b64 s[44:45], 0
	v_mov_b32_e32 v13, v9
	v_mov_b32_e32 v14, v0
.LBB11_25:                              ;   Parent Loop BB11_6 Depth=1
                                        ;     Parent Loop BB11_10 Depth=2
                                        ;       Parent Loop BB11_19 Depth=3
                                        ;         Parent Loop BB11_23 Depth=4
                                        ; =>        This Inner Loop Header: Depth=5
	v_add_u32_e32 v2, s70, v14
	v_lshlrev_b64 v[16:17], 2, v[2:3]
	v_add_co_u32_e64 v16, s[8:9], v11, v16
	v_addc_co_u32_e64 v17, s[8:9], v12, v17, s[8:9]
	global_load_dword v2, v[16:17], off
	v_add_u32_e32 v14, s19, v14
	v_cmp_le_u32_e64 s[8:9], s72, v14
	s_or_b64 s[44:45], s[8:9], s[44:45]
	s_waitcnt vmcnt(0)
	ds_write_b32 v13, v2
	v_add_u32_e32 v13, s63, v13
	s_andn2_b64 exec, exec, s[44:45]
	s_cbranch_execnz .LBB11_25
	s_branch .LBB11_22
.LBB11_26:                              ;   in Loop: Header=BB11_19 Depth=3
	s_or_b64 exec, exec, s[38:39]
	s_waitcnt lgkmcnt(0)
	s_barrier
	s_and_saveexec_b64 s[38:39], s[6:7]
	s_cbranch_execz .LBB11_17
; %bb.27:                               ;   in Loop: Header=BB11_19 Depth=3
	s_mul_i32 s73, s71, s37
	v_cmp_gt_u32_e64 s[8:9], s72, v0
	s_mov_b64 s[40:41], 0
	v_mov_b32_e32 v9, v1
	s_branch .LBB11_29
.LBB11_28:                              ;   in Loop: Header=BB11_29 Depth=4
	s_or_b64 exec, exec, s[42:43]
	v_add_u32_e32 v9, s36, v9
	v_cmp_le_u32_e32 vcc, s68, v9
	s_or_b64 s[40:41], vcc, s[40:41]
	s_andn2_b64 exec, exec, s[40:41]
	s_cbranch_execz .LBB11_17
.LBB11_29:                              ;   Parent Loop BB11_6 Depth=1
                                        ;     Parent Loop BB11_10 Depth=2
                                        ;       Parent Loop BB11_19 Depth=3
                                        ; =>      This Loop Header: Depth=4
                                        ;           Child Loop BB11_32 Depth 5
                                        ;             Child Loop BB11_34 Depth 6
	s_and_saveexec_b64 s[42:43], s[8:9]
	s_cbranch_execz .LBB11_28
; %bb.30:                               ;   in Loop: Header=BB11_29 Depth=4
	v_add_u32_e32 v12, s69, v9
	v_mad_u64_u32 v[10:11], s[44:45], v12, s54, 0
	v_mov_b32_e32 v2, v11
	v_mad_u64_u32 v[12:13], s[44:45], v12, s53, v[2:3]
	v_mov_b32_e32 v11, v12
	v_lshlrev_b64 v[10:11], 2, v[10:11]
	v_mov_b32_e32 v2, s65
	v_add_co_u32_e32 v10, vcc, s27, v10
	v_addc_co_u32_e32 v11, vcc, v2, v11, vcc
	s_mov_b64 s[44:45], 0
	v_mov_b32_e32 v12, v7
	v_mov_b32_e32 v13, v0
	s_branch .LBB11_32
.LBB11_31:                              ;   in Loop: Header=BB11_32 Depth=5
	v_add_u32_e32 v2, s73, v13
	v_lshlrev_b64 v[16:17], 2, v[2:3]
	v_add_co_u32_e32 v16, vcc, v10, v16
	v_addc_co_u32_e32 v17, vcc, v11, v17, vcc
	v_add_u32_e32 v13, s19, v13
	v_cmp_le_u32_e32 vcc, s72, v13
	s_or_b64 s[44:45], vcc, s[44:45]
	v_add_u32_e32 v12, s63, v12
	global_store_dword v[16:17], v14, off
	s_andn2_b64 exec, exec, s[44:45]
	s_cbranch_execz .LBB11_28
.LBB11_32:                              ;   Parent Loop BB11_6 Depth=1
                                        ;     Parent Loop BB11_10 Depth=2
                                        ;       Parent Loop BB11_19 Depth=3
                                        ;         Parent Loop BB11_29 Depth=4
                                        ; =>        This Loop Header: Depth=5
                                        ;             Child Loop BB11_34 Depth 6
	v_mov_b32_e32 v14, 0
	s_andn2_b64 vcc, exec, s[10:11]
	s_cbranch_vccnz .LBB11_31
; %bb.33:                               ;   in Loop: Header=BB11_32 Depth=5
	v_mov_b32_e32 v15, v12
	v_mov_b32_e32 v2, v9
	s_mov_b32 s74, s68
.LBB11_34:                              ;   Parent Loop BB11_6 Depth=1
                                        ;     Parent Loop BB11_10 Depth=2
                                        ;       Parent Loop BB11_19 Depth=3
                                        ;         Parent Loop BB11_29 Depth=4
                                        ;           Parent Loop BB11_32 Depth=5
                                        ; =>          This Inner Loop Header: Depth=6
	v_lshlrev_b64 v[16:17], 2, v[2:3]
	v_add_co_u32_e32 v16, vcc, s24, v16
	v_addc_co_u32_e32 v17, vcc, v8, v17, vcc
	flat_load_dword v16, v[16:17]
	ds_read_b32 v17, v15
	s_add_i32 s74, s74, -1
	v_add_u32_e32 v2, s37, v2
	v_add_u32_e32 v15, s64, v15
	s_cmp_eq_u32 s74, 0
	s_waitcnt vmcnt(0) lgkmcnt(0)
	v_fmac_f32_e32 v14, v17, v16
	s_cbranch_scc0 .LBB11_34
	s_branch .LBB11_31
.LBB11_35:
	s_endpgm
	.section	.rodata,"a",@progbits
	.p2align	6, 0x0
	.amdhsa_kernel _ZN9rocsolver6v33100L17syevj_diag_rotateILb0EffPfEEvbiiT2_iilPT0_Pii
		.amdhsa_group_segment_fixed_size 0
		.amdhsa_private_segment_fixed_size 64
		.amdhsa_kernarg_size 320
		.amdhsa_user_sgpr_count 8
		.amdhsa_user_sgpr_private_segment_buffer 1
		.amdhsa_user_sgpr_dispatch_ptr 0
		.amdhsa_user_sgpr_queue_ptr 0
		.amdhsa_user_sgpr_kernarg_segment_ptr 1
		.amdhsa_user_sgpr_dispatch_id 0
		.amdhsa_user_sgpr_flat_scratch_init 1
		.amdhsa_user_sgpr_kernarg_preload_length 0
		.amdhsa_user_sgpr_kernarg_preload_offset 0
		.amdhsa_user_sgpr_private_segment_size 0
		.amdhsa_uses_dynamic_stack 0
		.amdhsa_system_sgpr_private_segment_wavefront_offset 1
		.amdhsa_system_sgpr_workgroup_id_x 1
		.amdhsa_system_sgpr_workgroup_id_y 1
		.amdhsa_system_sgpr_workgroup_id_z 1
		.amdhsa_system_sgpr_workgroup_info 0
		.amdhsa_system_vgpr_workitem_id 1
		.amdhsa_next_free_vgpr 42
		.amdhsa_next_free_sgpr 75
		.amdhsa_accum_offset 44
		.amdhsa_reserve_vcc 1
		.amdhsa_reserve_flat_scratch 1
		.amdhsa_float_round_mode_32 0
		.amdhsa_float_round_mode_16_64 0
		.amdhsa_float_denorm_mode_32 3
		.amdhsa_float_denorm_mode_16_64 3
		.amdhsa_dx10_clamp 1
		.amdhsa_ieee_mode 1
		.amdhsa_fp16_overflow 0
		.amdhsa_tg_split 0
		.amdhsa_exception_fp_ieee_invalid_op 0
		.amdhsa_exception_fp_denorm_src 0
		.amdhsa_exception_fp_ieee_div_zero 0
		.amdhsa_exception_fp_ieee_overflow 0
		.amdhsa_exception_fp_ieee_underflow 0
		.amdhsa_exception_fp_ieee_inexact 0
		.amdhsa_exception_int_div_zero 0
	.end_amdhsa_kernel
	.section	.text._ZN9rocsolver6v33100L17syevj_diag_rotateILb0EffPfEEvbiiT2_iilPT0_Pii,"axG",@progbits,_ZN9rocsolver6v33100L17syevj_diag_rotateILb0EffPfEEvbiiT2_iilPT0_Pii,comdat
.Lfunc_end11:
	.size	_ZN9rocsolver6v33100L17syevj_diag_rotateILb0EffPfEEvbiiT2_iilPT0_Pii, .Lfunc_end11-_ZN9rocsolver6v33100L17syevj_diag_rotateILb0EffPfEEvbiiT2_iilPT0_Pii
                                        ; -- End function
	.section	.AMDGPU.csdata,"",@progbits
; Kernel info:
; codeLenInByte = 1376
; NumSgprs: 81
; NumVgprs: 42
; NumAgprs: 0
; TotalNumVgprs: 42
; ScratchSize: 64
; MemoryBound: 0
; FloatMode: 240
; IeeeMode: 1
; LDSByteSize: 0 bytes/workgroup (compile time only)
; SGPRBlocks: 10
; VGPRBlocks: 5
; NumSGPRsForWavesPerEU: 81
; NumVGPRsForWavesPerEU: 42
; AccumOffset: 44
; Occupancy: 8
; WaveLimiterHint : 1
; COMPUTE_PGM_RSRC2:SCRATCH_EN: 1
; COMPUTE_PGM_RSRC2:USER_SGPR: 8
; COMPUTE_PGM_RSRC2:TRAP_HANDLER: 0
; COMPUTE_PGM_RSRC2:TGID_X_EN: 1
; COMPUTE_PGM_RSRC2:TGID_Y_EN: 1
; COMPUTE_PGM_RSRC2:TGID_Z_EN: 1
; COMPUTE_PGM_RSRC2:TIDIG_COMP_CNT: 1
; COMPUTE_PGM_RSRC3_GFX90A:ACCUM_OFFSET: 10
; COMPUTE_PGM_RSRC3_GFX90A:TG_SPLIT: 0
	.section	.text._ZN9rocsolver6v33100L17syevj_diag_rotateILb1EffPfEEvbiiT2_iilPT0_Pii,"axG",@progbits,_ZN9rocsolver6v33100L17syevj_diag_rotateILb1EffPfEEvbiiT2_iilPT0_Pii,comdat
	.globl	_ZN9rocsolver6v33100L17syevj_diag_rotateILb1EffPfEEvbiiT2_iilPT0_Pii ; -- Begin function _ZN9rocsolver6v33100L17syevj_diag_rotateILb1EffPfEEvbiiT2_iilPT0_Pii
	.p2align	8
	.type	_ZN9rocsolver6v33100L17syevj_diag_rotateILb1EffPfEEvbiiT2_iilPT0_Pii,@function
_ZN9rocsolver6v33100L17syevj_diag_rotateILb1EffPfEEvbiiT2_iilPT0_Pii: ; @_ZN9rocsolver6v33100L17syevj_diag_rotateILb1EffPfEEvbiiT2_iilPT0_Pii
; %bb.0:
	s_load_dwordx4 s[36:39], s[4:5], 0x0
	s_add_u32 flat_scratch_lo, s6, s11
	s_addc_u32 flat_scratch_hi, s7, 0
	s_add_u32 s0, s0, s11
	s_addc_u32 s1, s1, 0
	s_waitcnt lgkmcnt(0)
	s_abs_i32 s27, s37
	v_mov_b32_e32 v41, v0
	v_cvt_f32_u32_e32 v0, s27
	s_mul_i32 s46, s37, s37
	s_mov_b32 s26, s10
	s_mov_b64 s[28:29], s[4:5]
	v_rcp_iflag_f32_e32 v0, v0
	s_mov_b32 s34, s9
	s_mov_b32 s35, s8
	s_cmpk_lt_u32 s46, 0x4001
	v_mul_f32_e32 v0, 0x4f7ffffe, v0
	v_cvt_u32_f32_e32 v0, v0
	s_mov_b64 s[4:5], -1
	s_mov_b32 s32, 0
	v_readfirstlane_b32 s39, v0
	s_cbranch_scc1 .LBB12_2
; %bb.1:
	s_add_u32 s8, s28, 64
	s_addc_u32 s9, s29, 0
	s_getpc_b64 s[4:5]
	s_add_u32 s4, s4, __PRETTY_FUNCTION__._ZN9rocsolver6v33100L17syevj_diag_rotateILb1EffPfEEvbiiT2_iilPT0_Pii@rel32@lo+4
	s_addc_u32 s5, s5, __PRETTY_FUNCTION__._ZN9rocsolver6v33100L17syevj_diag_rotateILb1EffPfEEvbiiT2_iilPT0_Pii@rel32@hi+12
	v_mov_b32_e32 v0, s4
	v_mov_b32_e32 v1, s5
	s_getpc_b64 s[6:7]
	s_add_u32 s6, s6, __assert_fail@rel32@lo+4
	s_addc_u32 s7, s7, __assert_fail@rel32@hi+12
	s_swappc_b64 s[30:31], s[6:7]
	s_mov_b64 s[4:5], 0
	; divergent unreachable
.LBB12_2:
	s_andn2_b64 vcc, exec, s[4:5]
	s_cbranch_vccnz .LBB12_35
; %bb.3:
	s_load_dword s33, s[28:29], 0x38
	s_waitcnt lgkmcnt(0)
	s_cmp_ge_u32 s26, s33
	s_cbranch_scc1 .LBB12_35
; %bb.4:
	s_sub_i32 s4, 0, s27
	s_mul_i32 s4, s4, s39
	s_add_i32 s5, s38, -1
	s_mul_hi_u32 s4, s39, s4
	s_abs_i32 s24, s5
	s_add_i32 s39, s39, s4
	s_ashr_i32 s5, s5, 31
	s_ashr_i32 s25, s37, 31
	s_load_dwordx4 s[16:19], s[28:29], 0x40
	s_cmpk_lt_u32 s46, 0x2001
	s_mul_hi_u32 s4, s24, s39
	s_cselect_b64 s[20:21], -1, 0
	s_bitcmp1_b32 s36, 0
	s_cselect_b64 s[22:23], -1, 0
	s_xor_b32 s5, s5, s25
	s_mul_i32 s25, s4, s27
	s_sub_i32 s24, s24, s25
	s_load_dwordx8 s[8:15], s[28:29], 0x10
	s_load_dwordx2 s[6:7], s[28:29], 0x30
	s_waitcnt lgkmcnt(0)
	s_lshr_b32 s36, s19, 16
	s_and_b32 s19, s19, 0xffff
	s_add_i32 s25, s4, 1
	s_sub_i32 s28, s24, s27
	s_cmp_ge_u32 s24, s27
	s_cselect_b32 s4, s25, s4
	s_cselect_b32 s24, s28, s24
	s_add_i32 s25, s4, 1
	s_cmp_ge_u32 s24, s27
	s_cselect_b32 s4, s25, s4
	s_xor_b32 s4, s4, s5
	s_sub_i32 s47, s4, s5
	s_lshl_b32 s4, s46, 2
	s_add_i32 s48, s47, 1
	s_add_i32 s49, s4, 0
	s_mov_b64 s[4:5], src_shared_base
	s_ashr_i32 s41, s10, 31
	s_cmp_lt_u32 s35, s48
	s_mul_i32 s4, s47, s37
	s_cselect_b64 s[28:29], -1, 0
	s_sub_i32 s51, s38, s4
	s_cmp_lt_u32 s34, s48
	s_cselect_b64 s[30:31], -1, 0
	s_ashr_i32 s53, s11, 31
	v_bfe_u32 v3, v41, 10, 10
	s_mov_b32 s40, s10
	s_add_u32 s55, s6, 4
	v_and_b32_e32 v2, 0x3ff, v41
	s_addc_u32 s56, s7, 0
	s_lshl_b64 s[6:7], s[40:41], 2
	v_mul_lo_u32 v0, v3, s37
	v_mad_u32_u24 v4, v3, s19, v2
	s_mul_i32 s52, s36, s19
	s_add_u32 s57, s8, s6
	v_add_u32_e32 v1, v2, v0
	s_mul_i32 s6, s37, s36
	s_mov_b32 s25, 0
	s_mov_b32 s50, s5
	v_cmp_gt_u32_e64 s[4:5], s46, v4
	s_mov_b32 s54, s11
	s_addc_u32 s58, s9, s7
	v_lshl_add_u32 v5, v4, 2, s49
	s_lshl_b32 s59, s52, 2
	s_mul_i32 s60, s35, s37
	s_mul_i32 s61, s16, s37
	v_lshl_add_u32 v6, v1, 2, 0
	s_lshl_b32 s62, s6, 2
	s_lshl_b32 s63, s19, 2
	v_lshl_add_u32 v7, v0, 2, 0
	v_mov_b32_e32 v1, 0
	s_branch .LBB12_6
.LBB12_5:                               ;   in Loop: Header=BB12_6 Depth=1
	s_add_i32 s26, s26, s18
	s_cmp_lt_u32 s26, s33
	s_cbranch_scc0 .LBB12_35
.LBB12_6:                               ; =>This Loop Header: Depth=1
                                        ;     Child Loop BB12_10 Depth 2
                                        ;       Child Loop BB12_13 Depth 3
                                        ;       Child Loop BB12_19 Depth 3
                                        ;         Child Loop BB12_23 Depth 4
                                        ;           Child Loop BB12_25 Depth 5
                                        ;         Child Loop BB12_29 Depth 4
                                        ;           Child Loop BB12_32 Depth 5
                                        ;             Child Loop BB12_34 Depth 6
	s_mov_b32 s27, s25
	s_lshl_b64 s[6:7], s[26:27], 2
	s_add_u32 s6, s55, s6
	s_addc_u32 s7, s56, s7
	global_load_dword v0, v1, s[6:7]
	s_waitcnt vmcnt(0)
	v_cmp_ne_u32_e32 vcc, 0, v0
	s_cbranch_vccnz .LBB12_5
; %bb.7:                                ;   in Loop: Header=BB12_6 Depth=1
	s_andn2_b64 vcc, exec, s[28:29]
	s_cbranch_vccnz .LBB12_5
; %bb.8:                                ;   in Loop: Header=BB12_6 Depth=1
	s_mul_i32 s6, s26, s13
	s_mul_hi_u32 s7, s26, s12
	s_add_i32 s7, s7, s6
	s_mul_i32 s6, s26, s12
	s_lshl_b64 s[6:7], s[6:7], 2
	s_add_u32 s27, s57, s6
	s_addc_u32 s64, s58, s7
	s_mul_i32 s65, s26, s48
	s_mov_b32 s66, s60
	s_mov_b32 s67, s35
	s_branch .LBB12_10
.LBB12_9:                               ;   in Loop: Header=BB12_10 Depth=2
	s_add_i32 s67, s67, s16
	s_add_i32 s66, s66, s61
	s_cmp_ge_u32 s67, s48
	s_cbranch_scc1 .LBB12_5
.LBB12_10:                              ;   Parent Loop BB12_6 Depth=1
                                        ; =>  This Loop Header: Depth=2
                                        ;       Child Loop BB12_13 Depth 3
                                        ;       Child Loop BB12_19 Depth 3
                                        ;         Child Loop BB12_23 Depth 4
                                        ;           Child Loop BB12_25 Depth 5
                                        ;         Child Loop BB12_29 Depth 4
                                        ;           Child Loop BB12_32 Depth 5
                                        ;             Child Loop BB12_34 Depth 6
	s_add_i32 s6, s67, s65
	s_mul_i32 s24, s6, s46
	s_lshl_b64 s[6:7], s[24:25], 2
	s_add_u32 s10, s14, s6
	s_addc_u32 s11, s15, s7
	s_andn2_b64 vcc, exec, s[20:21]
	s_cbranch_vccnz .LBB12_15
; %bb.11:                               ;   in Loop: Header=BB12_10 Depth=2
	s_barrier
	s_and_saveexec_b64 s[6:7], s[4:5]
	s_cbranch_execz .LBB12_14
; %bb.12:                               ;   in Loop: Header=BB12_10 Depth=2
	s_mov_b64 s[8:9], 0
	v_mov_b32_e32 v8, s11
	v_mov_b32_e32 v9, v5
	v_mov_b32_e32 v0, v4
.LBB12_13:                              ;   Parent Loop BB12_6 Depth=1
                                        ;     Parent Loop BB12_10 Depth=2
                                        ; =>    This Inner Loop Header: Depth=3
	v_lshlrev_b64 v[10:11], 2, v[0:1]
	v_add_co_u32_e32 v10, vcc, s10, v10
	v_addc_co_u32_e32 v11, vcc, v8, v11, vcc
	global_load_dword v10, v[10:11], off
	v_add_u32_e32 v0, s52, v0
	v_cmp_le_u32_e32 vcc, s46, v0
	s_or_b64 s[8:9], vcc, s[8:9]
	s_waitcnt vmcnt(0)
	ds_write_b32 v9, v10
	v_add_u32_e32 v9, s59, v9
	s_andn2_b64 exec, exec, s[8:9]
	s_cbranch_execnz .LBB12_13
.LBB12_14:                              ;   in Loop: Header=BB12_10 Depth=2
	s_or_b64 exec, exec, s[6:7]
	s_waitcnt lgkmcnt(0)
	s_barrier
.LBB12_15:                              ;   in Loop: Header=BB12_10 Depth=2
	s_andn2_b64 vcc, exec, s[30:31]
	s_cbranch_vccnz .LBB12_9
; %bb.16:                               ;   in Loop: Header=BB12_10 Depth=2
	s_and_b64 s[6:7], s[20:21], exec
	s_cselect_b32 s24, s50, s11
	s_cselect_b32 s68, s49, s10
	s_cmp_eq_u32 s47, s67
	s_cselect_b32 s69, s51, s37
	s_cmp_gt_i32 s69, 0
	s_mul_i32 s70, s67, s37
	v_cmp_gt_u32_e64 s[6:7], s69, v2
	s_cselect_b64 s[10:11], -1, 0
	s_mov_b32 s71, s34
	s_branch .LBB12_19
.LBB12_17:                              ;   in Loop: Header=BB12_19 Depth=3
	s_or_b64 exec, exec, s[8:9]
	s_barrier
.LBB12_18:                              ;   in Loop: Header=BB12_19 Depth=3
	s_add_i32 s71, s71, s17
	s_cmp_ge_u32 s71, s48
	s_cbranch_scc1 .LBB12_9
.LBB12_19:                              ;   Parent Loop BB12_6 Depth=1
                                        ;     Parent Loop BB12_10 Depth=2
                                        ; =>    This Loop Header: Depth=3
                                        ;         Child Loop BB12_23 Depth 4
                                        ;           Child Loop BB12_25 Depth 5
                                        ;         Child Loop BB12_29 Depth 4
                                        ;           Child Loop BB12_32 Depth 5
                                        ;             Child Loop BB12_34 Depth 6
	s_cmp_eq_u32 s67, s71
	s_cselect_b64 s[8:9], -1, 0
	s_and_b64 s[8:9], s[8:9], s[22:23]
	s_and_b64 vcc, exec, s[8:9]
	s_cbranch_vccnz .LBB12_18
; %bb.20:                               ;   in Loop: Header=BB12_19 Depth=3
	s_cmp_eq_u32 s47, s71
	s_cselect_b32 s73, s51, s37
	s_mul_i32 s72, s71, s37
	v_cmp_gt_u32_e32 vcc, s73, v3
	s_barrier
	s_and_saveexec_b64 s[38:39], vcc
	s_cbranch_execz .LBB12_26
; %bb.21:                               ;   in Loop: Header=BB12_19 Depth=3
	s_mov_b64 s[40:41], 0
	v_mov_b32_e32 v8, v6
	v_mov_b32_e32 v9, v3
	s_branch .LBB12_23
.LBB12_22:                              ;   in Loop: Header=BB12_23 Depth=4
	s_or_b64 exec, exec, s[42:43]
	v_add_u32_e32 v9, s36, v9
	v_cmp_le_u32_e64 s[8:9], s73, v9
	s_or_b64 s[40:41], s[8:9], s[40:41]
	v_add_u32_e32 v8, s62, v8
	s_andn2_b64 exec, exec, s[40:41]
	s_cbranch_execz .LBB12_26
.LBB12_23:                              ;   Parent Loop BB12_6 Depth=1
                                        ;     Parent Loop BB12_10 Depth=2
                                        ;       Parent Loop BB12_19 Depth=3
                                        ; =>      This Loop Header: Depth=4
                                        ;           Child Loop BB12_25 Depth 5
	s_and_saveexec_b64 s[42:43], s[6:7]
	s_cbranch_execz .LBB12_22
; %bb.24:                               ;   in Loop: Header=BB12_23 Depth=4
	v_add_u32_e32 v12, s72, v9
	v_mad_u64_u32 v[10:11], s[8:9], v12, s54, 0
	v_mov_b32_e32 v0, v11
	v_mad_u64_u32 v[12:13], s[8:9], v12, s53, v[0:1]
	v_mov_b32_e32 v11, v12
	v_lshlrev_b64 v[10:11], 2, v[10:11]
	v_mov_b32_e32 v0, s64
	v_add_co_u32_e64 v10, s[8:9], s27, v10
	v_addc_co_u32_e64 v11, s[8:9], v0, v11, s[8:9]
	s_mov_b64 s[44:45], 0
	v_mov_b32_e32 v12, v8
	v_mov_b32_e32 v13, v2
.LBB12_25:                              ;   Parent Loop BB12_6 Depth=1
                                        ;     Parent Loop BB12_10 Depth=2
                                        ;       Parent Loop BB12_19 Depth=3
                                        ;         Parent Loop BB12_23 Depth=4
                                        ; =>        This Inner Loop Header: Depth=5
	v_add_u32_e32 v0, s66, v13
	v_lshlrev_b64 v[14:15], 2, v[0:1]
	v_add_co_u32_e64 v14, s[8:9], v10, v14
	v_addc_co_u32_e64 v15, s[8:9], v11, v15, s[8:9]
	global_load_dword v0, v[14:15], off
	v_add_u32_e32 v13, s19, v13
	v_cmp_le_u32_e64 s[8:9], s69, v13
	s_or_b64 s[44:45], s[8:9], s[44:45]
	s_waitcnt vmcnt(0)
	ds_write_b32 v12, v0
	v_add_u32_e32 v12, s63, v12
	s_andn2_b64 exec, exec, s[44:45]
	s_cbranch_execnz .LBB12_25
	s_branch .LBB12_22
.LBB12_26:                              ;   in Loop: Header=BB12_19 Depth=3
	s_or_b64 exec, exec, s[38:39]
	s_waitcnt lgkmcnt(0)
	s_barrier
	s_and_saveexec_b64 s[8:9], vcc
	s_cbranch_execz .LBB12_17
; %bb.27:                               ;   in Loop: Header=BB12_19 Depth=3
	s_mov_b64 s[38:39], 0
	v_mov_b32_e32 v8, v7
	v_mov_b32_e32 v9, v3
	s_branch .LBB12_29
.LBB12_28:                              ;   in Loop: Header=BB12_29 Depth=4
	s_or_b64 exec, exec, s[40:41]
	v_add_u32_e32 v9, s36, v9
	v_cmp_le_u32_e32 vcc, s73, v9
	s_or_b64 s[38:39], vcc, s[38:39]
	v_add_u32_e32 v8, s62, v8
	s_andn2_b64 exec, exec, s[38:39]
	s_cbranch_execz .LBB12_17
.LBB12_29:                              ;   Parent Loop BB12_6 Depth=1
                                        ;     Parent Loop BB12_10 Depth=2
                                        ;       Parent Loop BB12_19 Depth=3
                                        ; =>      This Loop Header: Depth=4
                                        ;           Child Loop BB12_32 Depth 5
                                        ;             Child Loop BB12_34 Depth 6
	s_and_saveexec_b64 s[40:41], s[6:7]
	s_cbranch_execz .LBB12_28
; %bb.30:                               ;   in Loop: Header=BB12_29 Depth=4
	v_add_u32_e32 v12, s72, v9
	v_mad_u64_u32 v[10:11], s[42:43], v12, s54, 0
	v_mov_b32_e32 v0, v11
	v_mad_u64_u32 v[12:13], s[42:43], v12, s53, v[0:1]
	v_mov_b32_e32 v11, v12
	v_lshlrev_b64 v[10:11], 2, v[10:11]
	v_mov_b32_e32 v0, s64
	v_add_co_u32_e32 v10, vcc, s27, v10
	v_addc_co_u32_e32 v11, vcc, v0, v11, vcc
	s_mov_b64 s[42:43], 0
	v_mov_b32_e32 v12, v2
	s_branch .LBB12_32
.LBB12_31:                              ;   in Loop: Header=BB12_32 Depth=5
	v_add_u32_e32 v0, s70, v12
	v_lshlrev_b64 v[14:15], 2, v[0:1]
	v_add_co_u32_e32 v14, vcc, v10, v14
	v_addc_co_u32_e32 v15, vcc, v11, v15, vcc
	v_add_u32_e32 v12, s19, v12
	v_cmp_le_u32_e32 vcc, s69, v12
	s_or_b64 s[42:43], vcc, s[42:43]
	global_store_dword v[14:15], v13, off
	s_andn2_b64 exec, exec, s[42:43]
	s_cbranch_execz .LBB12_28
.LBB12_32:                              ;   Parent Loop BB12_6 Depth=1
                                        ;     Parent Loop BB12_10 Depth=2
                                        ;       Parent Loop BB12_19 Depth=3
                                        ;         Parent Loop BB12_29 Depth=4
                                        ; =>        This Loop Header: Depth=5
                                        ;             Child Loop BB12_34 Depth 6
	v_mov_b32_e32 v13, 0
	s_andn2_b64 vcc, exec, s[10:11]
	s_cbranch_vccnz .LBB12_31
; %bb.33:                               ;   in Loop: Header=BB12_32 Depth=5
	v_mov_b32_e32 v14, v8
	v_mov_b32_e32 v0, v12
	s_mov_b32 s44, s69
.LBB12_34:                              ;   Parent Loop BB12_6 Depth=1
                                        ;     Parent Loop BB12_10 Depth=2
                                        ;       Parent Loop BB12_19 Depth=3
                                        ;         Parent Loop BB12_29 Depth=4
                                        ;           Parent Loop BB12_32 Depth=5
                                        ; =>          This Inner Loop Header: Depth=6
	v_lshlrev_b64 v[16:17], 2, v[0:1]
	v_mov_b32_e32 v15, s24
	v_add_co_u32_e32 v16, vcc, s68, v16
	v_addc_co_u32_e32 v17, vcc, v15, v17, vcc
	flat_load_dword v15, v[16:17]
	ds_read_b32 v16, v14
	s_add_i32 s44, s44, -1
	v_add_u32_e32 v0, s37, v0
	v_add_u32_e32 v14, 4, v14
	s_cmp_eq_u32 s44, 0
	s_waitcnt vmcnt(0) lgkmcnt(0)
	v_fmac_f32_e32 v13, v15, v16
	s_cbranch_scc0 .LBB12_34
	s_branch .LBB12_31
.LBB12_35:
	s_endpgm
	.section	.rodata,"a",@progbits
	.p2align	6, 0x0
	.amdhsa_kernel _ZN9rocsolver6v33100L17syevj_diag_rotateILb1EffPfEEvbiiT2_iilPT0_Pii
		.amdhsa_group_segment_fixed_size 0
		.amdhsa_private_segment_fixed_size 64
		.amdhsa_kernarg_size 320
		.amdhsa_user_sgpr_count 8
		.amdhsa_user_sgpr_private_segment_buffer 1
		.amdhsa_user_sgpr_dispatch_ptr 0
		.amdhsa_user_sgpr_queue_ptr 0
		.amdhsa_user_sgpr_kernarg_segment_ptr 1
		.amdhsa_user_sgpr_dispatch_id 0
		.amdhsa_user_sgpr_flat_scratch_init 1
		.amdhsa_user_sgpr_kernarg_preload_length 0
		.amdhsa_user_sgpr_kernarg_preload_offset 0
		.amdhsa_user_sgpr_private_segment_size 0
		.amdhsa_uses_dynamic_stack 0
		.amdhsa_system_sgpr_private_segment_wavefront_offset 1
		.amdhsa_system_sgpr_workgroup_id_x 1
		.amdhsa_system_sgpr_workgroup_id_y 1
		.amdhsa_system_sgpr_workgroup_id_z 1
		.amdhsa_system_sgpr_workgroup_info 0
		.amdhsa_system_vgpr_workitem_id 1
		.amdhsa_next_free_vgpr 42
		.amdhsa_next_free_sgpr 74
		.amdhsa_accum_offset 44
		.amdhsa_reserve_vcc 1
		.amdhsa_reserve_flat_scratch 1
		.amdhsa_float_round_mode_32 0
		.amdhsa_float_round_mode_16_64 0
		.amdhsa_float_denorm_mode_32 3
		.amdhsa_float_denorm_mode_16_64 3
		.amdhsa_dx10_clamp 1
		.amdhsa_ieee_mode 1
		.amdhsa_fp16_overflow 0
		.amdhsa_tg_split 0
		.amdhsa_exception_fp_ieee_invalid_op 0
		.amdhsa_exception_fp_denorm_src 0
		.amdhsa_exception_fp_ieee_div_zero 0
		.amdhsa_exception_fp_ieee_overflow 0
		.amdhsa_exception_fp_ieee_underflow 0
		.amdhsa_exception_fp_ieee_inexact 0
		.amdhsa_exception_int_div_zero 0
	.end_amdhsa_kernel
	.section	.text._ZN9rocsolver6v33100L17syevj_diag_rotateILb1EffPfEEvbiiT2_iilPT0_Pii,"axG",@progbits,_ZN9rocsolver6v33100L17syevj_diag_rotateILb1EffPfEEvbiiT2_iilPT0_Pii,comdat
.Lfunc_end12:
	.size	_ZN9rocsolver6v33100L17syevj_diag_rotateILb1EffPfEEvbiiT2_iilPT0_Pii, .Lfunc_end12-_ZN9rocsolver6v33100L17syevj_diag_rotateILb1EffPfEEvbiiT2_iilPT0_Pii
                                        ; -- End function
	.section	.AMDGPU.csdata,"",@progbits
; Kernel info:
; codeLenInByte = 1368
; NumSgprs: 80
; NumVgprs: 42
; NumAgprs: 0
; TotalNumVgprs: 42
; ScratchSize: 64
; MemoryBound: 0
; FloatMode: 240
; IeeeMode: 1
; LDSByteSize: 0 bytes/workgroup (compile time only)
; SGPRBlocks: 9
; VGPRBlocks: 5
; NumSGPRsForWavesPerEU: 80
; NumVGPRsForWavesPerEU: 42
; AccumOffset: 44
; Occupancy: 8
; WaveLimiterHint : 1
; COMPUTE_PGM_RSRC2:SCRATCH_EN: 1
; COMPUTE_PGM_RSRC2:USER_SGPR: 8
; COMPUTE_PGM_RSRC2:TRAP_HANDLER: 0
; COMPUTE_PGM_RSRC2:TGID_X_EN: 1
; COMPUTE_PGM_RSRC2:TGID_Y_EN: 1
; COMPUTE_PGM_RSRC2:TGID_Z_EN: 1
; COMPUTE_PGM_RSRC2:TIDIG_COMP_CNT: 1
; COMPUTE_PGM_RSRC3_GFX90A:ACCUM_OFFSET: 10
; COMPUTE_PGM_RSRC3_GFX90A:TG_SPLIT: 0
	.section	.text._ZN9rocsolver6v33100L21syevj_offd_kernel_orgIffPfEEviiT1_iilT0_PT_PiS7_S7_,"axG",@progbits,_ZN9rocsolver6v33100L21syevj_offd_kernel_orgIffPfEEviiT1_iilT0_PT_PiS7_S7_,comdat
	.globl	_ZN9rocsolver6v33100L21syevj_offd_kernel_orgIffPfEEviiT1_iilT0_PT_PiS7_S7_ ; -- Begin function _ZN9rocsolver6v33100L21syevj_offd_kernel_orgIffPfEEviiT1_iilT0_PT_PiS7_S7_
	.p2align	8
	.type	_ZN9rocsolver6v33100L21syevj_offd_kernel_orgIffPfEEviiT1_iilT0_PT_PiS7_S7_,@function
_ZN9rocsolver6v33100L21syevj_offd_kernel_orgIffPfEEviiT1_iilT0_PT_PiS7_S7_: ; @_ZN9rocsolver6v33100L21syevj_offd_kernel_orgIffPfEEviiT1_iilT0_PT_PiS7_S7_
; %bb.0:
	s_load_dwordx8 s[8:15], s[4:5], 0x28
	s_mov_b32 s0, s7
	s_ashr_i32 s1, s7, 31
	s_lshl_b64 s[2:3], s[0:1], 2
	s_mov_b32 s7, 0
	s_waitcnt lgkmcnt(0)
	s_add_u32 s2, s14, s2
	s_addc_u32 s3, s15, s3
	s_load_dword s2, s[2:3], 0x4
	s_waitcnt lgkmcnt(0)
	s_cmp_lg_u32 s2, 0
	s_cbranch_scc1 .LBB13_39
; %bb.1:
	s_lshl_b64 s[2:3], s[6:7], 2
	s_add_u32 s10, s10, s2
	s_addc_u32 s11, s11, s3
	s_add_u32 s2, s12, s2
	s_load_dword s7, s[10:11], 0x0
	s_addc_u32 s3, s13, s3
	s_load_dword s10, s[2:3], 0x0
	s_load_dwordx2 s[12:13], s[4:5], 0x0
	s_waitcnt lgkmcnt(0)
	s_max_i32 s31, s7, s10
	s_cmp_ge_i32 s31, s12
	s_cbranch_scc1 .LBB13_39
; %bb.2:
	s_load_dword s11, s[4:5], 0x54
	s_add_u32 s2, s4, 0x48
	s_addc_u32 s3, s5, 0
	s_min_i32 s7, s7, s10
	v_bfe_u32 v6, v0, 10, 10
	s_waitcnt lgkmcnt(0)
	s_and_b32 s12, s11, 0xffff
	s_mul_i32 s7, s7, s12
	v_add_u32_e32 v1, s7, v6
	v_cmp_gt_i32_e32 vcc, s13, v1
	s_and_saveexec_b64 s[10:11], vcc
	s_cbranch_execz .LBB13_39
; %bb.3:
	s_cmp_eq_u64 s[8:9], 0
	s_mov_b64 s[14:15], 0
	s_cbranch_scc1 .LBB13_5
; %bb.4:
	s_load_dword s2, s[2:3], 0x0
	s_waitcnt lgkmcnt(0)
	s_mul_i32 s2, s2, s0
	s_add_i32 s2, s2, s6
	s_mul_i32 s2, s2, s12
	s_mul_i32 s2, s2, s12
	s_lshl_b32 s2, s2, 2
	s_ashr_i32 s3, s2, 31
	s_lshl_b64 s[2:3], s[2:3], 2
	s_add_u32 s14, s8, s2
	s_addc_u32 s15, s9, s3
.LBB13_5:
	s_lshl_b32 s6, s12, 1
	v_and_b32_e32 v0, 0x3ff, v0
	v_add_u32_e32 v10, s12, v6
	s_cmp_lg_u64 s[14:15], 0
	v_mul_u32_u24_e32 v5, s6, v6
	s_cselect_b64 s[16:17], -1, 0
	s_cmp_eq_u64 s[14:15], 0
	v_mad_u32_u24 v2, v10, s6, v0
	v_add_lshl_u32 v8, v5, v0, 2
	s_cbranch_scc1 .LBB13_7
; %bb.6:
	v_cmp_eq_u32_e32 vcc, v0, v6
	v_cndmask_b32_e64 v7, 0, 1.0, vcc
	v_mov_b32_e32 v9, s15
	v_add_co_u32_e32 v12, vcc, s14, v8
	v_mov_b32_e32 v3, 0
	v_addc_co_u32_e32 v13, vcc, 0, v9, vcc
	flat_store_dword v[12:13], v7
	v_lshlrev_b64 v[12:13], 2, v[2:3]
	v_add_u32_e32 v4, s12, v0
	v_add_co_u32_e32 v12, vcc, s14, v12
	v_addc_co_u32_e32 v13, vcc, v9, v13, vcc
	v_add_lshl_u32 v11, v5, v4, 2
	flat_store_dword v[12:13], v3
	v_add_co_u32_e32 v12, vcc, s14, v11
	v_addc_co_u32_e32 v13, vcc, 0, v9, vcc
	flat_store_dword v[12:13], v3
	v_mad_u32_u24 v12, v10, s6, v4
	v_mov_b32_e32 v13, v3
	v_lshlrev_b64 v[12:13], 2, v[12:13]
	v_add_co_u32_e32 v12, vcc, s14, v12
	v_addc_co_u32_e32 v13, vcc, v9, v13, vcc
	flat_store_dword v[12:13], v7
.LBB13_7:
	s_cmp_eq_u32 s12, 0
	s_cbranch_scc1 .LBB13_39
; %bb.8:
	s_load_dword s18, s[4:5], 0x20
	v_mov_b32_e32 v3, 0x800000
	s_mul_i32 s31, s31, s12
	v_add_u32_e32 v23, s31, v6
	v_mul_u32_u24_e32 v27, s6, v10
	s_waitcnt lgkmcnt(0)
	v_div_scale_f32 v4, s[2:3], s18, s18, v3
	v_rcp_f32_e32 v7, v4
	s_load_dwordx4 s[8:11], s[4:5], 0x8
	s_load_dwordx2 s[2:3], s[4:5], 0x18
	s_mov_b32 s4, 0x800000
	v_mov_b32_e32 v9, s18
	v_fma_f32 v11, -v4, v7, 1.0
	v_fmac_f32_e32 v7, v11, v7
	v_div_scale_f32 v9, vcc, s4, v9, s4
	v_mul_f32_e32 v11, v9, v7
	v_fma_f32 v12, -v4, v11, v9
	v_fmac_f32_e32 v11, v12, v7
	v_fma_f32 v4, -v4, v11, v9
	v_div_fmas_f32 v4, v4, v7, v11
	s_lshl_b32 s4, s12, 2
	v_div_fixup_f32 v22, v4, s18, v3
	s_add_i32 s18, s4, 0
	s_waitcnt lgkmcnt(0)
	s_ashr_i32 s5, s10, 31
	s_mov_b32 s4, s10
	s_mul_i32 s3, s0, s3
	s_mul_hi_u32 s10, s0, s2
	s_add_i32 s3, s10, s3
	s_mul_i32 s1, s1, s2
	s_add_i32 s1, s3, s1
	s_mul_i32 s0, s0, s2
	s_lshl_b64 s[0:1], s[0:1], 2
	s_add_u32 s2, s8, s0
	s_addc_u32 s3, s9, s1
	s_lshl_b64 s[0:1], s[4:5], 2
	v_add_u32_e32 v4, s7, v0
	s_add_u32 s10, s2, s0
	v_mul_lo_u32 v24, v4, s11
	s_addc_u32 s30, s3, s1
	v_cmp_eq_u32_e64 s[0:1], 0, v6
	v_add_u32_e32 v6, v24, v4
	v_ashrrev_i32_e32 v7, 31, v6
	v_lshlrev_b64 v[6:7], 2, v[6:7]
	v_mov_b32_e32 v3, s30
	v_add_co_u32_e32 v6, vcc, s10, v6
	v_addc_co_u32_e32 v7, vcc, v3, v7, vcc
	v_lshlrev_b32_e32 v3, 2, v0
	v_add_u32_e32 v25, 0, v3
	v_add_u32_e32 v26, s18, v3
	v_mov_b32_e32 v3, 0
	v_mov_b32_e32 v12, s15
	v_add_co_u32_e32 v8, vcc, s14, v8
	v_addc_co_u32_e32 v9, vcc, 0, v12, vcc
	v_lshlrev_b64 v[10:11], 2, v[2:3]
	v_add_co_u32_e32 v10, vcc, s14, v10
	v_addc_co_u32_e32 v11, vcc, v12, v11, vcc
	v_add_u32_e32 v12, v24, v1
	v_ashrrev_i32_e32 v13, 31, v12
	v_lshlrev_b64 v[12:13], 2, v[12:13]
	v_add_u32_e32 v14, v24, v23
	v_mov_b32_e32 v2, s30
	v_add_co_u32_e32 v12, vcc, s10, v12
	v_ashrrev_i32_e32 v15, 31, v14
	v_mul_lo_u32 v28, v1, s11
	v_addc_co_u32_e32 v13, vcc, v2, v13, vcc
	v_lshlrev_b64 v[14:15], 2, v[14:15]
	v_add_u32_e32 v16, v28, v4
	v_cvt_f32_u32_e32 v19, s12
	v_add_co_u32_e32 v14, vcc, s10, v14
	v_ashrrev_i32_e32 v17, 31, v16
	v_addc_co_u32_e32 v15, vcc, v2, v15, vcc
	v_lshlrev_b64 v[16:17], 2, v[16:17]
	v_add_co_u32_e32 v16, vcc, s10, v16
	v_addc_co_u32_e32 v17, vcc, v2, v17, vcc
	v_rcp_iflag_f32_e32 v2, v19
	v_mul_lo_u32 v29, v23, s11
	v_add_u32_e32 v18, v29, v4
	v_ashrrev_i32_e32 v19, 31, v18
	v_mul_f32_e32 v2, 0x4f7ffffe, v2
	v_cvt_u32_f32_e32 v2, v2
	v_lshlrev_b64 v[18:19], 2, v[18:19]
	v_mov_b32_e32 v20, s30
	v_add_co_u32_e32 v18, vcc, s10, v18
	s_sub_i32 s6, 0, s12
	v_addc_co_u32_e32 v19, vcc, v20, v19, vcc
	v_mul_lo_u32 v20, s6, v2
	v_mul_hi_u32 v20, v2, v20
	v_cmp_gt_i32_e64 s[2:3], s13, v4
	v_add_u32_e32 v30, v2, v20
	v_cmp_gt_i32_e64 s[4:5], s13, v23
	s_and_b64 s[18:19], s[0:1], s[2:3]
	v_mad_u64_u32 v[20:21], s[6:7], v0, v30, 0
	s_mov_b32 s33, 0x7f800000
	s_mov_b32 s34, 0xf800000
	v_mov_b32_e32 v31, 0x260
	v_mov_b32_e32 v32, 0x7f800000
	v_mov_b32_e32 v33, 0xff800000
	s_mov_b32 s35, s12
                                        ; implicit-def: $vgpr34
                                        ; implicit-def: $vgpr39
                                        ; implicit-def: $vgpr37
	s_branch .LBB13_10
.LBB13_9:                               ;   in Loop: Header=BB13_10 Depth=1
	s_or_b64 exec, exec, s[6:7]
	s_add_i32 s35, s35, -1
	v_add_co_u32_e32 v20, vcc, v20, v30
	v_add_u32_e32 v0, 1, v0
	s_cmp_lg_u32 s35, 0
	v_addc_co_u32_e32 v21, vcc, 0, v21, vcc
	s_cbranch_scc0 .LBB13_39
.LBB13_10:                              ; =>This Inner Loop Header: Depth=1
	v_mul_lo_u32 v2, s12, v21
	v_sub_u32_e32 v2, v0, v2
	v_not_b32_e32 v35, v21
	v_mad_u64_u32 v[40:41], s[6:7], s12, v35, v[0:1]
	v_cmp_le_u32_e32 vcc, s12, v2
	v_cndmask_b32_e32 v2, v2, v40, vcc
	v_subrev_u32_e32 v35, s12, v2
	v_cmp_le_u32_e32 vcc, s12, v2
	v_cndmask_b32_e32 v2, v2, v35, vcc
	v_add_u32_e32 v35, s31, v2
	v_cmp_gt_i32_e64 s[6:7], s13, v35
	s_and_b64 s[8:9], s[18:19], s[6:7]
	v_mul_lo_u32 v36, v35, s11
	s_and_saveexec_b64 s[20:21], s[8:9]
	s_cbranch_execz .LBB13_26
; %bb.11:                               ;   in Loop: Header=BB13_10 Depth=1
	v_add_u32_e32 v38, v36, v4
	v_ashrrev_i32_e32 v39, 31, v38
	v_lshlrev_b64 v[38:39], 2, v[38:39]
	v_mov_b32_e32 v37, s30
	v_add_co_u32_e32 v38, vcc, s10, v38
	v_addc_co_u32_e32 v39, vcc, v37, v39, vcc
	global_load_dword v38, v[38:39], off
	v_mov_b32_e32 v39, 0
	s_waitcnt vmcnt(0)
	v_mul_f32_e32 v37, v38, v38
	v_cmp_nlt_f32_e32 vcc, v37, v22
	v_mov_b32_e32 v37, 1.0
	s_and_saveexec_b64 s[22:23], vcc
	s_cbranch_execz .LBB13_25
; %bb.12:                               ;   in Loop: Header=BB13_10 Depth=1
	v_add_u32_e32 v40, v36, v35
	v_ashrrev_i32_e32 v41, 31, v40
	v_lshlrev_b64 v[40:41], 2, v[40:41]
	v_mov_b32_e32 v37, s30
	v_add_co_u32_e32 v40, vcc, s10, v40
	v_addc_co_u32_e32 v41, vcc, v37, v41, vcc
	global_load_dword v37, v[40:41], off
	global_load_dword v42, v[6:7], off
	v_add_f32_e64 v39, |v38|, |v38|
	s_waitcnt vmcnt(0)
	v_sub_f32_e32 v40, v37, v42
	v_max_f32_e64 v37, |v40|, |v39|
	v_cvt_f64_f32_e32 v[42:43], v37
	v_frexp_exp_i32_f64_e32 v41, v[42:43]
	v_sub_u32_e32 v42, 0, v41
	v_ldexp_f32 v43, |v40|, v42
	v_ldexp_f32 v42, |v39|, v42
	v_mul_f32_e32 v42, v42, v42
	v_fmac_f32_e32 v42, v43, v43
	v_sqrt_f32_e32 v43, v42
	v_cmp_ngt_f32_e32 vcc, 0, v40
                                        ; implicit-def: $vgpr42
	s_and_saveexec_b64 s[8:9], vcc
	s_xor_b64 s[8:9], exec, s[8:9]
; %bb.13:                               ;   in Loop: Header=BB13_10 Depth=1
	v_ldexp_f32 v41, v43, v41
	v_cmp_neq_f32_e32 vcc, s33, v37
	v_cndmask_b32_e32 v42, v32, v41, vcc
                                        ; implicit-def: $vgpr43
                                        ; implicit-def: $vgpr41
                                        ; implicit-def: $vgpr37
; %bb.14:                               ;   in Loop: Header=BB13_10 Depth=1
	s_andn2_saveexec_b64 s[8:9], s[8:9]
; %bb.15:                               ;   in Loop: Header=BB13_10 Depth=1
	v_ldexp_f32 v41, -v43, v41
	v_cmp_neq_f32_e32 vcc, s33, v37
	v_cndmask_b32_e32 v42, v33, v41, vcc
; %bb.16:                               ;   in Loop: Header=BB13_10 Depth=1
	s_or_b64 exec, exec, s[8:9]
	v_cmp_neq_f32_e32 vcc, 0, v39
	v_mov_b32_e32 v37, 1.0
	v_mov_b32_e32 v41, 0
	s_and_saveexec_b64 s[24:25], vcc
	s_cbranch_execz .LBB13_24
; %bb.17:                               ;   in Loop: Header=BB13_10 Depth=1
	v_add_f32_e32 v40, v40, v42
	v_cmp_neq_f32_e32 vcc, 0, v40
	v_mov_b32_e32 v41, 1.0
	v_mov_b32_e32 v37, 0
	s_and_saveexec_b64 s[26:27], vcc
	s_cbranch_execz .LBB13_23
; %bb.18:                               ;   in Loop: Header=BB13_10 Depth=1
	v_cmp_ngt_f32_e64 s[8:9], |v39|, |v40|
                                        ; implicit-def: $vgpr41
                                        ; implicit-def: $vgpr37
	s_and_saveexec_b64 s[28:29], s[8:9]
	s_xor_b64 s[28:29], exec, s[28:29]
	s_cbranch_execz .LBB13_20
; %bb.19:                               ;   in Loop: Header=BB13_10 Depth=1
	v_div_scale_f32 v37, s[8:9], v40, v40, -v39
	v_rcp_f32_e32 v41, v37
	v_div_scale_f32 v42, vcc, -v39, v40, -v39
	v_fma_f32 v43, -v37, v41, 1.0
	v_fmac_f32_e32 v41, v43, v41
	v_mul_f32_e32 v43, v42, v41
	v_fma_f32 v44, -v37, v43, v42
	v_fmac_f32_e32 v43, v44, v41
	v_fma_f32 v37, -v37, v43, v42
	v_div_fmas_f32 v37, v37, v41, v43
	v_div_fixup_f32 v39, v37, v40, -v39
	v_fma_f32 v37, v39, v39, 1.0
	v_mul_f32_e32 v40, 0x4f800000, v37
	v_cmp_gt_f32_e32 vcc, s34, v37
	v_cndmask_b32_e32 v37, v37, v40, vcc
	v_sqrt_f32_e32 v40, v37
	v_add_u32_e32 v41, -1, v40
	v_fma_f32 v42, -v41, v40, v37
	v_cmp_ge_f32_e64 s[8:9], 0, v42
	v_add_u32_e32 v42, 1, v40
	v_cndmask_b32_e64 v41, v40, v41, s[8:9]
	v_fma_f32 v40, -v42, v40, v37
	v_cmp_lt_f32_e64 s[8:9], 0, v40
	v_cndmask_b32_e64 v40, v41, v42, s[8:9]
	v_mul_f32_e32 v41, 0x37800000, v40
	v_cndmask_b32_e32 v40, v40, v41, vcc
	v_cmp_class_f32_e32 vcc, v37, v31
	v_cndmask_b32_e32 v37, v40, v37, vcc
	v_div_scale_f32 v40, s[8:9], v37, v37, 1.0
	v_rcp_f32_e32 v41, v40
	v_fma_f32 v42, -v40, v41, 1.0
	v_fmac_f32_e32 v41, v42, v41
	v_div_scale_f32 v42, vcc, 1.0, v37, 1.0
	v_mul_f32_e32 v43, v42, v41
	v_fma_f32 v44, -v40, v43, v42
	v_fmac_f32_e32 v43, v44, v41
	v_fma_f32 v40, -v40, v43, v42
	v_div_fmas_f32 v40, v40, v41, v43
	v_div_fixup_f32 v37, v40, v37, 1.0
	v_mul_f32_e32 v41, v39, v37
                                        ; implicit-def: $vgpr39
                                        ; implicit-def: $vgpr40
.LBB13_20:                              ;   in Loop: Header=BB13_10 Depth=1
	s_andn2_saveexec_b64 s[28:29], s[28:29]
	s_cbranch_execz .LBB13_22
; %bb.21:                               ;   in Loop: Header=BB13_10 Depth=1
	v_div_scale_f32 v37, s[8:9], v39, v39, -v40
	v_rcp_f32_e32 v41, v37
	v_div_scale_f32 v42, vcc, -v40, v39, -v40
	v_fma_f32 v43, -v37, v41, 1.0
	v_fmac_f32_e32 v41, v43, v41
	v_mul_f32_e32 v43, v42, v41
	v_fma_f32 v44, -v37, v43, v42
	v_fmac_f32_e32 v43, v44, v41
	v_fma_f32 v37, -v37, v43, v42
	v_div_fmas_f32 v37, v37, v41, v43
	v_div_fixup_f32 v37, v37, v39, -v40
	v_fma_f32 v39, v37, v37, 1.0
	v_mul_f32_e32 v40, 0x4f800000, v39
	v_cmp_gt_f32_e32 vcc, s34, v39
	v_cndmask_b32_e32 v39, v39, v40, vcc
	v_sqrt_f32_e32 v40, v39
	v_add_u32_e32 v41, -1, v40
	v_fma_f32 v42, -v41, v40, v39
	v_cmp_ge_f32_e64 s[8:9], 0, v42
	v_add_u32_e32 v42, 1, v40
	v_cndmask_b32_e64 v41, v40, v41, s[8:9]
	v_fma_f32 v40, -v42, v40, v39
	v_cmp_lt_f32_e64 s[8:9], 0, v40
	v_cndmask_b32_e64 v40, v41, v42, s[8:9]
	v_mul_f32_e32 v41, 0x37800000, v40
	v_cndmask_b32_e32 v40, v40, v41, vcc
	v_cmp_class_f32_e32 vcc, v39, v31
	v_cndmask_b32_e32 v39, v40, v39, vcc
	v_div_scale_f32 v40, s[8:9], v39, v39, 1.0
	v_rcp_f32_e32 v41, v40
	v_fma_f32 v42, -v40, v41, 1.0
	v_fmac_f32_e32 v41, v42, v41
	v_div_scale_f32 v42, vcc, 1.0, v39, 1.0
	v_mul_f32_e32 v43, v42, v41
	v_fma_f32 v44, -v40, v43, v42
	v_fmac_f32_e32 v43, v44, v41
	v_fma_f32 v40, -v40, v43, v42
	v_div_fmas_f32 v40, v40, v41, v43
	v_div_fixup_f32 v41, v40, v39, 1.0
	v_mul_f32_e32 v37, v37, v41
.LBB13_22:                              ;   in Loop: Header=BB13_10 Depth=1
	s_or_b64 exec, exec, s[28:29]
.LBB13_23:                              ;   in Loop: Header=BB13_10 Depth=1
	s_or_b64 exec, exec, s[26:27]
.LBB13_24:                              ;   in Loop: Header=BB13_10 Depth=1
	s_or_b64 exec, exec, s[24:25]
	v_mul_f32_e32 v39, v38, v41
	v_and_b32_e32 v40, 0x7fffffff, v38
	v_div_scale_f32 v41, s[8:9], v40, v40, v39
	v_rcp_f32_e32 v42, v41
	v_div_scale_f32 v40, vcc, v39, v40, v39
	v_fma_f32 v43, -v41, v42, 1.0
	v_fmac_f32_e32 v42, v43, v42
	v_mul_f32_e32 v43, v40, v42
	v_fma_f32 v44, -v41, v43, v40
	v_fmac_f32_e32 v43, v44, v42
	v_fma_f32 v40, -v41, v43, v40
	v_div_fmas_f32 v40, v40, v42, v43
	v_div_fixup_f32 v39, v40, |v38|, v39
.LBB13_25:                              ;   in Loop: Header=BB13_10 Depth=1
	s_or_b64 exec, exec, s[22:23]
	ds_write_b32 v25, v37
	ds_write_b32 v26, v39
.LBB13_26:                              ;   in Loop: Header=BB13_10 Depth=1
	s_or_b64 exec, exec, s[20:21]
	s_and_b64 s[8:9], s[2:3], s[6:7]
	s_waitcnt lgkmcnt(0)
	s_barrier
	s_and_saveexec_b64 s[20:21], s[8:9]
	s_cbranch_execz .LBB13_34
; %bb.27:                               ;   in Loop: Header=BB13_10 Depth=1
	ds_read_b32 v37, v25
	ds_read_b32 v34, v26
	s_andn2_b64 vcc, exec, s[16:17]
	s_cbranch_vccnz .LBB13_31
; %bb.28:                               ;   in Loop: Header=BB13_10 Depth=1
	v_add_u32_e32 v38, s12, v2
	v_add_u32_e32 v2, v38, v5
	v_lshlrev_b64 v[40:41], 2, v[2:3]
	v_mov_b32_e32 v2, s15
	v_add_co_u32_e32 v40, vcc, s14, v40
	v_addc_co_u32_e32 v41, vcc, v2, v41, vcc
	flat_load_dword v2, v[8:9]
	flat_load_dword v39, v[40:41]
	s_waitcnt vmcnt(0) lgkmcnt(0)
	v_mul_f32_e32 v42, v34, v2
	v_mul_f32_e32 v43, v34, v39
	v_fmac_f32_e32 v43, v37, v2
	v_fma_f32 v39, v37, v39, -v42
	flat_store_dword v[8:9], v43
	flat_store_dword v[40:41], v39
	s_and_saveexec_b64 s[22:23], s[4:5]
	s_cbranch_execz .LBB13_30
; %bb.29:                               ;   in Loop: Header=BB13_10 Depth=1
	v_add_u32_e32 v2, v38, v27
	v_lshlrev_b64 v[38:39], 2, v[2:3]
	v_mov_b32_e32 v2, s15
	v_add_co_u32_e32 v38, vcc, s14, v38
	v_addc_co_u32_e32 v39, vcc, v2, v39, vcc
	flat_load_dword v2, v[10:11]
	flat_load_dword v40, v[38:39]
	s_waitcnt vmcnt(0) lgkmcnt(0)
	v_mul_f32_e32 v41, v34, v2
	v_mul_f32_e32 v42, v34, v40
	v_fmac_f32_e32 v42, v37, v2
	v_fma_f32 v40, v37, v40, -v41
	flat_store_dword v[10:11], v42
	flat_store_dword v[38:39], v40
.LBB13_30:                              ;   in Loop: Header=BB13_10 Depth=1
	s_or_b64 exec, exec, s[22:23]
.LBB13_31:                              ;   in Loop: Header=BB13_10 Depth=1
	v_add_u32_e32 v38, v36, v1
	v_ashrrev_i32_e32 v39, 31, v38
	v_lshlrev_b64 v[38:39], 2, v[38:39]
	v_mov_b32_e32 v2, s30
	v_add_co_u32_e32 v38, vcc, s10, v38
	v_addc_co_u32_e32 v39, vcc, v2, v39, vcc
	global_load_dword v2, v[12:13], off
	global_load_dword v40, v[38:39], off
	s_waitcnt vmcnt(0) lgkmcnt(0)
	v_mul_f32_e32 v41, v34, v2
	v_mul_f32_e32 v42, v34, v40
	v_fmac_f32_e32 v42, v37, v2
	v_fma_f32 v40, v37, v40, -v41
	global_store_dword v[12:13], v42, off
	global_store_dword v[38:39], v40, off
	s_and_saveexec_b64 s[22:23], s[4:5]
	s_cbranch_execz .LBB13_33
; %bb.32:                               ;   in Loop: Header=BB13_10 Depth=1
	v_add_u32_e32 v38, v36, v23
	v_ashrrev_i32_e32 v39, 31, v38
	v_lshlrev_b64 v[38:39], 2, v[38:39]
	v_mov_b32_e32 v2, s30
	v_add_co_u32_e32 v38, vcc, s10, v38
	v_addc_co_u32_e32 v39, vcc, v2, v39, vcc
	global_load_dword v2, v[14:15], off
	global_load_dword v36, v[38:39], off
	s_waitcnt vmcnt(1)
	v_mul_f32_e32 v40, v34, v2
	s_waitcnt vmcnt(0)
	v_mul_f32_e32 v41, v34, v36
	v_fmac_f32_e32 v41, v37, v2
	v_fma_f32 v36, v37, v36, -v40
	global_store_dword v[14:15], v41, off
	global_store_dword v[38:39], v36, off
.LBB13_33:                              ;   in Loop: Header=BB13_10 Depth=1
	s_or_b64 exec, exec, s[22:23]
	v_mov_b32_e32 v39, v34
.LBB13_34:                              ;   in Loop: Header=BB13_10 Depth=1
	s_or_b64 exec, exec, s[20:21]
	s_barrier
	s_and_saveexec_b64 s[20:21], s[8:9]
	s_cbranch_execz .LBB13_37
; %bb.35:                               ;   in Loop: Header=BB13_10 Depth=1
	v_add_u32_e32 v40, v35, v28
	v_ashrrev_i32_e32 v41, 31, v40
	v_lshlrev_b64 v[40:41], 2, v[40:41]
	v_mov_b32_e32 v2, s30
	v_add_co_u32_e32 v40, vcc, s10, v40
	v_addc_co_u32_e32 v41, vcc, v2, v41, vcc
	global_load_dword v2, v[16:17], off
	global_load_dword v36, v[40:41], off
	s_waitcnt vmcnt(0)
	v_mul_f32_e32 v38, v34, v2
	v_mul_f32_e32 v42, v39, v36
	v_fmac_f32_e32 v42, v37, v2
	v_fma_f32 v36, v37, v36, -v38
	global_store_dword v[16:17], v42, off
	global_store_dword v[40:41], v36, off
	s_and_b64 exec, exec, s[4:5]
	s_cbranch_execz .LBB13_37
; %bb.36:                               ;   in Loop: Header=BB13_10 Depth=1
	v_add_u32_e32 v40, v35, v29
	v_ashrrev_i32_e32 v41, 31, v40
	v_lshlrev_b64 v[40:41], 2, v[40:41]
	v_mov_b32_e32 v2, s30
	v_add_co_u32_e32 v40, vcc, s10, v40
	v_addc_co_u32_e32 v41, vcc, v2, v41, vcc
	global_load_dword v2, v[18:19], off
	global_load_dword v36, v[40:41], off
	s_waitcnt vmcnt(1)
	v_mul_f32_e32 v38, v34, v2
	s_waitcnt vmcnt(0)
	v_mul_f32_e32 v42, v39, v36
	v_fmac_f32_e32 v42, v37, v2
	v_fma_f32 v36, v37, v36, -v38
	global_store_dword v[18:19], v42, off
	global_store_dword v[40:41], v36, off
.LBB13_37:                              ;   in Loop: Header=BB13_10 Depth=1
	s_or_b64 exec, exec, s[20:21]
	s_and_b64 s[8:9], s[0:1], s[6:7]
	s_barrier
	s_and_saveexec_b64 s[6:7], s[8:9]
	s_cbranch_execz .LBB13_9
; %bb.38:                               ;   in Loop: Header=BB13_10 Depth=1
	v_mad_u64_u32 v[40:41], s[8:9], v35, s11, v[4:5]
	v_ashrrev_i32_e32 v41, 31, v40
	v_lshlrev_b64 v[40:41], 2, v[40:41]
	v_mov_b32_e32 v2, s30
	v_add_co_u32_e32 v40, vcc, s10, v40
	v_addc_co_u32_e32 v41, vcc, v2, v41, vcc
	global_store_dword v[40:41], v3, off
	v_add_u32_e32 v40, v35, v24
	v_ashrrev_i32_e32 v41, 31, v40
	v_lshlrev_b64 v[40:41], 2, v[40:41]
	v_add_co_u32_e32 v40, vcc, s10, v40
	v_addc_co_u32_e32 v41, vcc, v2, v41, vcc
	global_store_dword v[40:41], v3, off
	s_branch .LBB13_9
.LBB13_39:
	s_endpgm
	.section	.rodata,"a",@progbits
	.p2align	6, 0x0
	.amdhsa_kernel _ZN9rocsolver6v33100L21syevj_offd_kernel_orgIffPfEEviiT1_iilT0_PT_PiS7_S7_
		.amdhsa_group_segment_fixed_size 0
		.amdhsa_private_segment_fixed_size 0
		.amdhsa_kernarg_size 328
		.amdhsa_user_sgpr_count 6
		.amdhsa_user_sgpr_private_segment_buffer 1
		.amdhsa_user_sgpr_dispatch_ptr 0
		.amdhsa_user_sgpr_queue_ptr 0
		.amdhsa_user_sgpr_kernarg_segment_ptr 1
		.amdhsa_user_sgpr_dispatch_id 0
		.amdhsa_user_sgpr_flat_scratch_init 0
		.amdhsa_user_sgpr_kernarg_preload_length 0
		.amdhsa_user_sgpr_kernarg_preload_offset 0
		.amdhsa_user_sgpr_private_segment_size 0
		.amdhsa_uses_dynamic_stack 0
		.amdhsa_system_sgpr_private_segment_wavefront_offset 0
		.amdhsa_system_sgpr_workgroup_id_x 1
		.amdhsa_system_sgpr_workgroup_id_y 0
		.amdhsa_system_sgpr_workgroup_id_z 1
		.amdhsa_system_sgpr_workgroup_info 0
		.amdhsa_system_vgpr_workitem_id 1
		.amdhsa_next_free_vgpr 45
		.amdhsa_next_free_sgpr 36
		.amdhsa_accum_offset 48
		.amdhsa_reserve_vcc 1
		.amdhsa_reserve_flat_scratch 0
		.amdhsa_float_round_mode_32 0
		.amdhsa_float_round_mode_16_64 0
		.amdhsa_float_denorm_mode_32 3
		.amdhsa_float_denorm_mode_16_64 3
		.amdhsa_dx10_clamp 1
		.amdhsa_ieee_mode 1
		.amdhsa_fp16_overflow 0
		.amdhsa_tg_split 0
		.amdhsa_exception_fp_ieee_invalid_op 0
		.amdhsa_exception_fp_denorm_src 0
		.amdhsa_exception_fp_ieee_div_zero 0
		.amdhsa_exception_fp_ieee_overflow 0
		.amdhsa_exception_fp_ieee_underflow 0
		.amdhsa_exception_fp_ieee_inexact 0
		.amdhsa_exception_int_div_zero 0
	.end_amdhsa_kernel
	.section	.text._ZN9rocsolver6v33100L21syevj_offd_kernel_orgIffPfEEviiT1_iilT0_PT_PiS7_S7_,"axG",@progbits,_ZN9rocsolver6v33100L21syevj_offd_kernel_orgIffPfEEviiT1_iilT0_PT_PiS7_S7_,comdat
.Lfunc_end13:
	.size	_ZN9rocsolver6v33100L21syevj_offd_kernel_orgIffPfEEviiT1_iilT0_PT_PiS7_S7_, .Lfunc_end13-_ZN9rocsolver6v33100L21syevj_offd_kernel_orgIffPfEEviiT1_iilT0_PT_PiS7_S7_
                                        ; -- End function
	.section	.AMDGPU.csdata,"",@progbits
; Kernel info:
; codeLenInByte = 2684
; NumSgprs: 40
; NumVgprs: 45
; NumAgprs: 0
; TotalNumVgprs: 45
; ScratchSize: 0
; MemoryBound: 0
; FloatMode: 240
; IeeeMode: 1
; LDSByteSize: 0 bytes/workgroup (compile time only)
; SGPRBlocks: 4
; VGPRBlocks: 5
; NumSGPRsForWavesPerEU: 40
; NumVGPRsForWavesPerEU: 45
; AccumOffset: 48
; Occupancy: 8
; WaveLimiterHint : 0
; COMPUTE_PGM_RSRC2:SCRATCH_EN: 0
; COMPUTE_PGM_RSRC2:USER_SGPR: 6
; COMPUTE_PGM_RSRC2:TRAP_HANDLER: 0
; COMPUTE_PGM_RSRC2:TGID_X_EN: 1
; COMPUTE_PGM_RSRC2:TGID_Y_EN: 0
; COMPUTE_PGM_RSRC2:TGID_Z_EN: 1
; COMPUTE_PGM_RSRC2:TIDIG_COMP_CNT: 1
; COMPUTE_PGM_RSRC3_GFX90A:ACCUM_OFFSET: 11
; COMPUTE_PGM_RSRC3_GFX90A:TG_SPLIT: 0
	.section	.text._ZN9rocsolver6v33100L17syevj_offd_kernelIffPfEEviiT1_iilT0_PT_PiS7_S7_i,"axG",@progbits,_ZN9rocsolver6v33100L17syevj_offd_kernelIffPfEEviiT1_iilT0_PT_PiS7_S7_i,comdat
	.globl	_ZN9rocsolver6v33100L17syevj_offd_kernelIffPfEEviiT1_iilT0_PT_PiS7_S7_i ; -- Begin function _ZN9rocsolver6v33100L17syevj_offd_kernelIffPfEEviiT1_iilT0_PT_PiS7_S7_i
	.p2align	8
	.type	_ZN9rocsolver6v33100L17syevj_offd_kernelIffPfEEviiT1_iilT0_PT_PiS7_S7_i,@function
_ZN9rocsolver6v33100L17syevj_offd_kernelIffPfEEviiT1_iilT0_PT_PiS7_S7_i: ; @_ZN9rocsolver6v33100L17syevj_offd_kernelIffPfEEviiT1_iilT0_PT_PiS7_S7_i
; %bb.0:
	s_mov_b32 s20, s7
	s_load_dwordx2 s[22:23], s[4:5], 0x0
	s_load_dword s7, s[4:5], 0x48
	s_waitcnt lgkmcnt(0)
	s_abs_i32 s0, s22
	v_cvt_f32_u32_e32 v1, s0
	s_cmp_ge_u32 s20, s7
	v_rcp_iflag_f32_e32 v1, v1
	v_mul_f32_e32 v1, 0x4f7ffffe, v1
	v_cvt_u32_f32_e32 v1, v1
	v_readfirstlane_b32 s1, v1
	s_cbranch_scc1 .LBB14_82
; %bb.1:
	s_sub_i32 s8, 0, s0
	s_mul_i32 s8, s8, s1
	s_add_i32 s2, s23, -1
	s_mul_hi_u32 s8, s1, s8
	s_ashr_i32 s21, s2, 31
	s_abs_i32 s2, s2
	s_add_i32 s1, s1, s8
	s_mul_hi_u32 s1, s2, s1
	s_mul_i32 s28, s1, s0
	s_ashr_i32 s3, s22, 31
	s_sub_i32 s2, s2, s28
	s_xor_b32 s21, s21, s3
	s_add_i32 s28, s1, 1
	s_sub_i32 s29, s2, s0
	s_cmp_ge_u32 s2, s0
	s_cselect_b32 s1, s28, s1
	s_cselect_b32 s2, s29, s2
	s_add_i32 s28, s1, 1
	s_cmp_ge_u32 s2, s0
	s_cselect_b32 s0, s28, s1
	s_xor_b32 s0, s0, s21
	s_sub_i32 s33, s0, s21
	s_add_i32 s0, s33, 1
	s_lshr_b32 s1, s0, 31
	s_add_i32 s1, s0, s1
	s_and_b32 s1, s1, -2
	s_sub_i32 s1, s0, s1
	s_add_i32 s0, s1, s0
	s_load_dwordx4 s[8:11], s[4:5], 0x8
	s_load_dwordx2 s[26:27], s[4:5], 0x18
	s_load_dword s24, s[4:5], 0x20
	s_load_dwordx8 s[12:19], s[4:5], 0x28
	s_lshr_b32 s1, s0, 31
	s_load_dword s60, s[4:5], 0x50
	s_load_dwordx2 s[28:29], s[4:5], 0x58
	s_add_i32 s0, s0, s1
	s_lshl_b32 s63, s22, 2
	s_ashr_i32 s61, s0, 1
	s_add_i32 s0, s63, 0
	s_mov_b32 s2, s22
	s_add_i32 s64, s0, s63
	s_mov_b64 s[0:1], src_shared_base
	s_lshl_b32 s66, s22, 1
	s_mov_b32 s65, s1
	s_lshl_b64 s[0:1], s[2:3], 3
	s_mul_hi_i32 s3, s66, s66
	s_mul_i32 s2, s66, s66
	s_waitcnt lgkmcnt(0)
	s_lshr_b32 s62, s29, 16
	s_and_b32 s29, s29, 0xffff
	s_lshl_b64 s[2:3], s[2:3], 2
	v_and_b32_e32 v6, 0x3ff, v0
	v_bfe_u32 v7, v0, 10, 10
	s_add_u32 s0, s2, s0
	v_mov_b32_e32 v0, 0x10000
	s_mul_i32 s2, s22, s22
	s_addc_u32 s1, s3, s1
	v_mov_b32_e32 v1, 0
	s_ashr_i32 s39, s10, 31
	s_lshl_b32 s67, s2, 2
	v_cmp_gt_u64_e64 s[0:1], s[0:1], v[0:1]
	s_cmp_lt_u32 s6, s61
	s_mul_i32 s2, s33, s22
	v_mov_b32_e32 v0, 0x800000
	s_cselect_b64 s[30:31], -1, 0
	s_sub_i32 s68, s23, s2
	v_div_scale_f32 v1, s[2:3], s24, s24, v0
	v_rcp_f32_e32 v2, v1
	s_mov_b32 s2, 0x800000
	s_cmp_lg_u64 s[12:13], 0
	s_cselect_b64 s[34:35], -1, 0
	v_fma_f32 v3, -v1, v2, 1.0
	v_fmac_f32_e32 v2, v3, v2
	v_mov_b32_e32 v3, s24
	v_div_scale_f32 v3, vcc, s2, v3, s2
	v_mul_f32_e32 v4, v3, v2
	v_fma_f32 v5, -v1, v4, v3
	v_fmac_f32_e32 v4, v5, v2
	v_fma_f32 v1, -v1, v4, v3
	v_div_fmas_f32 v1, v1, v2, v4
	v_div_fixup_f32 v8, v1, s24, v0
	v_cvt_f32_u32_e32 v0, s22
	s_cmp_gt_i32 s22, 0
	s_cselect_b64 s[36:37], -1, 0
	s_ashr_i32 s69, s11, 31
	v_rcp_iflag_f32_e32 v0, v0
	s_mov_b32 s38, s10
	s_add_u32 s71, s18, 4
	s_mov_b32 s70, s11
	v_mul_f32_e32 v0, 0x4f7ffffe, v0
	v_cvt_u32_f32_e32 v0, v0
	s_addc_u32 s72, s19, 0
	s_lshl_b64 s[10:11], s[38:39], 2
	s_add_u32 s73, s8, s10
	s_addc_u32 s74, s9, s11
	s_sub_i32 s75, 0, s22
	v_mul_lo_u32 v1, s75, v0
	v_mul_hi_u32 v1, v0, v1
	v_add_u32_e32 v9, v0, v1
	v_mul_lo_u32 v0, v7, s22
	v_lshlrev_b32_e32 v10, 1, v0
	v_add_u32_e32 v0, s22, v7
	s_mul_i32 s8, s22, s62
	v_mul_lo_u32 v0, s22, v0
	s_mov_b32 s25, 0
	v_cmp_gt_u32_e64 s[2:3], s22, v7
	v_cmp_gt_u32_e64 s[4:5], s22, v6
	v_mov_b32_e32 v1, 0
	s_lshl_b32 s76, s8, 1
	v_lshl_add_u32 v11, v6, 2, 0
	s_lshl_b32 s77, s29, 2
	v_add_u32_e32 v12, v6, v10
	v_lshl_add_u32 v13, v0, 1, v6
	s_mov_b32 s78, 0x7f800000
	s_mov_b32 s79, 0xf800000
	v_mov_b32_e32 v14, 0x260
	v_mov_b32_e32 v15, 0x7f800000
	;; [unrolled: 1-line block ×3, first 2 shown]
	s_branch .LBB14_3
.LBB14_2:                               ;   in Loop: Header=BB14_3 Depth=1
	s_add_i32 s20, s20, s28
	s_cmp_ge_u32 s20, s7
	s_cbranch_scc1 .LBB14_82
.LBB14_3:                               ; =>This Loop Header: Depth=1
                                        ;     Child Loop BB14_8 Depth 2
                                        ;       Child Loop BB14_16 Depth 3
                                        ;         Child Loop BB14_18 Depth 4
                                        ;       Child Loop BB14_23 Depth 3
                                        ;         Child Loop BB14_26 Depth 4
                                        ;           Child Loop BB14_33 Depth 5
                                        ;         Child Loop BB14_48 Depth 4
                                        ;           Child Loop BB14_51 Depth 5
	;; [unrolled: 2-line block ×4, first 2 shown]
                                        ;       Child Loop BB14_79 Depth 3
                                        ;         Child Loop BB14_81 Depth 4
	s_mov_b32 s21, s25
	s_lshl_b64 s[8:9], s[20:21], 2
	s_add_u32 s8, s71, s8
	s_addc_u32 s9, s72, s9
	global_load_dword v0, v1, s[8:9]
	s_waitcnt vmcnt(0)
	v_cmp_ne_u32_e32 vcc, 0, v0
	s_cbranch_vccnz .LBB14_2
; %bb.4:                                ;   in Loop: Header=BB14_3 Depth=1
	s_andn2_b64 vcc, exec, s[30:31]
	s_cbranch_vccnz .LBB14_2
; %bb.5:                                ;   in Loop: Header=BB14_3 Depth=1
	s_mul_i32 s8, s20, s27
	s_mul_hi_u32 s9, s20, s26
	s_add_i32 s9, s9, s8
	s_mul_i32 s8, s20, s26
	s_lshl_b64 s[8:9], s[8:9], 2
	s_add_u32 s21, s73, s8
	s_addc_u32 s80, s74, s9
	s_mul_i32 s81, s20, s61
	s_mov_b32 s24, s6
	s_branch .LBB14_8
.LBB14_6:                               ;   in Loop: Header=BB14_8 Depth=2
	s_or_b64 exec, exec, s[38:39]
	s_waitcnt lgkmcnt(0)
	s_barrier
.LBB14_7:                               ;   in Loop: Header=BB14_8 Depth=2
	s_add_i32 s24, s24, s60
	s_cmp_lt_u32 s24, s61
	s_cbranch_scc0 .LBB14_2
.LBB14_8:                               ;   Parent Loop BB14_3 Depth=1
                                        ; =>  This Loop Header: Depth=2
                                        ;       Child Loop BB14_16 Depth 3
                                        ;         Child Loop BB14_18 Depth 4
                                        ;       Child Loop BB14_23 Depth 3
                                        ;         Child Loop BB14_26 Depth 4
                                        ;           Child Loop BB14_33 Depth 5
                                        ;         Child Loop BB14_48 Depth 4
                                        ;           Child Loop BB14_51 Depth 5
	;; [unrolled: 2-line block ×4, first 2 shown]
                                        ;       Child Loop BB14_79 Depth 3
                                        ;         Child Loop BB14_81 Depth 4
	s_lshl_b64 s[8:9], s[24:25], 2
	s_add_u32 s10, s14, s8
	s_addc_u32 s11, s15, s9
	s_add_u32 s8, s16, s8
	s_addc_u32 s9, s17, s9
	global_load_dword v0, v1, s[10:11]
	global_load_dword v2, v1, s[8:9]
	s_waitcnt vmcnt(0)
	v_readfirstlane_b32 s8, v0
	s_waitcnt vmcnt(0)
	v_readfirstlane_b32 s9, v2
	s_max_i32 s84, s8, s9
	s_cmp_gt_i32 s84, s33
	s_cbranch_scc1 .LBB14_7
; %bb.9:                                ;   in Loop: Header=BB14_8 Depth=2
	s_andn2_b64 vcc, exec, s[34:35]
	s_cbranch_vccnz .LBB14_11
; %bb.10:                               ;   in Loop: Header=BB14_8 Depth=2
	s_add_i32 s8, s24, s81
	s_mul_i32 s8, s67, s8
	s_mov_b32 s9, s25
	s_lshl_b64 s[8:9], s[8:9], 2
	s_add_u32 s18, s12, s8
	s_addc_u32 s19, s13, s9
	s_branch .LBB14_12
.LBB14_11:                              ;   in Loop: Header=BB14_8 Depth=2
	s_mov_b64 s[18:19], 0
.LBB14_12:                              ;   in Loop: Header=BB14_8 Depth=2
	v_min_i32_e32 v2, v2, v0
	v_mov_b32_e32 v0, s22
	v_mov_b32_e32 v3, s68
	v_cmp_eq_u32_e32 vcc, s33, v2
	s_cmp_eq_u32 s33, s84
	v_cndmask_b32_e32 v0, v0, v3, vcc
	s_cselect_b32 s8, s68, s22
	v_add_u32_e32 v17, s8, v0
	s_and_b64 s[8:9], s[0:1], exec
	s_cselect_b32 s82, s19, s65
	s_cselect_b32 s83, s18, s64
	s_cmp_eq_u64 s[18:19], 0
	s_cselect_b64 s[38:39], -1, 0
	s_cmp_lg_u64 s[18:19], 0
	s_cselect_b64 s[40:41], -1, 0
	s_and_b64 vcc, exec, s[38:39]
	s_cbranch_vccnz .LBB14_20
; %bb.13:                               ;   in Loop: Header=BB14_8 Depth=2
	v_cmp_lt_u32_e32 vcc, v7, v17
	s_barrier
	s_and_saveexec_b64 s[42:43], vcc
	s_cbranch_execz .LBB14_19
; %bb.14:                               ;   in Loop: Header=BB14_8 Depth=2
	v_cmp_lt_u32_e32 vcc, v6, v17
	s_mov_b64 s[44:45], 0
	v_mov_b32_e32 v3, v10
	v_mov_b32_e32 v4, v7
	s_branch .LBB14_16
.LBB14_15:                              ;   in Loop: Header=BB14_16 Depth=3
	s_or_b64 exec, exec, s[46:47]
	v_add_u32_e32 v4, s62, v4
	v_cmp_ge_u32_e64 s[8:9], v4, v17
	s_or_b64 s[44:45], s[8:9], s[44:45]
	v_add_u32_e32 v3, s76, v3
	s_andn2_b64 exec, exec, s[44:45]
	s_cbranch_execz .LBB14_19
.LBB14_16:                              ;   Parent Loop BB14_3 Depth=1
                                        ;     Parent Loop BB14_8 Depth=2
                                        ; =>    This Loop Header: Depth=3
                                        ;         Child Loop BB14_18 Depth 4
	s_and_saveexec_b64 s[46:47], vcc
	s_cbranch_execz .LBB14_15
; %bb.17:                               ;   in Loop: Header=BB14_16 Depth=3
	s_mov_b64 s[48:49], 0
	v_mov_b32_e32 v5, v6
.LBB14_18:                              ;   Parent Loop BB14_3 Depth=1
                                        ;     Parent Loop BB14_8 Depth=2
                                        ;       Parent Loop BB14_16 Depth=3
                                        ; =>      This Inner Loop Header: Depth=4
	v_add_u32_e32 v0, v3, v5
	v_cmp_eq_u32_e64 s[8:9], v4, v5
	v_add_u32_e32 v5, s29, v5
	v_lshlrev_b64 v[18:19], 2, v[0:1]
	v_cndmask_b32_e64 v20, 0, 1.0, s[8:9]
	v_mov_b32_e32 v21, s82
	v_cmp_ge_u32_e64 s[8:9], v5, v17
	v_add_co_u32_e64 v18, s[10:11], s83, v18
	v_addc_co_u32_e64 v19, s[10:11], v21, v19, s[10:11]
	s_or_b64 s[48:49], s[8:9], s[48:49]
	flat_store_dword v[18:19], v20
	s_andn2_b64 exec, exec, s[48:49]
	s_cbranch_execnz .LBB14_18
	s_branch .LBB14_15
.LBB14_19:                              ;   in Loop: Header=BB14_8 Depth=2
	s_or_b64 exec, exec, s[42:43]
	s_waitcnt lgkmcnt(0)
	s_barrier
.LBB14_20:                              ;   in Loop: Header=BB14_8 Depth=2
	s_andn2_b64 vcc, exec, s[36:37]
	s_cbranch_vccnz .LBB14_75
; %bb.21:                               ;   in Loop: Header=BB14_8 Depth=2
	v_mul_lo_u32 v18, v2, s22
	s_mul_i32 s84, s84, s22
	v_add_u32_e32 v19, v6, v18
	s_mov_b32 s85, 0
	v_mov_b32_e32 v20, v6
	s_branch .LBB14_23
.LBB14_22:                              ;   in Loop: Header=BB14_23 Depth=3
	s_or_b64 exec, exec, s[10:11]
	s_add_i32 s85, s85, 1
	s_cmp_eq_u32 s85, s22
	v_add_u32_e32 v20, 1, v20
	s_cbranch_scc1 .LBB14_75
.LBB14_23:                              ;   Parent Loop BB14_3 Depth=1
                                        ;     Parent Loop BB14_8 Depth=2
                                        ; =>    This Loop Header: Depth=3
                                        ;         Child Loop BB14_26 Depth 4
                                        ;           Child Loop BB14_33 Depth 5
                                        ;         Child Loop BB14_48 Depth 4
                                        ;           Child Loop BB14_51 Depth 5
	;; [unrolled: 2-line block ×4, first 2 shown]
	s_and_saveexec_b64 s[42:43], s[2:3]
	s_cbranch_execz .LBB14_45
; %bb.24:                               ;   in Loop: Header=BB14_23 Depth=3
	s_mov_b64 s[44:45], 0
	v_mov_b32_e32 v21, v7
	s_branch .LBB14_26
.LBB14_25:                              ;   in Loop: Header=BB14_26 Depth=4
	s_or_b64 exec, exec, s[46:47]
	v_add_u32_e32 v21, s62, v21
	v_cmp_le_u32_e32 vcc, s22, v21
	s_or_b64 s[44:45], vcc, s[44:45]
	s_andn2_b64 exec, exec, s[44:45]
	s_cbranch_execz .LBB14_45
.LBB14_26:                              ;   Parent Loop BB14_3 Depth=1
                                        ;     Parent Loop BB14_8 Depth=2
                                        ;       Parent Loop BB14_23 Depth=3
                                        ; =>      This Loop Header: Depth=4
                                        ;           Child Loop BB14_33 Depth 5
	s_and_saveexec_b64 s[46:47], s[4:5]
	s_cbranch_execz .LBB14_25
; %bb.27:                               ;   in Loop: Header=BB14_26 Depth=4
	s_mov_b32 s86, 0
	v_cmp_eq_u32_e64 s[8:9], 0, v21
	s_mov_b64 s[48:49], 0
	v_mov_b32_e32 v22, v11
	v_mov_b32_e32 v23, v20
	s_branch .LBB14_33
.LBB14_28:                              ;   in Loop: Header=BB14_33 Depth=5
	s_or_b64 exec, exec, s[58:59]
.LBB14_29:                              ;   in Loop: Header=BB14_33 Depth=5
	s_or_b64 exec, exec, s[56:57]
.LBB14_30:                              ;   in Loop: Header=BB14_33 Depth=5
	s_or_b64 exec, exec, s[54:55]
	v_mul_f32_e32 v0, v24, v4
	v_and_b32_e32 v2, 0x7fffffff, v24
	v_div_scale_f32 v4, s[10:11], v2, v2, v0
	v_rcp_f32_e32 v5, v4
	v_div_scale_f32 v2, vcc, v0, v2, v0
	v_fma_f32 v25, -v4, v5, 1.0
	v_fmac_f32_e32 v5, v25, v5
	v_mul_f32_e32 v25, v2, v5
	v_fma_f32 v26, -v4, v25, v2
	v_fmac_f32_e32 v25, v26, v5
	v_fma_f32 v2, -v4, v25, v2
	v_div_fmas_f32 v2, v2, v5, v25
	v_div_fixup_f32 v27, v2, |v24|, v0
.LBB14_31:                              ;   in Loop: Header=BB14_33 Depth=5
	s_or_b64 exec, exec, s[52:53]
	v_add_u32_e32 v0, s63, v22
	ds_write_b32 v22, v3
	ds_write_b32 v0, v27
.LBB14_32:                              ;   in Loop: Header=BB14_33 Depth=5
	s_or_b64 exec, exec, s[50:51]
	s_add_i32 s86, s86, s29
	v_add_u32_e32 v0, s86, v6
	v_cmp_le_u32_e32 vcc, s22, v0
	v_add_u32_e32 v23, s29, v23
	s_or_b64 s[48:49], vcc, s[48:49]
	v_add_u32_e32 v22, s77, v22
	s_andn2_b64 exec, exec, s[48:49]
	s_cbranch_execz .LBB14_25
.LBB14_33:                              ;   Parent Loop BB14_3 Depth=1
                                        ;     Parent Loop BB14_8 Depth=2
                                        ;       Parent Loop BB14_23 Depth=3
                                        ;         Parent Loop BB14_26 Depth=4
                                        ; =>        This Inner Loop Header: Depth=5
	v_mul_hi_u32 v0, v9, v23
	v_mul_lo_u32 v2, s22, v0
	v_sub_u32_e32 v2, s85, v2
	v_not_b32_e32 v0, v0
	v_add_u32_e32 v4, s86, v6
	v_mul_lo_u32 v3, s22, v0
	v_add_u32_e32 v2, v4, v2
	v_add3_u32 v3, s85, v3, v4
	v_cmp_le_u32_e32 vcc, s22, v2
	v_cndmask_b32_e32 v2, v2, v3, vcc
	v_subrev_u32_e32 v3, s22, v2
	v_cmp_le_u32_e32 vcc, s22, v2
	v_add_u32_e32 v0, s86, v19
	v_cndmask_b32_e32 v2, v2, v3, vcc
	v_add_u32_e32 v2, s84, v2
	v_cmp_gt_u32_e32 vcc, s23, v0
	s_and_b64 s[10:11], s[8:9], vcc
	v_cmp_gt_u32_e32 vcc, s23, v2
	s_and_b64 s[10:11], s[10:11], vcc
	s_and_saveexec_b64 s[50:51], s[10:11]
	s_cbranch_execz .LBB14_32
; %bb.34:                               ;   in Loop: Header=BB14_33 Depth=5
	v_mad_u64_u32 v[4:5], s[10:11], v2, s70, 0
	v_mov_b32_e32 v24, v5
	v_mad_u64_u32 v[24:25], s[10:11], v2, s69, v[24:25]
	v_mov_b32_e32 v5, v24
	v_lshlrev_b64 v[4:5], 2, v[4:5]
	v_mov_b32_e32 v3, s80
	v_add_co_u32_e32 v25, vcc, s21, v4
	v_addc_co_u32_e32 v26, vcc, v3, v5, vcc
	v_lshlrev_b64 v[4:5], 2, v[0:1]
	v_add_co_u32_e32 v28, vcc, v25, v4
	v_addc_co_u32_e32 v29, vcc, v26, v5, vcc
	global_load_dword v24, v[28:29], off
	v_mov_b32_e32 v27, 0
	s_waitcnt vmcnt(0)
	v_mul_f32_e32 v3, v24, v24
	v_cmp_nlt_f32_e32 vcc, v3, v8
	v_mov_b32_e32 v3, 1.0
	s_and_saveexec_b64 s[52:53], vcc
	s_cbranch_execz .LBB14_31
; %bb.35:                               ;   in Loop: Header=BB14_33 Depth=5
	v_mov_b32_e32 v3, v1
	v_lshlrev_b64 v[2:3], 2, v[2:3]
	v_add_co_u32_e32 v2, vcc, v25, v2
	v_addc_co_u32_e32 v3, vcc, v26, v3, vcc
	v_mad_u64_u32 v[26:27], s[10:11], v0, s70, 0
	v_mov_b32_e32 v28, v27
	v_mad_u64_u32 v[28:29], s[10:11], v0, s69, v[28:29]
	v_mov_b32_e32 v27, v28
	v_lshlrev_b64 v[26:27], 2, v[26:27]
	v_mov_b32_e32 v0, s80
	v_add_co_u32_e32 v25, vcc, s21, v26
	v_addc_co_u32_e32 v0, vcc, v0, v27, vcc
	v_add_co_u32_e32 v4, vcc, v25, v4
	v_addc_co_u32_e32 v5, vcc, v0, v5, vcc
	global_load_dword v2, v[2:3], off
	s_nop 0
	global_load_dword v3, v[4:5], off
	v_add_f32_e64 v0, |v24|, |v24|
	s_waitcnt vmcnt(0)
	v_sub_f32_e32 v2, v2, v3
	v_max_f32_e64 v3, |v2|, |v0|
	v_cvt_f64_f32_e32 v[4:5], v3
	v_frexp_exp_i32_f64_e32 v4, v[4:5]
	v_sub_u32_e32 v5, 0, v4
	v_ldexp_f32 v25, |v2|, v5
	v_ldexp_f32 v5, |v0|, v5
	v_mul_f32_e32 v5, v5, v5
	v_fmac_f32_e32 v5, v25, v25
	v_sqrt_f32_e32 v25, v5
	v_cmp_ngt_f32_e32 vcc, 0, v2
                                        ; implicit-def: $vgpr5
	s_and_saveexec_b64 s[10:11], vcc
	s_xor_b64 s[10:11], exec, s[10:11]
; %bb.36:                               ;   in Loop: Header=BB14_33 Depth=5
	v_ldexp_f32 v4, v25, v4
	v_cmp_neq_f32_e32 vcc, s78, v3
	v_cndmask_b32_e32 v5, v15, v4, vcc
                                        ; implicit-def: $vgpr25
                                        ; implicit-def: $vgpr4
                                        ; implicit-def: $vgpr3
; %bb.37:                               ;   in Loop: Header=BB14_33 Depth=5
	s_andn2_saveexec_b64 s[10:11], s[10:11]
; %bb.38:                               ;   in Loop: Header=BB14_33 Depth=5
	v_ldexp_f32 v4, -v25, v4
	v_cmp_neq_f32_e32 vcc, s78, v3
	v_cndmask_b32_e32 v5, v16, v4, vcc
; %bb.39:                               ;   in Loop: Header=BB14_33 Depth=5
	s_or_b64 exec, exec, s[10:11]
	v_cmp_neq_f32_e32 vcc, 0, v0
	v_mov_b32_e32 v4, 0
	v_mov_b32_e32 v3, 1.0
	s_and_saveexec_b64 s[54:55], vcc
	s_cbranch_execz .LBB14_30
; %bb.40:                               ;   in Loop: Header=BB14_33 Depth=5
	v_add_f32_e32 v2, v2, v5
	v_cmp_neq_f32_e32 vcc, 0, v2
	v_mov_b32_e32 v3, 0
	v_mov_b32_e32 v4, 1.0
	s_and_saveexec_b64 s[56:57], vcc
	s_cbranch_execz .LBB14_29
; %bb.41:                               ;   in Loop: Header=BB14_33 Depth=5
	v_cmp_ngt_f32_e64 s[10:11], |v0|, |v2|
                                        ; implicit-def: $vgpr3
                                        ; implicit-def: $vgpr4
	s_and_saveexec_b64 s[58:59], s[10:11]
	s_xor_b64 s[58:59], exec, s[58:59]
	s_cbranch_execz .LBB14_43
; %bb.42:                               ;   in Loop: Header=BB14_33 Depth=5
	v_div_scale_f32 v3, s[10:11], v2, v2, -v0
	v_rcp_f32_e32 v4, v3
	v_div_scale_f32 v5, vcc, -v0, v2, -v0
	v_fma_f32 v25, -v3, v4, 1.0
	v_fmac_f32_e32 v4, v25, v4
	v_mul_f32_e32 v25, v5, v4
	v_fma_f32 v26, -v3, v25, v5
	v_fmac_f32_e32 v25, v26, v4
	v_fma_f32 v3, -v3, v25, v5
	v_div_fmas_f32 v3, v3, v4, v25
	v_div_fixup_f32 v0, v3, v2, -v0
	v_fma_f32 v2, v0, v0, 1.0
	v_mul_f32_e32 v3, 0x4f800000, v2
	v_cmp_gt_f32_e32 vcc, s79, v2
	v_cndmask_b32_e32 v2, v2, v3, vcc
	v_sqrt_f32_e32 v3, v2
	v_add_u32_e32 v4, -1, v3
	v_fma_f32 v5, -v4, v3, v2
	v_cmp_ge_f32_e64 s[10:11], 0, v5
	v_add_u32_e32 v5, 1, v3
	v_cndmask_b32_e64 v4, v3, v4, s[10:11]
	v_fma_f32 v3, -v5, v3, v2
	v_cmp_lt_f32_e64 s[10:11], 0, v3
	v_cndmask_b32_e64 v3, v4, v5, s[10:11]
	v_mul_f32_e32 v4, 0x37800000, v3
	v_cndmask_b32_e32 v3, v3, v4, vcc
	v_cmp_class_f32_e32 vcc, v2, v14
	v_cndmask_b32_e32 v2, v3, v2, vcc
	v_div_scale_f32 v3, s[10:11], v2, v2, 1.0
	v_rcp_f32_e32 v4, v3
	v_fma_f32 v5, -v3, v4, 1.0
	v_fmac_f32_e32 v4, v5, v4
	v_div_scale_f32 v5, vcc, 1.0, v2, 1.0
	v_mul_f32_e32 v25, v5, v4
	v_fma_f32 v26, -v3, v25, v5
	v_fmac_f32_e32 v25, v26, v4
	v_fma_f32 v3, -v3, v25, v5
	v_div_fmas_f32 v3, v3, v4, v25
	v_div_fixup_f32 v3, v3, v2, 1.0
	v_mul_f32_e32 v4, v0, v3
                                        ; implicit-def: $vgpr0
                                        ; implicit-def: $vgpr2
.LBB14_43:                              ;   in Loop: Header=BB14_33 Depth=5
	s_andn2_saveexec_b64 s[58:59], s[58:59]
	s_cbranch_execz .LBB14_28
; %bb.44:                               ;   in Loop: Header=BB14_33 Depth=5
	v_div_scale_f32 v3, s[10:11], v0, v0, -v2
	v_rcp_f32_e32 v4, v3
	v_div_scale_f32 v5, vcc, -v2, v0, -v2
	v_fma_f32 v25, -v3, v4, 1.0
	v_fmac_f32_e32 v4, v25, v4
	v_mul_f32_e32 v25, v5, v4
	v_fma_f32 v26, -v3, v25, v5
	v_fmac_f32_e32 v25, v26, v4
	v_fma_f32 v3, -v3, v25, v5
	v_div_fmas_f32 v3, v3, v4, v25
	v_div_fixup_f32 v0, v3, v0, -v2
	v_fma_f32 v2, v0, v0, 1.0
	v_mul_f32_e32 v3, 0x4f800000, v2
	v_cmp_gt_f32_e32 vcc, s79, v2
	v_cndmask_b32_e32 v2, v2, v3, vcc
	v_sqrt_f32_e32 v3, v2
	v_add_u32_e32 v4, -1, v3
	v_fma_f32 v5, -v4, v3, v2
	v_cmp_ge_f32_e64 s[10:11], 0, v5
	v_add_u32_e32 v5, 1, v3
	v_cndmask_b32_e64 v4, v3, v4, s[10:11]
	v_fma_f32 v3, -v5, v3, v2
	v_cmp_lt_f32_e64 s[10:11], 0, v3
	v_cndmask_b32_e64 v3, v4, v5, s[10:11]
	v_mul_f32_e32 v4, 0x37800000, v3
	v_cndmask_b32_e32 v3, v3, v4, vcc
	v_cmp_class_f32_e32 vcc, v2, v14
	v_cndmask_b32_e32 v2, v3, v2, vcc
	v_div_scale_f32 v3, s[10:11], v2, v2, 1.0
	v_rcp_f32_e32 v4, v3
	v_fma_f32 v5, -v3, v4, 1.0
	v_fmac_f32_e32 v4, v5, v4
	v_div_scale_f32 v5, vcc, 1.0, v2, 1.0
	v_mul_f32_e32 v25, v5, v4
	v_fma_f32 v26, -v3, v25, v5
	v_fmac_f32_e32 v25, v26, v4
	v_fma_f32 v3, -v3, v25, v5
	v_div_fmas_f32 v3, v3, v4, v25
	v_div_fixup_f32 v4, v3, v2, 1.0
	v_mul_f32_e32 v3, v0, v4
	s_branch .LBB14_28
.LBB14_45:                              ;   in Loop: Header=BB14_23 Depth=3
	s_or_b64 exec, exec, s[42:43]
	s_waitcnt lgkmcnt(0)
	s_barrier
	s_and_saveexec_b64 s[10:11], s[2:3]
	s_cbranch_execz .LBB14_58
; %bb.46:                               ;   in Loop: Header=BB14_23 Depth=3
	s_mov_b64 s[42:43], 0
	v_mov_b32_e32 v21, v13
	v_mov_b32_e32 v22, v12
	;; [unrolled: 1-line block ×3, first 2 shown]
	s_branch .LBB14_48
.LBB14_47:                              ;   in Loop: Header=BB14_48 Depth=4
	s_or_b64 exec, exec, s[44:45]
	v_add_u32_e32 v23, s62, v23
	v_cmp_le_u32_e32 vcc, s22, v23
	v_add_u32_e32 v22, s76, v22
	s_or_b64 s[42:43], vcc, s[42:43]
	v_add_u32_e32 v21, s76, v21
	s_andn2_b64 exec, exec, s[42:43]
	s_cbranch_execz .LBB14_58
.LBB14_48:                              ;   Parent Loop BB14_3 Depth=1
                                        ;     Parent Loop BB14_8 Depth=2
                                        ;       Parent Loop BB14_23 Depth=3
                                        ; =>      This Loop Header: Depth=4
                                        ;           Child Loop BB14_51 Depth 5
	s_and_saveexec_b64 s[44:45], s[4:5]
	s_cbranch_execz .LBB14_47
; %bb.49:                               ;   in Loop: Header=BB14_48 Depth=4
	v_add_u32_e32 v0, v23, v18
	v_add_u32_e32 v4, s84, v23
	;; [unrolled: 1-line block ×3, first 2 shown]
	v_mov_b32_e32 v5, v1
	v_mul_lo_u32 v24, v23, s66
	v_cmp_gt_u32_e64 s[8:9], s23, v4
	v_mul_lo_u32 v25, v2, s66
	s_mov_b32 s52, 0
	s_mov_b64 s[46:47], 0
	v_lshlrev_b64 v[2:3], 2, v[0:1]
	v_lshlrev_b64 v[4:5], 2, v[4:5]
	v_mov_b32_e32 v26, v11
	v_mov_b32_e32 v27, v20
	s_branch .LBB14_51
.LBB14_50:                              ;   in Loop: Header=BB14_51 Depth=5
	s_or_b64 exec, exec, s[48:49]
	s_add_i32 s52, s52, s29
	v_add_u32_e32 v0, s52, v6
	v_cmp_le_u32_e32 vcc, s22, v0
	v_add_u32_e32 v27, s29, v27
	s_or_b64 s[46:47], vcc, s[46:47]
	v_add_u32_e32 v26, s77, v26
	s_andn2_b64 exec, exec, s[46:47]
	s_cbranch_execz .LBB14_47
.LBB14_51:                              ;   Parent Loop BB14_3 Depth=1
                                        ;     Parent Loop BB14_8 Depth=2
                                        ;       Parent Loop BB14_23 Depth=3
                                        ;         Parent Loop BB14_48 Depth=4
                                        ; =>        This Inner Loop Header: Depth=5
	v_mul_hi_u32 v0, v9, v27
	v_mul_lo_u32 v28, s22, v0
	v_sub_u32_e32 v28, s85, v28
	v_not_b32_e32 v0, v0
	v_add_u32_e32 v29, s52, v6
	v_mul_lo_u32 v0, s22, v0
	v_add_u32_e32 v28, v29, v28
	v_add3_u32 v0, s85, v0, v29
	v_cmp_le_u32_e32 vcc, s22, v28
	v_cndmask_b32_e32 v0, v28, v0, vcc
	v_subrev_u32_e32 v28, s22, v0
	v_cmp_le_u32_e32 vcc, s22, v0
	v_cndmask_b32_e32 v0, v0, v28, vcc
	v_add_u32_e32 v31, s52, v19
	v_add_u32_e32 v30, s84, v0
	v_max_u32_e32 v28, v31, v30
	v_cmp_gt_u32_e32 vcc, s23, v28
	s_and_saveexec_b64 s[48:49], vcc
	s_cbranch_execz .LBB14_50
; %bb.52:                               ;   in Loop: Header=BB14_51 Depth=5
	v_add_u32_e32 v29, s63, v26
	ds_read_b32 v28, v26
	ds_read_b32 v29, v29
	s_andn2_b64 vcc, exec, s[40:41]
	s_cbranch_vccnz .LBB14_56
; %bb.53:                               ;   in Loop: Header=BB14_51 Depth=5
	v_add_u32_e32 v32, s22, v0
	v_add_u32_e32 v0, s52, v22
	v_lshlrev_b64 v[34:35], 2, v[0:1]
	v_mov_b32_e32 v0, s82
	v_add_co_u32_e32 v34, vcc, s83, v34
	v_addc_co_u32_e32 v35, vcc, v0, v35, vcc
	v_add_u32_e32 v0, v32, v24
	v_lshlrev_b64 v[36:37], 2, v[0:1]
	v_mov_b32_e32 v0, s82
	v_add_co_u32_e32 v36, vcc, s83, v36
	v_addc_co_u32_e32 v37, vcc, v0, v37, vcc
	flat_load_dword v0, v[34:35]
	flat_load_dword v33, v[36:37]
	s_waitcnt vmcnt(0) lgkmcnt(0)
	v_mul_f32_e32 v38, v29, v0
	v_mul_f32_e32 v39, v29, v33
	v_fmac_f32_e32 v39, v28, v0
	v_fma_f32 v33, v28, v33, -v38
	flat_store_dword v[34:35], v39
	flat_store_dword v[36:37], v33
	s_and_saveexec_b64 s[50:51], s[8:9]
	s_cbranch_execz .LBB14_55
; %bb.54:                               ;   in Loop: Header=BB14_51 Depth=5
	v_add_u32_e32 v0, s52, v21
	v_lshlrev_b64 v[34:35], 2, v[0:1]
	v_mov_b32_e32 v0, s82
	v_add_co_u32_e32 v34, vcc, s83, v34
	v_addc_co_u32_e32 v35, vcc, v0, v35, vcc
	v_add_u32_e32 v0, v32, v25
	v_lshlrev_b64 v[32:33], 2, v[0:1]
	v_mov_b32_e32 v0, s82
	v_add_co_u32_e32 v32, vcc, s83, v32
	v_addc_co_u32_e32 v33, vcc, v0, v33, vcc
	flat_load_dword v0, v[34:35]
	flat_load_dword v36, v[32:33]
	s_waitcnt vmcnt(0) lgkmcnt(0)
	v_mul_f32_e32 v37, v29, v0
	v_mul_f32_e32 v38, v29, v36
	v_fmac_f32_e32 v38, v28, v0
	v_fma_f32 v36, v28, v36, -v37
	flat_store_dword v[34:35], v38
	flat_store_dword v[32:33], v36
.LBB14_55:                              ;   in Loop: Header=BB14_51 Depth=5
	s_or_b64 exec, exec, s[50:51]
.LBB14_56:                              ;   in Loop: Header=BB14_51 Depth=5
	v_mad_u64_u32 v[32:33], s[50:51], v31, s70, 0
	v_mov_b32_e32 v0, v33
	v_mad_u64_u32 v[34:35], s[50:51], v31, s69, v[0:1]
	v_mov_b32_e32 v33, v34
	v_lshlrev_b64 v[32:33], 2, v[32:33]
	v_mov_b32_e32 v31, s80
	v_add_co_u32_e32 v0, vcc, s21, v32
	v_addc_co_u32_e32 v31, vcc, v31, v33, vcc
	v_mad_u64_u32 v[32:33], s[50:51], v30, s70, 0
	v_mov_b32_e32 v36, v33
	v_mad_u64_u32 v[36:37], s[50:51], v30, s69, v[36:37]
	v_add_co_u32_e32 v34, vcc, v0, v2
	v_mov_b32_e32 v33, v36
	v_addc_co_u32_e32 v35, vcc, v31, v3, vcc
	v_lshlrev_b64 v[32:33], 2, v[32:33]
	v_mov_b32_e32 v36, s80
	v_add_co_u32_e32 v30, vcc, s21, v32
	v_addc_co_u32_e32 v32, vcc, v36, v33, vcc
	v_add_co_u32_e32 v36, vcc, v30, v2
	v_addc_co_u32_e32 v37, vcc, v32, v3, vcc
	global_load_dword v33, v[36:37], off
	global_load_dword v38, v[34:35], off
	s_waitcnt vmcnt(0) lgkmcnt(0)
	v_mul_f32_e32 v39, v29, v33
	v_mul_f32_e32 v40, v29, v38
	v_fmac_f32_e32 v39, v28, v38
	v_fma_f32 v33, v28, v33, -v40
	global_store_dword v[34:35], v39, off
	global_store_dword v[36:37], v33, off
	s_and_b64 exec, exec, s[8:9]
	s_cbranch_execz .LBB14_50
; %bb.57:                               ;   in Loop: Header=BB14_51 Depth=5
	v_add_co_u32_e32 v34, vcc, v0, v4
	v_addc_co_u32_e32 v35, vcc, v31, v5, vcc
	v_add_co_u32_e32 v30, vcc, v30, v4
	v_addc_co_u32_e32 v31, vcc, v32, v5, vcc
	global_load_dword v0, v[30:31], off
	global_load_dword v32, v[34:35], off
	s_waitcnt vmcnt(1)
	v_mul_f32_e32 v33, v29, v0
	s_waitcnt vmcnt(0)
	v_mul_f32_e32 v29, v29, v32
	v_fmac_f32_e32 v33, v28, v32
	v_fma_f32 v0, v28, v0, -v29
	global_store_dword v[34:35], v33, off
	global_store_dword v[30:31], v0, off
	s_branch .LBB14_50
.LBB14_58:                              ;   in Loop: Header=BB14_23 Depth=3
	s_or_b64 exec, exec, s[10:11]
	s_barrier
	s_and_saveexec_b64 s[10:11], s[2:3]
	s_cbranch_execz .LBB14_67
; %bb.59:                               ;   in Loop: Header=BB14_23 Depth=3
	s_mov_b64 s[42:43], 0
	v_mov_b32_e32 v21, v7
	s_branch .LBB14_61
.LBB14_60:                              ;   in Loop: Header=BB14_61 Depth=4
	s_or_b64 exec, exec, s[44:45]
	v_add_u32_e32 v21, s62, v21
	v_cmp_le_u32_e32 vcc, s22, v21
	s_or_b64 s[42:43], vcc, s[42:43]
	s_andn2_b64 exec, exec, s[42:43]
	s_cbranch_execz .LBB14_67
.LBB14_61:                              ;   Parent Loop BB14_3 Depth=1
                                        ;     Parent Loop BB14_8 Depth=2
                                        ;       Parent Loop BB14_23 Depth=3
                                        ; =>      This Loop Header: Depth=4
                                        ;           Child Loop BB14_64 Depth 5
	s_and_saveexec_b64 s[44:45], s[4:5]
	s_cbranch_execz .LBB14_60
; %bb.62:                               ;   in Loop: Header=BB14_61 Depth=4
	v_add_u32_e32 v4, v21, v18
	v_mad_u64_u32 v[2:3], s[8:9], v4, s70, 0
	v_mov_b32_e32 v0, v3
	v_mad_u64_u32 v[4:5], s[8:9], v4, s69, v[0:1]
	v_mov_b32_e32 v3, v4
	v_lshlrev_b64 v[2:3], 2, v[2:3]
	v_add_u32_e32 v24, s84, v21
	v_mov_b32_e32 v0, s80
	v_add_co_u32_e32 v22, vcc, s21, v2
	v_addc_co_u32_e32 v23, vcc, v0, v3, vcc
	v_mad_u64_u32 v[2:3], s[8:9], v24, s70, 0
	v_mov_b32_e32 v0, v3
	v_mad_u64_u32 v[4:5], s[8:9], v24, s69, v[0:1]
	v_mov_b32_e32 v3, v4
	v_lshlrev_b64 v[2:3], 2, v[2:3]
	v_cmp_gt_u32_e32 vcc, s23, v24
	v_mov_b32_e32 v0, s80
	v_add_co_u32_e64 v24, s[8:9], s21, v2
	v_addc_co_u32_e64 v25, s[8:9], v0, v3, s[8:9]
	s_mov_b32 s50, 0
	s_mov_b64 s[46:47], 0
	v_mov_b32_e32 v26, v11
	v_mov_b32_e32 v27, v20
	s_branch .LBB14_64
.LBB14_63:                              ;   in Loop: Header=BB14_64 Depth=5
	s_or_b64 exec, exec, s[48:49]
	s_add_i32 s50, s50, s29
	v_add_u32_e32 v0, s50, v6
	v_cmp_le_u32_e64 s[8:9], s22, v0
	v_add_u32_e32 v27, s29, v27
	s_or_b64 s[46:47], s[8:9], s[46:47]
	v_add_u32_e32 v26, s77, v26
	s_andn2_b64 exec, exec, s[46:47]
	s_cbranch_execz .LBB14_60
.LBB14_64:                              ;   Parent Loop BB14_3 Depth=1
                                        ;     Parent Loop BB14_8 Depth=2
                                        ;       Parent Loop BB14_23 Depth=3
                                        ;         Parent Loop BB14_61 Depth=4
                                        ; =>        This Inner Loop Header: Depth=5
	v_mul_hi_u32 v0, v9, v27
	v_mul_lo_u32 v2, s22, v0
	v_sub_u32_e32 v2, s85, v2
	v_not_b32_e32 v0, v0
	v_add_u32_e32 v4, s50, v6
	v_mul_lo_u32 v3, s22, v0
	v_add_u32_e32 v2, v4, v2
	v_add3_u32 v3, s85, v3, v4
	v_cmp_le_u32_e64 s[8:9], s22, v2
	v_cndmask_b32_e64 v2, v2, v3, s[8:9]
	v_subrev_u32_e32 v3, s22, v2
	v_cmp_le_u32_e64 s[8:9], s22, v2
	v_cndmask_b32_e64 v2, v2, v3, s[8:9]
	v_add_u32_e32 v0, s50, v19
	v_add_u32_e32 v4, s84, v2
	v_max_u32_e32 v2, v0, v4
	v_cmp_gt_u32_e64 s[8:9], s23, v2
	s_and_saveexec_b64 s[48:49], s[8:9]
	s_cbranch_execz .LBB14_63
; %bb.65:                               ;   in Loop: Header=BB14_64 Depth=5
	v_lshlrev_b64 v[2:3], 2, v[0:1]
	v_add_co_u32_e64 v30, s[8:9], v22, v2
	v_mov_b32_e32 v5, v1
	v_addc_co_u32_e64 v31, s[8:9], v23, v3, s[8:9]
	v_lshlrev_b64 v[4:5], 2, v[4:5]
	v_add_co_u32_e64 v32, s[8:9], v22, v4
	v_addc_co_u32_e64 v33, s[8:9], v23, v5, s[8:9]
	global_load_dword v29, v[30:31], off
	global_load_dword v34, v[32:33], off
	v_add_u32_e32 v0, s63, v26
	ds_read_b32 v28, v0
	ds_read_b32 v0, v26
	s_waitcnt vmcnt(0) lgkmcnt(0)
	v_mul_f32_e32 v35, v28, v29
	v_mul_f32_e32 v36, v28, v34
	v_fmac_f32_e32 v36, v0, v29
	v_fma_f32 v34, v0, v34, -v35
	global_store_dword v[30:31], v36, off
	global_store_dword v[32:33], v34, off
	s_and_b64 exec, exec, vcc
	s_cbranch_execz .LBB14_63
; %bb.66:                               ;   in Loop: Header=BB14_64 Depth=5
	v_add_co_u32_e64 v2, s[8:9], v24, v2
	v_addc_co_u32_e64 v3, s[8:9], v25, v3, s[8:9]
	v_add_co_u32_e64 v4, s[8:9], v24, v4
	v_addc_co_u32_e64 v5, s[8:9], v25, v5, s[8:9]
	global_load_dword v29, v[4:5], off
	global_load_dword v30, v[2:3], off
	s_waitcnt vmcnt(1)
	v_mul_f32_e32 v31, v28, v29
	s_waitcnt vmcnt(0)
	v_mul_f32_e32 v28, v28, v30
	v_fmac_f32_e32 v31, v0, v30
	v_fma_f32 v0, v0, v29, -v28
	global_store_dword v[2:3], v31, off
	global_store_dword v[4:5], v0, off
	s_branch .LBB14_63
.LBB14_67:                              ;   in Loop: Header=BB14_23 Depth=3
	s_or_b64 exec, exec, s[10:11]
	s_barrier
	s_and_saveexec_b64 s[10:11], s[2:3]
	s_cbranch_execz .LBB14_22
; %bb.68:                               ;   in Loop: Header=BB14_23 Depth=3
	s_mov_b64 s[42:43], 0
	v_mov_b32_e32 v4, v7
	s_branch .LBB14_70
.LBB14_69:                              ;   in Loop: Header=BB14_70 Depth=4
	s_or_b64 exec, exec, s[44:45]
	v_add_u32_e32 v4, s62, v4
	v_cmp_le_u32_e32 vcc, s22, v4
	s_or_b64 s[42:43], vcc, s[42:43]
	s_andn2_b64 exec, exec, s[42:43]
	s_cbranch_execz .LBB14_22
.LBB14_70:                              ;   Parent Loop BB14_3 Depth=1
                                        ;     Parent Loop BB14_8 Depth=2
                                        ;       Parent Loop BB14_23 Depth=3
                                        ; =>      This Loop Header: Depth=4
                                        ;           Child Loop BB14_73 Depth 5
	s_and_saveexec_b64 s[44:45], s[4:5]
	s_cbranch_execz .LBB14_69
; %bb.71:                               ;   in Loop: Header=BB14_70 Depth=4
	v_cmp_eq_u32_e32 vcc, 0, v4
	s_mov_b64 s[46:47], 0
	v_mov_b32_e32 v5, v20
	v_mov_b32_e32 v21, v6
	s_branch .LBB14_73
.LBB14_72:                              ;   in Loop: Header=BB14_73 Depth=5
	s_or_b64 exec, exec, s[48:49]
	v_add_u32_e32 v21, s29, v21
	v_cmp_le_u32_e64 s[8:9], s22, v21
	s_or_b64 s[46:47], s[8:9], s[46:47]
	v_add_u32_e32 v5, s29, v5
	s_andn2_b64 exec, exec, s[46:47]
	s_cbranch_execz .LBB14_69
.LBB14_73:                              ;   Parent Loop BB14_3 Depth=1
                                        ;     Parent Loop BB14_8 Depth=2
                                        ;       Parent Loop BB14_23 Depth=3
                                        ;         Parent Loop BB14_70 Depth=4
                                        ; =>        This Inner Loop Header: Depth=5
	v_mul_hi_u32 v2, v9, v5
	v_not_b32_e32 v22, v2
	v_add_u32_e32 v0, s85, v21
	v_mad_u64_u32 v[2:3], s[8:9], s75, v2, v[0:1]
	v_mad_u64_u32 v[22:23], s[8:9], s22, v22, v[0:1]
	v_cmp_le_u32_e64 s[8:9], s22, v2
	v_cndmask_b32_e64 v0, v2, v22, s[8:9]
	v_subrev_u32_e32 v2, s22, v0
	v_cmp_le_u32_e64 s[8:9], s22, v0
	v_cndmask_b32_e64 v0, v0, v2, s[8:9]
	v_add_u32_e32 v2, s84, v0
	v_cmp_gt_u32_e64 s[8:9], s23, v2
	s_and_b64 s[8:9], vcc, s[8:9]
	s_and_saveexec_b64 s[48:49], s[8:9]
	s_cbranch_execz .LBB14_72
; %bb.74:                               ;   in Loop: Header=BB14_73 Depth=5
	v_mad_u64_u32 v[22:23], s[8:9], v2, s70, 0
	v_mov_b32_e32 v24, v23
	v_mad_u64_u32 v[24:25], s[8:9], v2, s69, v[24:25]
	v_mov_b32_e32 v23, v24
	v_lshlrev_b64 v[22:23], 2, v[22:23]
	v_add_u32_e32 v0, v18, v21
	v_mov_b32_e32 v24, s80
	v_add_co_u32_e64 v25, s[8:9], s21, v22
	v_addc_co_u32_e64 v24, s[8:9], v24, v23, s[8:9]
	v_lshlrev_b64 v[22:23], 2, v[0:1]
	v_add_co_u32_e64 v22, s[8:9], v25, v22
	v_addc_co_u32_e64 v23, s[8:9], v24, v23, s[8:9]
	global_store_dword v[22:23], v1, off
	v_mad_u64_u32 v[22:23], s[8:9], v0, s70, 0
	v_mov_b32_e32 v24, v23
	v_mad_u64_u32 v[24:25], s[8:9], v0, s69, v[24:25]
	v_mov_b32_e32 v23, v24
	v_lshlrev_b64 v[22:23], 2, v[22:23]
	v_mov_b32_e32 v3, v1
	v_mov_b32_e32 v0, s80
	v_add_co_u32_e64 v22, s[8:9], s21, v22
	v_addc_co_u32_e64 v0, s[8:9], v0, v23, s[8:9]
	v_lshlrev_b64 v[2:3], 2, v[2:3]
	v_add_co_u32_e64 v2, s[8:9], v22, v2
	v_addc_co_u32_e64 v3, s[8:9], v0, v3, s[8:9]
	global_store_dword v[2:3], v1, off
	s_branch .LBB14_72
.LBB14_75:                              ;   in Loop: Header=BB14_8 Depth=2
	s_or_b64 s[8:9], s[38:39], s[0:1]
	s_andn2_b64 vcc, exec, s[8:9]
	s_cbranch_vccz .LBB14_7
; %bb.76:                               ;   in Loop: Header=BB14_8 Depth=2
	v_cmp_lt_u32_e32 vcc, v7, v17
	s_barrier
	s_and_saveexec_b64 s[38:39], vcc
	s_cbranch_execz .LBB14_6
; %bb.77:                               ;   in Loop: Header=BB14_8 Depth=2
	v_cmp_lt_u32_e32 vcc, v6, v17
	s_mov_b64 s[40:41], 0
	v_mov_b32_e32 v2, v10
	v_mov_b32_e32 v3, v7
	s_branch .LBB14_79
.LBB14_78:                              ;   in Loop: Header=BB14_79 Depth=3
	s_or_b64 exec, exec, s[42:43]
	v_add_u32_e32 v3, s62, v3
	v_cmp_ge_u32_e64 s[8:9], v3, v17
	s_or_b64 s[40:41], s[8:9], s[40:41]
	v_add_u32_e32 v2, s76, v2
	s_andn2_b64 exec, exec, s[40:41]
	s_cbranch_execz .LBB14_6
.LBB14_79:                              ;   Parent Loop BB14_3 Depth=1
                                        ;     Parent Loop BB14_8 Depth=2
                                        ; =>    This Loop Header: Depth=3
                                        ;         Child Loop BB14_81 Depth 4
	s_and_saveexec_b64 s[42:43], vcc
	s_cbranch_execz .LBB14_78
; %bb.80:                               ;   in Loop: Header=BB14_79 Depth=3
	s_mov_b64 s[44:45], 0
	v_mov_b32_e32 v4, v6
.LBB14_81:                              ;   Parent Loop BB14_3 Depth=1
                                        ;     Parent Loop BB14_8 Depth=2
                                        ;       Parent Loop BB14_79 Depth=3
                                        ; =>      This Inner Loop Header: Depth=4
	v_add_u32_e32 v0, v2, v4
	v_lshlrev_b64 v[18:19], 2, v[0:1]
	v_mov_b32_e32 v5, s82
	v_add_co_u32_e64 v20, s[8:9], s83, v18
	v_addc_co_u32_e64 v21, s[8:9], v5, v19, s[8:9]
	flat_load_dword v0, v[20:21]
	v_add_u32_e32 v4, s29, v4
	v_mov_b32_e32 v5, s19
	v_cmp_ge_u32_e64 s[8:9], v4, v17
	v_add_co_u32_e64 v18, s[10:11], s18, v18
	v_addc_co_u32_e64 v19, s[10:11], v5, v19, s[10:11]
	s_or_b64 s[44:45], s[8:9], s[44:45]
	s_waitcnt vmcnt(0) lgkmcnt(0)
	flat_store_dword v[18:19], v0
	s_andn2_b64 exec, exec, s[44:45]
	s_cbranch_execnz .LBB14_81
	s_branch .LBB14_78
.LBB14_82:
	s_endpgm
	.section	.rodata,"a",@progbits
	.p2align	6, 0x0
	.amdhsa_kernel _ZN9rocsolver6v33100L17syevj_offd_kernelIffPfEEviiT1_iilT0_PT_PiS7_S7_i
		.amdhsa_group_segment_fixed_size 0
		.amdhsa_private_segment_fixed_size 0
		.amdhsa_kernarg_size 336
		.amdhsa_user_sgpr_count 6
		.amdhsa_user_sgpr_private_segment_buffer 1
		.amdhsa_user_sgpr_dispatch_ptr 0
		.amdhsa_user_sgpr_queue_ptr 0
		.amdhsa_user_sgpr_kernarg_segment_ptr 1
		.amdhsa_user_sgpr_dispatch_id 0
		.amdhsa_user_sgpr_flat_scratch_init 0
		.amdhsa_user_sgpr_kernarg_preload_length 0
		.amdhsa_user_sgpr_kernarg_preload_offset 0
		.amdhsa_user_sgpr_private_segment_size 0
		.amdhsa_uses_dynamic_stack 0
		.amdhsa_system_sgpr_private_segment_wavefront_offset 0
		.amdhsa_system_sgpr_workgroup_id_x 1
		.amdhsa_system_sgpr_workgroup_id_y 0
		.amdhsa_system_sgpr_workgroup_id_z 1
		.amdhsa_system_sgpr_workgroup_info 0
		.amdhsa_system_vgpr_workitem_id 1
		.amdhsa_next_free_vgpr 41
		.amdhsa_next_free_sgpr 87
		.amdhsa_accum_offset 44
		.amdhsa_reserve_vcc 1
		.amdhsa_reserve_flat_scratch 0
		.amdhsa_float_round_mode_32 0
		.amdhsa_float_round_mode_16_64 0
		.amdhsa_float_denorm_mode_32 3
		.amdhsa_float_denorm_mode_16_64 3
		.amdhsa_dx10_clamp 1
		.amdhsa_ieee_mode 1
		.amdhsa_fp16_overflow 0
		.amdhsa_tg_split 0
		.amdhsa_exception_fp_ieee_invalid_op 0
		.amdhsa_exception_fp_denorm_src 0
		.amdhsa_exception_fp_ieee_div_zero 0
		.amdhsa_exception_fp_ieee_overflow 0
		.amdhsa_exception_fp_ieee_underflow 0
		.amdhsa_exception_fp_ieee_inexact 0
		.amdhsa_exception_int_div_zero 0
	.end_amdhsa_kernel
	.section	.text._ZN9rocsolver6v33100L17syevj_offd_kernelIffPfEEviiT1_iilT0_PT_PiS7_S7_i,"axG",@progbits,_ZN9rocsolver6v33100L17syevj_offd_kernelIffPfEEviiT1_iilT0_PT_PiS7_S7_i,comdat
.Lfunc_end14:
	.size	_ZN9rocsolver6v33100L17syevj_offd_kernelIffPfEEviiT1_iilT0_PT_PiS7_S7_i, .Lfunc_end14-_ZN9rocsolver6v33100L17syevj_offd_kernelIffPfEEviiT1_iilT0_PT_PiS7_S7_i
                                        ; -- End function
	.section	.AMDGPU.csdata,"",@progbits
; Kernel info:
; codeLenInByte = 4360
; NumSgprs: 91
; NumVgprs: 41
; NumAgprs: 0
; TotalNumVgprs: 41
; ScratchSize: 0
; MemoryBound: 0
; FloatMode: 240
; IeeeMode: 1
; LDSByteSize: 0 bytes/workgroup (compile time only)
; SGPRBlocks: 11
; VGPRBlocks: 5
; NumSGPRsForWavesPerEU: 91
; NumVGPRsForWavesPerEU: 41
; AccumOffset: 44
; Occupancy: 8
; WaveLimiterHint : 1
; COMPUTE_PGM_RSRC2:SCRATCH_EN: 0
; COMPUTE_PGM_RSRC2:USER_SGPR: 6
; COMPUTE_PGM_RSRC2:TRAP_HANDLER: 0
; COMPUTE_PGM_RSRC2:TGID_X_EN: 1
; COMPUTE_PGM_RSRC2:TGID_Y_EN: 0
; COMPUTE_PGM_RSRC2:TGID_Z_EN: 1
; COMPUTE_PGM_RSRC2:TIDIG_COMP_CNT: 1
; COMPUTE_PGM_RSRC3_GFX90A:ACCUM_OFFSET: 10
; COMPUTE_PGM_RSRC3_GFX90A:TG_SPLIT: 0
	.section	.text._ZN9rocsolver6v33100L21syevj_offd_rotate_orgILb0EffPfEEvbiiT2_iilPT0_PiS6_S6_,"axG",@progbits,_ZN9rocsolver6v33100L21syevj_offd_rotate_orgILb0EffPfEEvbiiT2_iilPT0_PiS6_S6_,comdat
	.globl	_ZN9rocsolver6v33100L21syevj_offd_rotate_orgILb0EffPfEEvbiiT2_iilPT0_PiS6_S6_ ; -- Begin function _ZN9rocsolver6v33100L21syevj_offd_rotate_orgILb0EffPfEEvbiiT2_iilPT0_PiS6_S6_
	.p2align	8
	.type	_ZN9rocsolver6v33100L21syevj_offd_rotate_orgILb0EffPfEEvbiiT2_iilPT0_PiS6_S6_,@function
_ZN9rocsolver6v33100L21syevj_offd_rotate_orgILb0EffPfEEvbiiT2_iilPT0_PiS6_S6_: ; @_ZN9rocsolver6v33100L21syevj_offd_rotate_orgILb0EffPfEEvbiiT2_iilPT0_PiS6_S6_
; %bb.0:
	s_load_dwordx2 s[0:1], s[4:5], 0x40
	s_ashr_i32 s9, s8, 31
	s_lshl_b64 s[2:3], s[8:9], 2
	s_waitcnt lgkmcnt(0)
	s_add_u32 s0, s0, s2
	s_addc_u32 s1, s1, s3
	s_load_dword s0, s[0:1], 0x4
	s_waitcnt lgkmcnt(0)
	s_cmp_lg_u32 s0, 0
	s_cbranch_scc0 .LBB15_2
.LBB15_1:
	s_endpgm
.LBB15_2:
	s_load_dwordx8 s[12:19], s[4:5], 0x20
	s_mov_b32 s10, s7
	s_ashr_i32 s7, s6, 31
	s_lshl_b64 s[0:1], s[6:7], 2
	s_waitcnt lgkmcnt(0)
	s_add_u32 s2, s16, s0
	s_addc_u32 s3, s17, s1
	s_add_u32 s0, s18, s0
	s_load_dword s11, s[2:3], 0x0
	s_addc_u32 s1, s19, s1
	s_load_dword s20, s[0:1], 0x0
	s_load_dwordx4 s[16:19], s[4:5], 0x0
	s_waitcnt lgkmcnt(0)
	s_max_i32 s7, s11, s20
	s_cmp_ge_i32 s7, s17
	s_cbranch_scc1 .LBB15_1
; %bb.3:
	s_add_u32 s0, s4, 0x48
	s_addc_u32 s1, s5, 0
	s_bitcmp1_b32 s16, 0
	s_cselect_b64 s[2:3], -1, 0
	s_xor_b64 s[2:3], s[2:3], -1
	s_min_i32 s17, s11, s20
	s_and_b64 vcc, exec, s[2:3]
	s_mov_b32 s16, s10
	s_cbranch_vccnz .LBB15_5
; %bb.4:
	s_lshr_b32 s2, s16, 31
	s_add_i32 s2, s16, s2
	s_ashr_i32 s10, s2, 1
	s_cmp_lg_u32 s10, s17
	s_cselect_b64 s[2:3], -1, 0
	s_cmp_lg_u32 s10, s7
	s_cselect_b64 s[10:11], -1, 0
	s_and_b64 s[2:3], s[2:3], s[10:11]
.LBB15_5:
	s_andn2_b64 vcc, exec, s[2:3]
	s_cbranch_vccnz .LBB15_1
; %bb.6:
	s_load_dword s19, s[0:1], 0xc
	v_and_b32_e32 v6, 0x3ff, v0
	v_bfe_u32 v8, v0, 10, 10
	s_waitcnt lgkmcnt(0)
	s_bfe_u32 s10, s19, 0xf0001
	s_mul_i32 s11, s7, s10
	s_mul_i32 s1, s17, s10
	s_sub_i32 s2, s11, s10
	s_lshr_b32 s0, s19, 16
	v_mov_b32_e32 v0, s2
	v_mov_b32_e32 v1, s1
	v_cmp_gt_u32_e32 vcc, s10, v6
	v_cndmask_b32_e32 v0, v0, v1, vcc
	s_mul_i32 s16, s16, s0
	v_add_u32_e32 v1, v0, v6
	v_add_u32_e32 v0, s16, v8
	v_max_i32_e32 v2, v1, v0
	v_cmp_gt_i32_e32 vcc, s18, v2
	s_and_saveexec_b64 s[0:1], vcc
	s_cbranch_execz .LBB15_1
; %bb.7:
	s_load_dword s20, s[4:5], 0x48
	s_load_dwordx4 s[0:3], s[4:5], 0x10
	s_and_b32 s19, s19, 0xffff
	s_lshl_b32 s4, s10, 1
	v_mov_b32_e32 v7, 0
	s_waitcnt lgkmcnt(0)
	s_mul_i32 s5, s20, s8
	s_ashr_i32 s21, s2, 31
	s_add_i32 s5, s5, s6
	s_mov_b32 s20, s2
	s_mul_i32 s2, s8, s13
	s_mul_hi_u32 s6, s8, s12
	s_add_i32 s2, s6, s2
	s_mul_i32 s6, s9, s12
	s_add_i32 s9, s2, s6
	s_mul_i32 s8, s8, s12
	s_lshl_b64 s[8:9], s[8:9], 2
	s_add_u32 s2, s0, s8
	s_addc_u32 s6, s1, s9
	s_lshl_b64 s[0:1], s[20:21], 2
	s_add_u32 s0, s2, s0
	s_mul_i32 s2, s5, s10
	s_mul_i32 s2, s2, s10
	s_addc_u32 s1, s6, s1
	s_lshl_b32 s8, s2, 2
	s_ashr_i32 s9, s8, 31
	s_lshl_b64 s[8:9], s[8:9], 2
	s_add_u32 s2, s14, s8
	s_addc_u32 s5, s15, s9
	s_cmp_lt_u32 s19, 2
	s_cbranch_scc1 .LBB15_10
; %bb.8:
	s_mul_i32 s6, s3, s17
	s_mul_i32 s6, s6, s10
	s_add_i32 s6, s16, s6
	v_mov_b32_e32 v5, 0
	v_add_u32_e32 v2, s6, v8
	v_mov_b32_e32 v9, s5
	v_mov_b32_e32 v10, s1
	;; [unrolled: 1-line block ×3, first 2 shown]
	s_mov_b32 s6, s10
	v_mov_b32_e32 v7, v5
.LBB15_9:                               ; =>This Inner Loop Header: Depth=1
	v_lshlrev_b64 v[12:13], 2, v[4:5]
	v_ashrrev_i32_e32 v3, 31, v2
	v_add_co_u32_e32 v12, vcc, s2, v12
	v_addc_co_u32_e32 v13, vcc, v9, v13, vcc
	v_lshlrev_b64 v[14:15], 2, v[2:3]
	global_load_dword v3, v[12:13], off
	v_add_co_u32_e32 v12, vcc, s0, v14
	v_addc_co_u32_e32 v13, vcc, v10, v15, vcc
	global_load_dword v11, v[12:13], off
	s_add_i32 s6, s6, -1
	v_add_u32_e32 v4, s4, v4
	v_add_u32_e32 v2, s3, v2
	s_cmp_eq_u32 s6, 0
	s_waitcnt vmcnt(0)
	v_fmac_f32_e32 v7, v3, v11
	s_cbranch_scc0 .LBB15_9
.LBB15_10:
	s_sub_i32 s6, s18, s11
	s_min_i32 s6, s6, s10
	s_cmp_lt_i32 s6, 1
	s_cbranch_scc1 .LBB15_13
; %bb.11:
	s_mul_i32 s7, s3, s7
	s_mul_i32 s7, s7, s10
	s_add_i32 s16, s16, s7
	s_mul_i32 s10, s10, s10
	v_add_u32_e32 v2, s16, v8
	v_lshl_add_u32 v4, s10, 1, v6
	v_mov_b32_e32 v5, 0
	v_mov_b32_e32 v6, s5
	;; [unrolled: 1-line block ×3, first 2 shown]
.LBB15_12:                              ; =>This Inner Loop Header: Depth=1
	v_lshlrev_b64 v[10:11], 2, v[4:5]
	v_ashrrev_i32_e32 v3, 31, v2
	v_add_co_u32_e32 v10, vcc, s2, v10
	v_addc_co_u32_e32 v11, vcc, v6, v11, vcc
	v_lshlrev_b64 v[12:13], 2, v[2:3]
	global_load_dword v3, v[10:11], off
	v_add_co_u32_e32 v10, vcc, s0, v12
	v_addc_co_u32_e32 v11, vcc, v8, v13, vcc
	global_load_dword v9, v[10:11], off
	s_add_i32 s6, s6, -1
	v_add_u32_e32 v4, s4, v4
	v_add_u32_e32 v2, s3, v2
	s_cmp_lg_u32 s6, 0
	s_waitcnt vmcnt(0)
	v_fmac_f32_e32 v7, v3, v9
	s_cbranch_scc1 .LBB15_12
.LBB15_13:
	v_mad_u64_u32 v[0:1], s[2:3], v1, s3, v[0:1]
	v_ashrrev_i32_e32 v1, 31, v0
	v_lshlrev_b64 v[0:1], 2, v[0:1]
	v_mov_b32_e32 v2, s1
	v_add_co_u32_e32 v0, vcc, s0, v0
	v_addc_co_u32_e32 v1, vcc, v2, v1, vcc
	s_barrier
	global_store_dword v[0:1], v7, off
	s_endpgm
	.section	.rodata,"a",@progbits
	.p2align	6, 0x0
	.amdhsa_kernel _ZN9rocsolver6v33100L21syevj_offd_rotate_orgILb0EffPfEEvbiiT2_iilPT0_PiS6_S6_
		.amdhsa_group_segment_fixed_size 0
		.amdhsa_private_segment_fixed_size 0
		.amdhsa_kernarg_size 328
		.amdhsa_user_sgpr_count 6
		.amdhsa_user_sgpr_private_segment_buffer 1
		.amdhsa_user_sgpr_dispatch_ptr 0
		.amdhsa_user_sgpr_queue_ptr 0
		.amdhsa_user_sgpr_kernarg_segment_ptr 1
		.amdhsa_user_sgpr_dispatch_id 0
		.amdhsa_user_sgpr_flat_scratch_init 0
		.amdhsa_user_sgpr_kernarg_preload_length 0
		.amdhsa_user_sgpr_kernarg_preload_offset 0
		.amdhsa_user_sgpr_private_segment_size 0
		.amdhsa_uses_dynamic_stack 0
		.amdhsa_system_sgpr_private_segment_wavefront_offset 0
		.amdhsa_system_sgpr_workgroup_id_x 1
		.amdhsa_system_sgpr_workgroup_id_y 1
		.amdhsa_system_sgpr_workgroup_id_z 1
		.amdhsa_system_sgpr_workgroup_info 0
		.amdhsa_system_vgpr_workitem_id 1
		.amdhsa_next_free_vgpr 16
		.amdhsa_next_free_sgpr 22
		.amdhsa_accum_offset 16
		.amdhsa_reserve_vcc 1
		.amdhsa_reserve_flat_scratch 0
		.amdhsa_float_round_mode_32 0
		.amdhsa_float_round_mode_16_64 0
		.amdhsa_float_denorm_mode_32 3
		.amdhsa_float_denorm_mode_16_64 3
		.amdhsa_dx10_clamp 1
		.amdhsa_ieee_mode 1
		.amdhsa_fp16_overflow 0
		.amdhsa_tg_split 0
		.amdhsa_exception_fp_ieee_invalid_op 0
		.amdhsa_exception_fp_denorm_src 0
		.amdhsa_exception_fp_ieee_div_zero 0
		.amdhsa_exception_fp_ieee_overflow 0
		.amdhsa_exception_fp_ieee_underflow 0
		.amdhsa_exception_fp_ieee_inexact 0
		.amdhsa_exception_int_div_zero 0
	.end_amdhsa_kernel
	.section	.text._ZN9rocsolver6v33100L21syevj_offd_rotate_orgILb0EffPfEEvbiiT2_iilPT0_PiS6_S6_,"axG",@progbits,_ZN9rocsolver6v33100L21syevj_offd_rotate_orgILb0EffPfEEvbiiT2_iilPT0_PiS6_S6_,comdat
.Lfunc_end15:
	.size	_ZN9rocsolver6v33100L21syevj_offd_rotate_orgILb0EffPfEEvbiiT2_iilPT0_PiS6_S6_, .Lfunc_end15-_ZN9rocsolver6v33100L21syevj_offd_rotate_orgILb0EffPfEEvbiiT2_iilPT0_PiS6_S6_
                                        ; -- End function
	.section	.AMDGPU.csdata,"",@progbits
; Kernel info:
; codeLenInByte = 748
; NumSgprs: 26
; NumVgprs: 16
; NumAgprs: 0
; TotalNumVgprs: 16
; ScratchSize: 0
; MemoryBound: 0
; FloatMode: 240
; IeeeMode: 1
; LDSByteSize: 0 bytes/workgroup (compile time only)
; SGPRBlocks: 3
; VGPRBlocks: 1
; NumSGPRsForWavesPerEU: 26
; NumVGPRsForWavesPerEU: 16
; AccumOffset: 16
; Occupancy: 8
; WaveLimiterHint : 0
; COMPUTE_PGM_RSRC2:SCRATCH_EN: 0
; COMPUTE_PGM_RSRC2:USER_SGPR: 6
; COMPUTE_PGM_RSRC2:TRAP_HANDLER: 0
; COMPUTE_PGM_RSRC2:TGID_X_EN: 1
; COMPUTE_PGM_RSRC2:TGID_Y_EN: 1
; COMPUTE_PGM_RSRC2:TGID_Z_EN: 1
; COMPUTE_PGM_RSRC2:TIDIG_COMP_CNT: 1
; COMPUTE_PGM_RSRC3_GFX90A:ACCUM_OFFSET: 3
; COMPUTE_PGM_RSRC3_GFX90A:TG_SPLIT: 0
	.section	.text._ZN9rocsolver6v33100L17syevj_offd_rotateILb0EffPfEEvbiiT2_iilPT0_PiS6_S6_i,"axG",@progbits,_ZN9rocsolver6v33100L17syevj_offd_rotateILb0EffPfEEvbiiT2_iilPT0_PiS6_S6_i,comdat
	.globl	_ZN9rocsolver6v33100L17syevj_offd_rotateILb0EffPfEEvbiiT2_iilPT0_PiS6_S6_i ; -- Begin function _ZN9rocsolver6v33100L17syevj_offd_rotateILb0EffPfEEvbiiT2_iilPT0_PiS6_S6_i
	.p2align	8
	.type	_ZN9rocsolver6v33100L17syevj_offd_rotateILb0EffPfEEvbiiT2_iilPT0_PiS6_S6_i,@function
_ZN9rocsolver6v33100L17syevj_offd_rotateILb0EffPfEEvbiiT2_iilPT0_PiS6_S6_i: ; @_ZN9rocsolver6v33100L17syevj_offd_rotateILb0EffPfEEvbiiT2_iilPT0_PiS6_S6_i
; %bb.0:
	s_load_dwordx4 s[20:23], s[4:5], 0x0
	s_load_dword s33, s[4:5], 0x48
	s_waitcnt lgkmcnt(0)
	s_abs_i32 s2, s21
	v_cvt_f32_u32_e32 v1, s2
	s_cmp_ge_u32 s8, s33
	v_rcp_iflag_f32_e32 v1, v1
	v_mul_f32_e32 v1, 0x4f7ffffe, v1
	v_cvt_u32_f32_e32 v1, v1
	v_readfirstlane_b32 s0, v1
	s_cbranch_scc1 .LBB16_35
; %bb.1:
	s_add_i32 s1, s22, -1
	s_ashr_i32 s3, s1, 31
	s_abs_i32 s10, s1
	s_sub_i32 s1, 0, s2
	s_mul_i32 s1, s1, s0
	s_mul_hi_u32 s1, s0, s1
	s_ashr_i32 s9, s21, 31
	s_add_i32 s0, s0, s1
	s_bitcmp1_b32 s20, 0
	s_mul_hi_u32 s23, s10, s0
	s_cselect_b64 s[0:1], -1, 0
	v_cndmask_b32_e64 v3, 0, 1, s[0:1]
	s_xor_b64 s[34:35], s[0:1], -1
	s_mul_i32 s1, s23, s2
	s_sub_i32 s1, s10, s1
	s_xor_b32 s0, s3, s9
	s_add_i32 s3, s23, 1
	s_sub_i32 s9, s1, s2
	s_cmp_ge_u32 s1, s2
	s_cselect_b32 s3, s3, s23
	s_cselect_b32 s1, s9, s1
	s_add_i32 s9, s3, 1
	s_cmp_ge_u32 s1, s2
	s_cselect_b32 s1, s9, s3
	s_xor_b32 s1, s1, s0
	s_sub_i32 s20, s1, s0
	s_add_i32 s46, s20, 1
	s_lshr_b32 s0, s46, 31
	s_add_i32 s0, s46, s0
	s_and_b32 s0, s0, -2
	s_load_dwordx4 s[28:31], s[4:5], 0x10
	s_load_dwordx8 s[12:19], s[4:5], 0x20
	s_sub_i32 s0, s46, s0
	s_load_dwordx2 s[2:3], s[4:5], 0x40
	s_load_dwordx4 s[24:27], s[4:5], 0x50
	s_add_i32 s0, s0, s46
	s_lshr_b32 s1, s0, 31
	s_lshl_b32 s49, s21, 1
	s_add_i32 s0, s0, s1
	s_mul_i32 s4, s49, s21
	s_ashr_i32 s47, s0, 1
	s_lshl_b32 s0, s4, 2
	s_waitcnt lgkmcnt(0)
	s_lshr_b32 s48, s27, 16
	s_and_b32 s27, s27, 0xffff
	s_add_i32 s50, s0, 0
	s_mul_i32 s4, s4, 3
	s_cmpk_lt_u32 s4, 0x4001
	s_mul_i32 s9, s21, s21
	s_mov_b64 s[0:1], src_shared_base
	s_cselect_b64 s[36:37], -1, 0
	s_ashr_i32 s5, s30, 31
	s_lshl_b32 s52, s9, 2
	s_cmp_lt_u32 s6, s47
	s_mul_i32 s0, s20, s21
	s_cselect_b64 s[38:39], -1, 0
	s_sub_i32 s53, s22, s0
	s_cmp_lt_u32 s7, s46
	s_cselect_b64 s[22:23], -1, 0
	s_ashr_i32 s55, s31, 31
	s_mov_b32 s4, s30
	s_add_u32 s57, s2, 4
	s_addc_u32 s58, s3, 0
	s_lshl_b64 s[2:3], s[4:5], 2
	s_add_u32 s59, s28, s2
	v_and_b32_e32 v2, 0x3ff, v0
	v_bfe_u32 v4, v0, 10, 10
	s_addc_u32 s60, s29, s3
	s_lshl_b32 s2, s9, 3
	v_mad_u32_u24 v5, v4, s27, v2
	s_mul_i32 s54, s48, s27
	s_add_i32 s2, s2, 0
	s_mov_b32 s11, 0
	s_mov_b32 s51, s1
	v_cmp_gt_u32_e64 s[0:1], s52, v5
	s_mov_b32 s56, s31
	v_lshl_add_u32 v6, v5, 2, s2
	s_lshl_b32 s61, s54, 2
	s_mul_i32 s62, s7, s21
	s_mul_i32 s63, s25, s21
	s_lshl_b32 s64, s48, 2
	s_lshl_b32 s65, s27, 2
	v_lshl_add_u32 v7, v2, 2, 0
	v_mov_b32_e32 v1, 0
	s_branch .LBB16_3
.LBB16_2:                               ;   in Loop: Header=BB16_3 Depth=1
	s_add_i32 s8, s8, s26
	s_cmp_ge_u32 s8, s33
	s_cbranch_scc1 .LBB16_35
.LBB16_3:                               ; =>This Loop Header: Depth=1
                                        ;     Child Loop BB16_7 Depth 2
                                        ;       Child Loop BB16_11 Depth 3
                                        ;       Child Loop BB16_17 Depth 3
                                        ;         Child Loop BB16_23 Depth 4
                                        ;           Child Loop BB16_25 Depth 5
                                        ;         Child Loop BB16_29 Depth 4
                                        ;           Child Loop BB16_32 Depth 5
                                        ;             Child Loop BB16_34 Depth 6
	s_mov_b32 s9, s11
	s_lshl_b64 s[2:3], s[8:9], 2
	s_add_u32 s2, s57, s2
	s_addc_u32 s3, s58, s3
	s_load_dword s2, s[2:3], 0x0
	s_waitcnt lgkmcnt(0)
	s_cmp_lg_u32 s2, 0
	s_cbranch_scc1 .LBB16_2
; %bb.4:                                ;   in Loop: Header=BB16_3 Depth=1
	s_andn2_b64 vcc, exec, s[38:39]
	s_cbranch_vccnz .LBB16_2
; %bb.5:                                ;   in Loop: Header=BB16_3 Depth=1
	s_mul_i32 s2, s8, s13
	s_mul_hi_u32 s3, s8, s12
	s_add_i32 s3, s3, s2
	s_mul_i32 s2, s8, s12
	s_lshl_b64 s[2:3], s[2:3], 2
	s_add_u32 s9, s59, s2
	s_addc_u32 s66, s60, s3
	s_mul_i32 s67, s8, s47
	s_mov_b32 s10, s6
	s_branch .LBB16_7
.LBB16_6:                               ;   in Loop: Header=BB16_7 Depth=2
	s_add_i32 s10, s10, s24
	s_cmp_lt_u32 s10, s47
	s_cbranch_scc0 .LBB16_2
.LBB16_7:                               ;   Parent Loop BB16_3 Depth=1
                                        ; =>  This Loop Header: Depth=2
                                        ;       Child Loop BB16_11 Depth 3
                                        ;       Child Loop BB16_17 Depth 3
                                        ;         Child Loop BB16_23 Depth 4
                                        ;           Child Loop BB16_25 Depth 5
                                        ;         Child Loop BB16_29 Depth 4
                                        ;           Child Loop BB16_32 Depth 5
                                        ;             Child Loop BB16_34 Depth 6
	s_lshl_b64 s[2:3], s[10:11], 2
	s_add_u32 s4, s16, s2
	s_addc_u32 s5, s17, s3
	s_add_u32 s2, s18, s2
	s_addc_u32 s3, s19, s3
	global_load_dword v0, v1, s[2:3]
	global_load_dword v8, v1, s[4:5]
	s_waitcnt vmcnt(1)
	v_readfirstlane_b32 s28, v0
	s_waitcnt vmcnt(0)
	v_readfirstlane_b32 s29, v8
	s_max_i32 s68, s29, s28
	s_cmp_gt_i32 s68, s20
	s_cbranch_scc1 .LBB16_6
; %bb.8:                                ;   in Loop: Header=BB16_7 Depth=2
	s_add_i32 s2, s10, s67
	s_mul_i32 s2, s52, s2
	s_mov_b32 s3, s11
	s_lshl_b64 s[2:3], s[2:3], 2
	s_add_u32 s30, s14, s2
	s_addc_u32 s31, s15, s3
	s_andn2_b64 vcc, exec, s[36:37]
	s_cbranch_vccnz .LBB16_13
; %bb.9:                                ;   in Loop: Header=BB16_7 Depth=2
	s_barrier
	s_and_saveexec_b64 s[2:3], s[0:1]
	s_cbranch_execz .LBB16_12
; %bb.10:                               ;   in Loop: Header=BB16_7 Depth=2
	s_mov_b64 s[4:5], 0
	v_mov_b32_e32 v8, s31
	v_mov_b32_e32 v9, v6
	;; [unrolled: 1-line block ×3, first 2 shown]
.LBB16_11:                              ;   Parent Loop BB16_3 Depth=1
                                        ;     Parent Loop BB16_7 Depth=2
                                        ; =>    This Inner Loop Header: Depth=3
	v_lshlrev_b64 v[10:11], 2, v[0:1]
	v_add_co_u32_e32 v10, vcc, s30, v10
	v_addc_co_u32_e32 v11, vcc, v8, v11, vcc
	global_load_dword v10, v[10:11], off
	v_add_u32_e32 v0, s54, v0
	v_cmp_le_u32_e32 vcc, s52, v0
	s_or_b64 s[4:5], vcc, s[4:5]
	s_waitcnt vmcnt(0)
	ds_write_b32 v9, v10
	v_add_u32_e32 v9, s61, v9
	s_andn2_b64 exec, exec, s[4:5]
	s_cbranch_execnz .LBB16_11
.LBB16_12:                              ;   in Loop: Header=BB16_7 Depth=2
	s_or_b64 exec, exec, s[2:3]
	s_waitcnt lgkmcnt(0)
	s_barrier
.LBB16_13:                              ;   in Loop: Header=BB16_7 Depth=2
	s_andn2_b64 vcc, exec, s[22:23]
	s_cbranch_vccnz .LBB16_6
; %bb.14:                               ;   in Loop: Header=BB16_7 Depth=2
	s_min_i32 s69, s28, s29
	s_cmp_eq_u32 s20, s69
	s_cselect_b32 s71, s53, s21
	s_cmp_eq_u32 s20, s68
	s_cselect_b32 s2, s53, s21
	s_add_i32 s72, s71, s2
	s_mul_i32 s4, s68, s21
	s_and_b64 s[2:3], s[36:37], exec
	s_cselect_b32 s5, s51, s31
	s_cselect_b32 s73, s50, s30
	s_sub_i32 s74, s4, s71
	s_cmp_gt_i32 s72, 0
	s_mul_i32 s70, s69, s21
	v_cmp_gt_u32_e64 s[2:3], s72, v4
	s_cselect_b64 s[28:29], -1, 0
	v_mov_b32_e32 v8, s5
	s_mov_b32 s75, s62
	s_mov_b32 s76, s7
	s_branch .LBB16_17
.LBB16_15:                              ;   in Loop: Header=BB16_17 Depth=3
	s_or_b64 exec, exec, s[30:31]
	s_barrier
.LBB16_16:                              ;   in Loop: Header=BB16_17 Depth=3
	s_add_i32 s76, s76, s25
	s_add_i32 s75, s75, s63
	s_cmp_lt_u32 s76, s46
	s_cbranch_scc0 .LBB16_6
.LBB16_17:                              ;   Parent Loop BB16_3 Depth=1
                                        ;     Parent Loop BB16_7 Depth=2
                                        ; =>    This Loop Header: Depth=3
                                        ;         Child Loop BB16_23 Depth 4
                                        ;           Child Loop BB16_25 Depth 5
                                        ;         Child Loop BB16_29 Depth 4
                                        ;           Child Loop BB16_32 Depth 5
                                        ;             Child Loop BB16_34 Depth 6
	v_cmp_ne_u32_e32 vcc, 1, v3
	s_mov_b64 s[4:5], s[34:35]
	s_cbranch_vccz .LBB16_19
; %bb.18:                               ;   in Loop: Header=BB16_17 Depth=3
	s_andn2_b64 vcc, exec, s[4:5]
	s_cbranch_vccnz .LBB16_16
	s_branch .LBB16_20
.LBB16_19:                              ;   in Loop: Header=BB16_17 Depth=3
	s_cmp_lg_u32 s76, s69
	s_cselect_b64 s[4:5], -1, 0
	s_cmp_lg_u32 s76, s68
	s_cselect_b64 s[30:31], -1, 0
	s_and_b64 s[4:5], s[4:5], s[30:31]
	s_andn2_b64 vcc, exec, s[4:5]
	s_cbranch_vccnz .LBB16_16
.LBB16_20:                              ;   in Loop: Header=BB16_17 Depth=3
	s_cmp_eq_u32 s20, s76
	s_cselect_b32 s77, s53, s21
	s_barrier
	s_and_saveexec_b64 s[30:31], s[2:3]
	s_cbranch_execz .LBB16_26
; %bb.21:                               ;   in Loop: Header=BB16_17 Depth=3
	v_mad_u64_u32 v[10:11], s[4:5], v4, s77, v[2:3]
	v_cmp_gt_u32_e32 vcc, s77, v2
	v_lshl_add_u32 v9, v10, 2, 0
	s_mul_i32 s78, s64, s77
	s_mov_b64 s[40:41], 0
	v_mov_b32_e32 v10, v4
	s_branch .LBB16_23
.LBB16_22:                              ;   in Loop: Header=BB16_23 Depth=4
	s_or_b64 exec, exec, s[42:43]
	v_add_u32_e32 v10, s48, v10
	v_cmp_le_u32_e64 s[4:5], s72, v10
	s_or_b64 s[40:41], s[4:5], s[40:41]
	v_add_u32_e32 v9, s78, v9
	s_andn2_b64 exec, exec, s[40:41]
	s_cbranch_execz .LBB16_26
.LBB16_23:                              ;   Parent Loop BB16_3 Depth=1
                                        ;     Parent Loop BB16_7 Depth=2
                                        ;       Parent Loop BB16_17 Depth=3
                                        ; =>      This Loop Header: Depth=4
                                        ;           Child Loop BB16_25 Depth 5
	s_and_saveexec_b64 s[42:43], vcc
	s_cbranch_execz .LBB16_22
; %bb.24:                               ;   in Loop: Header=BB16_23 Depth=4
	v_mov_b32_e32 v0, s74
	v_mov_b32_e32 v11, s70
	v_cmp_gt_u32_e64 s[4:5], s71, v10
	v_cndmask_b32_e64 v0, v0, v11, s[4:5]
	v_add_u32_e32 v11, v10, v0
	v_mad_u64_u32 v[12:13], s[4:5], v11, s56, 0
	v_mov_b32_e32 v0, v13
	v_mad_u64_u32 v[14:15], s[4:5], v11, s55, v[0:1]
	v_mov_b32_e32 v13, v14
	v_lshlrev_b64 v[12:13], 2, v[12:13]
	v_mov_b32_e32 v0, s66
	v_add_co_u32_e64 v11, s[4:5], s9, v12
	v_addc_co_u32_e64 v12, s[4:5], v0, v13, s[4:5]
	s_mov_b64 s[44:45], 0
	v_mov_b32_e32 v13, v9
	v_mov_b32_e32 v14, v2
.LBB16_25:                              ;   Parent Loop BB16_3 Depth=1
                                        ;     Parent Loop BB16_7 Depth=2
                                        ;       Parent Loop BB16_17 Depth=3
                                        ;         Parent Loop BB16_23 Depth=4
                                        ; =>        This Inner Loop Header: Depth=5
	v_add_u32_e32 v0, s75, v14
	v_lshlrev_b64 v[16:17], 2, v[0:1]
	v_add_co_u32_e64 v16, s[4:5], v11, v16
	v_addc_co_u32_e64 v17, s[4:5], v12, v17, s[4:5]
	global_load_dword v0, v[16:17], off
	v_add_u32_e32 v14, s27, v14
	v_cmp_le_u32_e64 s[4:5], s77, v14
	s_or_b64 s[44:45], s[4:5], s[44:45]
	s_waitcnt vmcnt(0)
	ds_write_b32 v13, v0
	v_add_u32_e32 v13, s65, v13
	s_andn2_b64 exec, exec, s[44:45]
	s_cbranch_execnz .LBB16_25
	s_branch .LBB16_22
.LBB16_26:                              ;   in Loop: Header=BB16_17 Depth=3
	s_or_b64 exec, exec, s[30:31]
	s_waitcnt lgkmcnt(0)
	s_barrier
	s_and_saveexec_b64 s[30:31], s[2:3]
	s_cbranch_execz .LBB16_15
; %bb.27:                               ;   in Loop: Header=BB16_17 Depth=3
	s_mul_i32 s78, s76, s21
	v_cmp_gt_u32_e64 s[4:5], s77, v2
	s_lshl_b32 s79, s77, 2
	s_mov_b64 s[40:41], 0
	v_mov_b32_e32 v9, v4
	s_branch .LBB16_29
.LBB16_28:                              ;   in Loop: Header=BB16_29 Depth=4
	s_or_b64 exec, exec, s[42:43]
	v_add_u32_e32 v9, s48, v9
	v_cmp_le_u32_e32 vcc, s72, v9
	s_or_b64 s[40:41], vcc, s[40:41]
	s_andn2_b64 exec, exec, s[40:41]
	s_cbranch_execz .LBB16_15
.LBB16_29:                              ;   Parent Loop BB16_3 Depth=1
                                        ;     Parent Loop BB16_7 Depth=2
                                        ;       Parent Loop BB16_17 Depth=3
                                        ; =>      This Loop Header: Depth=4
                                        ;           Child Loop BB16_32 Depth 5
                                        ;             Child Loop BB16_34 Depth 6
	s_and_saveexec_b64 s[42:43], s[4:5]
	s_cbranch_execz .LBB16_28
; %bb.30:                               ;   in Loop: Header=BB16_29 Depth=4
	v_mov_b32_e32 v0, s74
	v_mov_b32_e32 v10, s70
	v_cmp_gt_u32_e32 vcc, s71, v9
	v_cndmask_b32_e32 v0, v0, v10, vcc
	v_add_u32_e32 v12, v9, v0
	v_mad_u64_u32 v[10:11], s[44:45], v12, s56, 0
	v_mov_b32_e32 v0, v11
	v_mad_u64_u32 v[12:13], s[44:45], v12, s55, v[0:1]
	v_mov_b32_e32 v11, v12
	v_lshlrev_b64 v[10:11], 2, v[10:11]
	v_mov_b32_e32 v0, s66
	v_add_co_u32_e32 v10, vcc, s9, v10
	v_addc_co_u32_e32 v11, vcc, v0, v11, vcc
	s_mov_b64 s[44:45], 0
	v_mov_b32_e32 v12, v7
	v_mov_b32_e32 v13, v2
	s_branch .LBB16_32
.LBB16_31:                              ;   in Loop: Header=BB16_32 Depth=5
	v_add_u32_e32 v0, s78, v13
	v_lshlrev_b64 v[16:17], 2, v[0:1]
	v_add_co_u32_e32 v16, vcc, v10, v16
	v_addc_co_u32_e32 v17, vcc, v11, v17, vcc
	v_add_u32_e32 v13, s27, v13
	v_cmp_le_u32_e32 vcc, s77, v13
	s_or_b64 s[44:45], vcc, s[44:45]
	v_add_u32_e32 v12, s65, v12
	global_store_dword v[16:17], v14, off
	s_andn2_b64 exec, exec, s[44:45]
	s_cbranch_execz .LBB16_28
.LBB16_32:                              ;   Parent Loop BB16_3 Depth=1
                                        ;     Parent Loop BB16_7 Depth=2
                                        ;       Parent Loop BB16_17 Depth=3
                                        ;         Parent Loop BB16_29 Depth=4
                                        ; =>        This Loop Header: Depth=5
                                        ;             Child Loop BB16_34 Depth 6
	v_mov_b32_e32 v14, 0
	s_andn2_b64 vcc, exec, s[28:29]
	s_cbranch_vccnz .LBB16_31
; %bb.33:                               ;   in Loop: Header=BB16_32 Depth=5
	v_mov_b32_e32 v0, v9
	v_mov_b32_e32 v15, v12
	s_mov_b32 s80, s72
.LBB16_34:                              ;   Parent Loop BB16_3 Depth=1
                                        ;     Parent Loop BB16_7 Depth=2
                                        ;       Parent Loop BB16_17 Depth=3
                                        ;         Parent Loop BB16_29 Depth=4
                                        ;           Parent Loop BB16_32 Depth=5
                                        ; =>          This Inner Loop Header: Depth=6
	v_lshlrev_b64 v[16:17], 2, v[0:1]
	v_add_co_u32_e32 v16, vcc, s73, v16
	v_addc_co_u32_e32 v17, vcc, v8, v17, vcc
	flat_load_dword v16, v[16:17]
	ds_read_b32 v17, v15
	s_add_i32 s80, s80, -1
	v_add_u32_e32 v15, s79, v15
	v_add_u32_e32 v0, s49, v0
	s_cmp_eq_u32 s80, 0
	s_waitcnt vmcnt(0) lgkmcnt(0)
	v_fmac_f32_e32 v14, v17, v16
	s_cbranch_scc0 .LBB16_34
	s_branch .LBB16_31
.LBB16_35:
	s_endpgm
	.section	.rodata,"a",@progbits
	.p2align	6, 0x0
	.amdhsa_kernel _ZN9rocsolver6v33100L17syevj_offd_rotateILb0EffPfEEvbiiT2_iilPT0_PiS6_S6_i
		.amdhsa_group_segment_fixed_size 0
		.amdhsa_private_segment_fixed_size 0
		.amdhsa_kernarg_size 336
		.amdhsa_user_sgpr_count 6
		.amdhsa_user_sgpr_private_segment_buffer 1
		.amdhsa_user_sgpr_dispatch_ptr 0
		.amdhsa_user_sgpr_queue_ptr 0
		.amdhsa_user_sgpr_kernarg_segment_ptr 1
		.amdhsa_user_sgpr_dispatch_id 0
		.amdhsa_user_sgpr_flat_scratch_init 0
		.amdhsa_user_sgpr_kernarg_preload_length 0
		.amdhsa_user_sgpr_kernarg_preload_offset 0
		.amdhsa_user_sgpr_private_segment_size 0
		.amdhsa_uses_dynamic_stack 0
		.amdhsa_system_sgpr_private_segment_wavefront_offset 0
		.amdhsa_system_sgpr_workgroup_id_x 1
		.amdhsa_system_sgpr_workgroup_id_y 1
		.amdhsa_system_sgpr_workgroup_id_z 1
		.amdhsa_system_sgpr_workgroup_info 0
		.amdhsa_system_vgpr_workitem_id 1
		.amdhsa_next_free_vgpr 18
		.amdhsa_next_free_sgpr 81
		.amdhsa_accum_offset 20
		.amdhsa_reserve_vcc 1
		.amdhsa_reserve_flat_scratch 0
		.amdhsa_float_round_mode_32 0
		.amdhsa_float_round_mode_16_64 0
		.amdhsa_float_denorm_mode_32 3
		.amdhsa_float_denorm_mode_16_64 3
		.amdhsa_dx10_clamp 1
		.amdhsa_ieee_mode 1
		.amdhsa_fp16_overflow 0
		.amdhsa_tg_split 0
		.amdhsa_exception_fp_ieee_invalid_op 0
		.amdhsa_exception_fp_denorm_src 0
		.amdhsa_exception_fp_ieee_div_zero 0
		.amdhsa_exception_fp_ieee_overflow 0
		.amdhsa_exception_fp_ieee_underflow 0
		.amdhsa_exception_fp_ieee_inexact 0
		.amdhsa_exception_int_div_zero 0
	.end_amdhsa_kernel
	.section	.text._ZN9rocsolver6v33100L17syevj_offd_rotateILb0EffPfEEvbiiT2_iilPT0_PiS6_S6_i,"axG",@progbits,_ZN9rocsolver6v33100L17syevj_offd_rotateILb0EffPfEEvbiiT2_iilPT0_PiS6_S6_i,comdat
.Lfunc_end16:
	.size	_ZN9rocsolver6v33100L17syevj_offd_rotateILb0EffPfEEvbiiT2_iilPT0_PiS6_S6_i, .Lfunc_end16-_ZN9rocsolver6v33100L17syevj_offd_rotateILb0EffPfEEvbiiT2_iilPT0_PiS6_S6_i
                                        ; -- End function
	.section	.AMDGPU.csdata,"",@progbits
; Kernel info:
; codeLenInByte = 1484
; NumSgprs: 85
; NumVgprs: 18
; NumAgprs: 0
; TotalNumVgprs: 18
; ScratchSize: 0
; MemoryBound: 0
; FloatMode: 240
; IeeeMode: 1
; LDSByteSize: 0 bytes/workgroup (compile time only)
; SGPRBlocks: 10
; VGPRBlocks: 2
; NumSGPRsForWavesPerEU: 85
; NumVGPRsForWavesPerEU: 18
; AccumOffset: 20
; Occupancy: 8
; WaveLimiterHint : 1
; COMPUTE_PGM_RSRC2:SCRATCH_EN: 0
; COMPUTE_PGM_RSRC2:USER_SGPR: 6
; COMPUTE_PGM_RSRC2:TRAP_HANDLER: 0
; COMPUTE_PGM_RSRC2:TGID_X_EN: 1
; COMPUTE_PGM_RSRC2:TGID_Y_EN: 1
; COMPUTE_PGM_RSRC2:TGID_Z_EN: 1
; COMPUTE_PGM_RSRC2:TIDIG_COMP_CNT: 1
; COMPUTE_PGM_RSRC3_GFX90A:ACCUM_OFFSET: 4
; COMPUTE_PGM_RSRC3_GFX90A:TG_SPLIT: 0
	.section	.text._ZN9rocsolver6v33100L21syevj_offd_rotate_orgILb1EffPfEEvbiiT2_iilPT0_PiS6_S6_,"axG",@progbits,_ZN9rocsolver6v33100L21syevj_offd_rotate_orgILb1EffPfEEvbiiT2_iilPT0_PiS6_S6_,comdat
	.globl	_ZN9rocsolver6v33100L21syevj_offd_rotate_orgILb1EffPfEEvbiiT2_iilPT0_PiS6_S6_ ; -- Begin function _ZN9rocsolver6v33100L21syevj_offd_rotate_orgILb1EffPfEEvbiiT2_iilPT0_PiS6_S6_
	.p2align	8
	.type	_ZN9rocsolver6v33100L21syevj_offd_rotate_orgILb1EffPfEEvbiiT2_iilPT0_PiS6_S6_,@function
_ZN9rocsolver6v33100L21syevj_offd_rotate_orgILb1EffPfEEvbiiT2_iilPT0_PiS6_S6_: ; @_ZN9rocsolver6v33100L21syevj_offd_rotate_orgILb1EffPfEEvbiiT2_iilPT0_PiS6_S6_
; %bb.0:
	s_load_dwordx2 s[0:1], s[4:5], 0x40
	s_ashr_i32 s9, s8, 31
	s_lshl_b64 s[2:3], s[8:9], 2
	s_waitcnt lgkmcnt(0)
	s_add_u32 s0, s0, s2
	s_addc_u32 s1, s1, s3
	s_load_dword s0, s[0:1], 0x4
	s_waitcnt lgkmcnt(0)
	s_cmp_lg_u32 s0, 0
	s_cbranch_scc0 .LBB17_2
.LBB17_1:
	s_endpgm
.LBB17_2:
	s_load_dwordx8 s[12:19], s[4:5], 0x20
	s_mov_b32 s20, s7
	s_ashr_i32 s7, s6, 31
	s_lshl_b64 s[0:1], s[6:7], 2
	s_waitcnt lgkmcnt(0)
	s_add_u32 s2, s16, s0
	s_addc_u32 s3, s17, s1
	s_add_u32 s10, s18, s0
	s_load_dword s7, s[2:3], 0x0
	s_addc_u32 s11, s19, s1
	s_load_dword s16, s[10:11], 0x0
	s_load_dwordx4 s[0:3], s[4:5], 0x0
	s_waitcnt lgkmcnt(0)
	s_max_i32 s3, s7, s16
	s_cmp_ge_i32 s3, s1
	s_cbranch_scc1 .LBB17_1
; %bb.3:
	s_add_u32 s10, s4, 0x48
	s_addc_u32 s11, s5, 0
	s_bitcmp1_b32 s0, 0
	s_cselect_b64 s[0:1], -1, 0
	s_xor_b64 s[0:1], s[0:1], -1
	s_min_i32 s17, s7, s16
	s_and_b64 vcc, exec, s[0:1]
	s_mov_b32 s16, s20
	s_cbranch_vccnz .LBB17_5
; %bb.4:
	s_lshr_b32 s0, s16, 31
	s_add_i32 s0, s16, s0
	s_ashr_i32 s7, s0, 1
	s_cmp_lg_u32 s7, s17
	s_cselect_b64 s[0:1], -1, 0
	s_cmp_lg_u32 s7, s3
	s_cselect_b64 s[18:19], -1, 0
	s_and_b64 s[0:1], s[0:1], s[18:19]
.LBB17_5:
	s_andn2_b64 vcc, exec, s[0:1]
	s_cbranch_vccnz .LBB17_1
; %bb.6:
	s_load_dword s1, s[10:11], 0xc
	v_and_b32_e32 v5, 0x3ff, v0
	v_bfe_u32 v0, v0, 10, 10
	s_waitcnt lgkmcnt(0)
	s_bfe_u32 s7, s1, 0xf0001
	s_mul_i32 s10, s3, s7
	s_mul_i32 s0, s17, s7
	s_sub_i32 s3, s10, s7
	s_lshr_b32 s11, s1, 16
	v_mov_b32_e32 v1, s0
	v_mov_b32_e32 v2, s3
	v_cmp_gt_u32_e32 vcc, s7, v5
	v_cndmask_b32_e32 v1, v2, v1, vcc
	s_mul_i32 s3, s16, s11
	v_add_u32_e32 v4, v1, v5
	v_add_u32_e32 v0, s3, v0
	v_max_i32_e32 v1, v4, v0
	v_cmp_gt_i32_e32 vcc, s2, v1
	s_and_saveexec_b64 s[16:17], vcc
	s_cbranch_execz .LBB17_1
; %bb.7:
	s_load_dword s11, s[4:5], 0x48
	s_load_dwordx4 s[16:19], s[4:5], 0x10
	s_mul_i32 s9, s9, s12
	s_and_b32 s1, s1, 0xffff
	s_lshl_b32 s3, s7, 1
	s_waitcnt lgkmcnt(0)
	s_mul_i32 s4, s11, s8
	s_mul_i32 s11, s8, s13
	s_mul_hi_u32 s13, s8, s12
	s_add_i32 s11, s13, s11
	s_add_i32 s9, s11, s9
	s_mul_i32 s8, s8, s12
	s_ashr_i32 s5, s18, 31
	s_add_i32 s6, s4, s6
	s_lshl_b64 s[8:9], s[8:9], 2
	s_mov_b32 s4, s18
	s_add_u32 s8, s16, s8
	s_addc_u32 s9, s17, s9
	s_lshl_b64 s[4:5], s[4:5], 2
	s_mul_i32 s6, s6, s7
	s_add_u32 s4, s8, s4
	s_mul_i32 s6, s6, s7
	s_addc_u32 s5, s9, s5
	s_lshl_b32 s8, s6, 2
	s_ashr_i32 s9, s8, 31
	s_lshl_b64 s[8:9], s[8:9], 2
	s_add_u32 s6, s14, s8
	s_addc_u32 s8, s15, s9
	s_cmp_gt_u32 s1, 1
	v_mul_lo_u32 v8, v0, s19
	s_cbranch_scc0 .LBB17_11
; %bb.8:
	v_mul_lo_u32 v7, v0, s19
	v_mov_b32_e32 v3, 0
	v_add_u32_e32 v0, s0, v7
	v_mov_b32_e32 v9, s8
	v_mov_b32_e32 v10, s5
	;; [unrolled: 1-line block ×3, first 2 shown]
	s_mov_b32 s0, s7
	v_mov_b32_e32 v6, v3
.LBB17_9:                               ; =>This Inner Loop Header: Depth=1
	v_lshlrev_b64 v[12:13], 2, v[2:3]
	v_ashrrev_i32_e32 v1, 31, v0
	v_add_co_u32_e32 v12, vcc, s6, v12
	v_addc_co_u32_e32 v13, vcc, v9, v13, vcc
	v_lshlrev_b64 v[14:15], 2, v[0:1]
	global_load_dword v1, v[12:13], off
	v_add_co_u32_e32 v12, vcc, s4, v14
	v_addc_co_u32_e32 v13, vcc, v10, v15, vcc
	global_load_dword v11, v[12:13], off
	s_add_i32 s0, s0, -1
	v_add_u32_e32 v2, s3, v2
	v_add_u32_e32 v0, 1, v0
	s_cmp_eq_u32 s0, 0
	s_waitcnt vmcnt(0)
	v_fmac_f32_e32 v6, v1, v11
	s_cbranch_scc0 .LBB17_9
; %bb.10:
	s_mov_b64 s[0:1], 0
	s_branch .LBB17_12
.LBB17_11:
	s_mov_b64 s[0:1], -1
                                        ; implicit-def: $vgpr6
                                        ; implicit-def: $vgpr7
.LBB17_12:
	s_and_b64 vcc, exec, s[0:1]
	s_cbranch_vccz .LBB17_14
; %bb.13:
	v_mov_b32_e32 v6, 0
	v_mov_b32_e32 v7, v8
.LBB17_14:
	s_sub_i32 s0, s2, s10
	s_min_i32 s0, s0, s7
	s_cmp_lt_i32 s0, 1
	s_cbranch_scc1 .LBB17_17
; %bb.15:
	s_mul_i32 s7, s7, s7
	v_add_u32_e32 v0, s10, v7
	v_lshl_add_u32 v2, s7, 1, v5
	v_mov_b32_e32 v3, 0
	v_mov_b32_e32 v5, s8
	;; [unrolled: 1-line block ×3, first 2 shown]
.LBB17_16:                              ; =>This Inner Loop Header: Depth=1
	v_lshlrev_b64 v[10:11], 2, v[2:3]
	v_ashrrev_i32_e32 v1, 31, v0
	v_add_co_u32_e32 v10, vcc, s6, v10
	v_addc_co_u32_e32 v11, vcc, v5, v11, vcc
	v_lshlrev_b64 v[12:13], 2, v[0:1]
	global_load_dword v1, v[10:11], off
	v_add_co_u32_e32 v10, vcc, s4, v12
	v_addc_co_u32_e32 v11, vcc, v8, v13, vcc
	global_load_dword v9, v[10:11], off
	s_add_i32 s0, s0, -1
	v_add_u32_e32 v2, s3, v2
	v_add_u32_e32 v0, 1, v0
	s_cmp_lg_u32 s0, 0
	s_waitcnt vmcnt(0)
	v_fmac_f32_e32 v6, v1, v9
	s_cbranch_scc1 .LBB17_16
.LBB17_17:
	v_add_u32_e32 v0, v4, v7
	v_ashrrev_i32_e32 v1, 31, v0
	v_lshlrev_b64 v[0:1], 2, v[0:1]
	v_mov_b32_e32 v2, s5
	v_add_co_u32_e32 v0, vcc, s4, v0
	v_addc_co_u32_e32 v1, vcc, v2, v1, vcc
	s_barrier
	global_store_dword v[0:1], v6, off
	s_endpgm
	.section	.rodata,"a",@progbits
	.p2align	6, 0x0
	.amdhsa_kernel _ZN9rocsolver6v33100L21syevj_offd_rotate_orgILb1EffPfEEvbiiT2_iilPT0_PiS6_S6_
		.amdhsa_group_segment_fixed_size 0
		.amdhsa_private_segment_fixed_size 0
		.amdhsa_kernarg_size 328
		.amdhsa_user_sgpr_count 6
		.amdhsa_user_sgpr_private_segment_buffer 1
		.amdhsa_user_sgpr_dispatch_ptr 0
		.amdhsa_user_sgpr_queue_ptr 0
		.amdhsa_user_sgpr_kernarg_segment_ptr 1
		.amdhsa_user_sgpr_dispatch_id 0
		.amdhsa_user_sgpr_flat_scratch_init 0
		.amdhsa_user_sgpr_kernarg_preload_length 0
		.amdhsa_user_sgpr_kernarg_preload_offset 0
		.amdhsa_user_sgpr_private_segment_size 0
		.amdhsa_uses_dynamic_stack 0
		.amdhsa_system_sgpr_private_segment_wavefront_offset 0
		.amdhsa_system_sgpr_workgroup_id_x 1
		.amdhsa_system_sgpr_workgroup_id_y 1
		.amdhsa_system_sgpr_workgroup_id_z 1
		.amdhsa_system_sgpr_workgroup_info 0
		.amdhsa_system_vgpr_workitem_id 1
		.amdhsa_next_free_vgpr 16
		.amdhsa_next_free_sgpr 21
		.amdhsa_accum_offset 16
		.amdhsa_reserve_vcc 1
		.amdhsa_reserve_flat_scratch 0
		.amdhsa_float_round_mode_32 0
		.amdhsa_float_round_mode_16_64 0
		.amdhsa_float_denorm_mode_32 3
		.amdhsa_float_denorm_mode_16_64 3
		.amdhsa_dx10_clamp 1
		.amdhsa_ieee_mode 1
		.amdhsa_fp16_overflow 0
		.amdhsa_tg_split 0
		.amdhsa_exception_fp_ieee_invalid_op 0
		.amdhsa_exception_fp_denorm_src 0
		.amdhsa_exception_fp_ieee_div_zero 0
		.amdhsa_exception_fp_ieee_overflow 0
		.amdhsa_exception_fp_ieee_underflow 0
		.amdhsa_exception_fp_ieee_inexact 0
		.amdhsa_exception_int_div_zero 0
	.end_amdhsa_kernel
	.section	.text._ZN9rocsolver6v33100L21syevj_offd_rotate_orgILb1EffPfEEvbiiT2_iilPT0_PiS6_S6_,"axG",@progbits,_ZN9rocsolver6v33100L21syevj_offd_rotate_orgILb1EffPfEEvbiiT2_iilPT0_PiS6_S6_,comdat
.Lfunc_end17:
	.size	_ZN9rocsolver6v33100L21syevj_offd_rotate_orgILb1EffPfEEvbiiT2_iilPT0_PiS6_S6_, .Lfunc_end17-_ZN9rocsolver6v33100L21syevj_offd_rotate_orgILb1EffPfEEvbiiT2_iilPT0_PiS6_S6_
                                        ; -- End function
	.section	.AMDGPU.csdata,"",@progbits
; Kernel info:
; codeLenInByte = 760
; NumSgprs: 25
; NumVgprs: 16
; NumAgprs: 0
; TotalNumVgprs: 16
; ScratchSize: 0
; MemoryBound: 0
; FloatMode: 240
; IeeeMode: 1
; LDSByteSize: 0 bytes/workgroup (compile time only)
; SGPRBlocks: 3
; VGPRBlocks: 1
; NumSGPRsForWavesPerEU: 25
; NumVGPRsForWavesPerEU: 16
; AccumOffset: 16
; Occupancy: 8
; WaveLimiterHint : 0
; COMPUTE_PGM_RSRC2:SCRATCH_EN: 0
; COMPUTE_PGM_RSRC2:USER_SGPR: 6
; COMPUTE_PGM_RSRC2:TRAP_HANDLER: 0
; COMPUTE_PGM_RSRC2:TGID_X_EN: 1
; COMPUTE_PGM_RSRC2:TGID_Y_EN: 1
; COMPUTE_PGM_RSRC2:TGID_Z_EN: 1
; COMPUTE_PGM_RSRC2:TIDIG_COMP_CNT: 1
; COMPUTE_PGM_RSRC3_GFX90A:ACCUM_OFFSET: 3
; COMPUTE_PGM_RSRC3_GFX90A:TG_SPLIT: 0
	.section	.text._ZN9rocsolver6v33100L17syevj_offd_rotateILb1EffPfEEvbiiT2_iilPT0_PiS6_S6_i,"axG",@progbits,_ZN9rocsolver6v33100L17syevj_offd_rotateILb1EffPfEEvbiiT2_iilPT0_PiS6_S6_i,comdat
	.globl	_ZN9rocsolver6v33100L17syevj_offd_rotateILb1EffPfEEvbiiT2_iilPT0_PiS6_S6_i ; -- Begin function _ZN9rocsolver6v33100L17syevj_offd_rotateILb1EffPfEEvbiiT2_iilPT0_PiS6_S6_i
	.p2align	8
	.type	_ZN9rocsolver6v33100L17syevj_offd_rotateILb1EffPfEEvbiiT2_iilPT0_PiS6_S6_i,@function
_ZN9rocsolver6v33100L17syevj_offd_rotateILb1EffPfEEvbiiT2_iilPT0_PiS6_S6_i: ; @_ZN9rocsolver6v33100L17syevj_offd_rotateILb1EffPfEEvbiiT2_iilPT0_PiS6_S6_i
; %bb.0:
	s_load_dwordx4 s[20:23], s[4:5], 0x0
	s_load_dword s33, s[4:5], 0x48
	s_waitcnt lgkmcnt(0)
	s_abs_i32 s2, s21
	v_cvt_f32_u32_e32 v1, s2
	s_cmp_ge_u32 s8, s33
	v_rcp_iflag_f32_e32 v1, v1
	v_mul_f32_e32 v1, 0x4f7ffffe, v1
	v_cvt_u32_f32_e32 v1, v1
	v_readfirstlane_b32 s0, v1
	s_cbranch_scc1 .LBB18_35
; %bb.1:
	s_add_i32 s1, s22, -1
	s_ashr_i32 s3, s1, 31
	s_abs_i32 s10, s1
	s_sub_i32 s1, 0, s2
	s_mul_i32 s1, s1, s0
	s_mul_hi_u32 s1, s0, s1
	s_ashr_i32 s9, s21, 31
	s_add_i32 s0, s0, s1
	s_bitcmp1_b32 s20, 0
	s_mul_hi_u32 s23, s10, s0
	s_cselect_b64 s[0:1], -1, 0
	v_cndmask_b32_e64 v3, 0, 1, s[0:1]
	s_xor_b64 s[34:35], s[0:1], -1
	s_mul_i32 s1, s23, s2
	s_sub_i32 s1, s10, s1
	s_xor_b32 s0, s3, s9
	s_add_i32 s3, s23, 1
	s_sub_i32 s9, s1, s2
	s_cmp_ge_u32 s1, s2
	s_cselect_b32 s3, s3, s23
	s_cselect_b32 s1, s9, s1
	s_add_i32 s9, s3, 1
	s_cmp_ge_u32 s1, s2
	s_cselect_b32 s1, s9, s3
	s_xor_b32 s1, s1, s0
	s_sub_i32 s20, s1, s0
	s_add_i32 s46, s20, 1
	s_lshr_b32 s0, s46, 31
	s_add_i32 s0, s46, s0
	s_and_b32 s0, s0, -2
	s_load_dwordx4 s[28:31], s[4:5], 0x10
	s_load_dwordx8 s[12:19], s[4:5], 0x20
	s_sub_i32 s0, s46, s0
	s_load_dwordx2 s[2:3], s[4:5], 0x40
	s_load_dwordx4 s[24:27], s[4:5], 0x50
	s_add_i32 s0, s0, s46
	s_lshr_b32 s1, s0, 31
	s_lshl_b32 s49, s21, 1
	s_add_i32 s0, s0, s1
	s_mul_i32 s4, s49, s21
	s_ashr_i32 s47, s0, 1
	s_lshl_b32 s0, s4, 2
	s_waitcnt lgkmcnt(0)
	s_lshr_b32 s48, s27, 16
	s_and_b32 s27, s27, 0xffff
	s_add_i32 s50, s0, 0
	s_mul_i32 s4, s4, 3
	s_cmpk_lt_u32 s4, 0x4001
	s_mul_i32 s9, s21, s21
	s_mov_b64 s[0:1], src_shared_base
	s_cselect_b64 s[36:37], -1, 0
	s_ashr_i32 s5, s30, 31
	s_lshl_b32 s52, s9, 2
	s_cmp_lt_u32 s6, s47
	s_mul_i32 s0, s20, s21
	s_cselect_b64 s[38:39], -1, 0
	s_sub_i32 s53, s22, s0
	s_cmp_lt_u32 s7, s46
	s_cselect_b64 s[22:23], -1, 0
	s_ashr_i32 s55, s31, 31
	s_mov_b32 s4, s30
	s_add_u32 s57, s2, 4
	s_addc_u32 s58, s3, 0
	s_lshl_b64 s[2:3], s[4:5], 2
	s_add_u32 s59, s28, s2
	v_and_b32_e32 v2, 0x3ff, v0
	v_bfe_u32 v4, v0, 10, 10
	s_addc_u32 s60, s29, s3
	s_lshl_b32 s2, s9, 3
	v_mad_u32_u24 v5, v4, s27, v2
	s_mul_i32 s54, s48, s27
	s_add_i32 s2, s2, 0
	s_mov_b32 s11, 0
	s_mov_b32 s51, s1
	v_cmp_gt_u32_e64 s[0:1], s52, v5
	s_mov_b32 s56, s31
	v_lshl_add_u32 v6, v5, 2, s2
	s_lshl_b32 s61, s54, 2
	s_lshl_b32 s62, s48, 2
	;; [unrolled: 1-line block ×3, first 2 shown]
	v_lshlrev_b32_e32 v7, 2, v4
	v_mov_b32_e32 v1, 0
	s_branch .LBB18_3
.LBB18_2:                               ;   in Loop: Header=BB18_3 Depth=1
	s_add_i32 s8, s8, s26
	s_cmp_ge_u32 s8, s33
	s_cbranch_scc1 .LBB18_35
.LBB18_3:                               ; =>This Loop Header: Depth=1
                                        ;     Child Loop BB18_7 Depth 2
                                        ;       Child Loop BB18_11 Depth 3
                                        ;       Child Loop BB18_17 Depth 3
                                        ;         Child Loop BB18_23 Depth 4
                                        ;           Child Loop BB18_25 Depth 5
                                        ;         Child Loop BB18_29 Depth 4
                                        ;           Child Loop BB18_32 Depth 5
                                        ;             Child Loop BB18_34 Depth 6
	s_mov_b32 s9, s11
	s_lshl_b64 s[2:3], s[8:9], 2
	s_add_u32 s2, s57, s2
	s_addc_u32 s3, s58, s3
	s_load_dword s2, s[2:3], 0x0
	s_waitcnt lgkmcnt(0)
	s_cmp_lg_u32 s2, 0
	s_cbranch_scc1 .LBB18_2
; %bb.4:                                ;   in Loop: Header=BB18_3 Depth=1
	s_andn2_b64 vcc, exec, s[38:39]
	s_cbranch_vccnz .LBB18_2
; %bb.5:                                ;   in Loop: Header=BB18_3 Depth=1
	s_mul_i32 s2, s8, s13
	s_mul_hi_u32 s3, s8, s12
	s_add_i32 s3, s3, s2
	s_mul_i32 s2, s8, s12
	s_lshl_b64 s[2:3], s[2:3], 2
	s_add_u32 s9, s59, s2
	s_addc_u32 s64, s60, s3
	s_mul_i32 s65, s8, s47
	s_mov_b32 s10, s6
	s_branch .LBB18_7
.LBB18_6:                               ;   in Loop: Header=BB18_7 Depth=2
	s_add_i32 s10, s10, s24
	s_cmp_lt_u32 s10, s47
	s_cbranch_scc0 .LBB18_2
.LBB18_7:                               ;   Parent Loop BB18_3 Depth=1
                                        ; =>  This Loop Header: Depth=2
                                        ;       Child Loop BB18_11 Depth 3
                                        ;       Child Loop BB18_17 Depth 3
                                        ;         Child Loop BB18_23 Depth 4
                                        ;           Child Loop BB18_25 Depth 5
                                        ;         Child Loop BB18_29 Depth 4
                                        ;           Child Loop BB18_32 Depth 5
                                        ;             Child Loop BB18_34 Depth 6
	s_lshl_b64 s[2:3], s[10:11], 2
	s_add_u32 s4, s16, s2
	s_addc_u32 s5, s17, s3
	s_add_u32 s2, s18, s2
	s_addc_u32 s3, s19, s3
	global_load_dword v0, v1, s[2:3]
	global_load_dword v8, v1, s[4:5]
	s_waitcnt vmcnt(1)
	v_readfirstlane_b32 s28, v0
	s_waitcnt vmcnt(0)
	v_readfirstlane_b32 s29, v8
	s_max_i32 s66, s29, s28
	s_cmp_gt_i32 s66, s20
	s_cbranch_scc1 .LBB18_6
; %bb.8:                                ;   in Loop: Header=BB18_7 Depth=2
	s_add_i32 s2, s10, s65
	s_mul_i32 s2, s52, s2
	s_mov_b32 s3, s11
	s_lshl_b64 s[2:3], s[2:3], 2
	s_add_u32 s30, s14, s2
	s_addc_u32 s31, s15, s3
	s_andn2_b64 vcc, exec, s[36:37]
	s_cbranch_vccnz .LBB18_13
; %bb.9:                                ;   in Loop: Header=BB18_7 Depth=2
	s_barrier
	s_and_saveexec_b64 s[2:3], s[0:1]
	s_cbranch_execz .LBB18_12
; %bb.10:                               ;   in Loop: Header=BB18_7 Depth=2
	s_mov_b64 s[4:5], 0
	v_mov_b32_e32 v8, s31
	v_mov_b32_e32 v9, v6
	;; [unrolled: 1-line block ×3, first 2 shown]
.LBB18_11:                              ;   Parent Loop BB18_3 Depth=1
                                        ;     Parent Loop BB18_7 Depth=2
                                        ; =>    This Inner Loop Header: Depth=3
	v_lshlrev_b64 v[10:11], 2, v[0:1]
	v_add_co_u32_e32 v10, vcc, s30, v10
	v_addc_co_u32_e32 v11, vcc, v8, v11, vcc
	global_load_dword v10, v[10:11], off
	v_add_u32_e32 v0, s54, v0
	v_cmp_le_u32_e32 vcc, s52, v0
	s_or_b64 s[4:5], vcc, s[4:5]
	s_waitcnt vmcnt(0)
	ds_write_b32 v9, v10
	v_add_u32_e32 v9, s61, v9
	s_andn2_b64 exec, exec, s[4:5]
	s_cbranch_execnz .LBB18_11
.LBB18_12:                              ;   in Loop: Header=BB18_7 Depth=2
	s_or_b64 exec, exec, s[2:3]
	s_waitcnt lgkmcnt(0)
	s_barrier
.LBB18_13:                              ;   in Loop: Header=BB18_7 Depth=2
	s_andn2_b64 vcc, exec, s[22:23]
	s_cbranch_vccnz .LBB18_6
; %bb.14:                               ;   in Loop: Header=BB18_7 Depth=2
	s_min_i32 s67, s28, s29
	s_cmp_eq_u32 s20, s67
	s_cselect_b32 s69, s53, s21
	s_cmp_eq_u32 s20, s66
	s_cselect_b32 s2, s53, s21
	s_add_i32 s70, s69, s2
	s_mul_i32 s4, s66, s21
	s_and_b64 s[2:3], s[36:37], exec
	s_cselect_b32 s71, s51, s31
	s_cselect_b32 s72, s50, s30
	s_sub_i32 s73, s4, s69
	s_cmp_gt_i32 s70, 0
	v_mad_u64_u32 v[8:9], s[4:5], v4, s70, v[2:3]
	v_mul_lo_u32 v0, v7, s70
	s_mul_i32 s68, s67, s21
	v_cmp_gt_u32_e64 s[2:3], s70, v2
	v_lshl_add_u32 v8, v8, 2, 0
	s_mul_i32 s74, s62, s70
	v_add_u32_e32 v9, 0, v0
	s_cselect_b64 s[28:29], -1, 0
	s_mov_b32 s75, s7
	s_branch .LBB18_17
.LBB18_15:                              ;   in Loop: Header=BB18_17 Depth=3
	s_or_b64 exec, exec, s[4:5]
	s_barrier
.LBB18_16:                              ;   in Loop: Header=BB18_17 Depth=3
	s_add_i32 s75, s75, s25
	s_cmp_lt_u32 s75, s46
	s_cbranch_scc0 .LBB18_6
.LBB18_17:                              ;   Parent Loop BB18_3 Depth=1
                                        ;     Parent Loop BB18_7 Depth=2
                                        ; =>    This Loop Header: Depth=3
                                        ;         Child Loop BB18_23 Depth 4
                                        ;           Child Loop BB18_25 Depth 5
                                        ;         Child Loop BB18_29 Depth 4
                                        ;           Child Loop BB18_32 Depth 5
                                        ;             Child Loop BB18_34 Depth 6
	v_cmp_ne_u32_e32 vcc, 1, v3
	s_mov_b64 s[4:5], s[34:35]
	s_cbranch_vccz .LBB18_19
; %bb.18:                               ;   in Loop: Header=BB18_17 Depth=3
	s_andn2_b64 vcc, exec, s[4:5]
	s_cbranch_vccnz .LBB18_16
	s_branch .LBB18_20
.LBB18_19:                              ;   in Loop: Header=BB18_17 Depth=3
	s_cmp_lg_u32 s75, s67
	s_cselect_b64 s[4:5], -1, 0
	s_cmp_lg_u32 s75, s66
	s_cselect_b64 s[30:31], -1, 0
	s_and_b64 s[4:5], s[4:5], s[30:31]
	s_andn2_b64 vcc, exec, s[4:5]
	s_cbranch_vccnz .LBB18_16
.LBB18_20:                              ;   in Loop: Header=BB18_17 Depth=3
	s_cmp_eq_u32 s20, s75
	s_cselect_b32 s77, s53, s21
	s_mul_i32 s76, s75, s21
	v_cmp_gt_u32_e32 vcc, s77, v4
	s_barrier
	s_and_saveexec_b64 s[30:31], vcc
	s_cbranch_execz .LBB18_26
; %bb.21:                               ;   in Loop: Header=BB18_17 Depth=3
	s_mov_b64 s[40:41], 0
	v_mov_b32_e32 v10, v8
	v_mov_b32_e32 v11, v4
	s_branch .LBB18_23
.LBB18_22:                              ;   in Loop: Header=BB18_23 Depth=4
	s_or_b64 exec, exec, s[42:43]
	v_add_u32_e32 v11, s48, v11
	v_cmp_le_u32_e64 s[4:5], s77, v11
	s_or_b64 s[40:41], s[4:5], s[40:41]
	v_add_u32_e32 v10, s74, v10
	s_andn2_b64 exec, exec, s[40:41]
	s_cbranch_execz .LBB18_26
.LBB18_23:                              ;   Parent Loop BB18_3 Depth=1
                                        ;     Parent Loop BB18_7 Depth=2
                                        ;       Parent Loop BB18_17 Depth=3
                                        ; =>      This Loop Header: Depth=4
                                        ;           Child Loop BB18_25 Depth 5
	s_and_saveexec_b64 s[42:43], s[2:3]
	s_cbranch_execz .LBB18_22
; %bb.24:                               ;   in Loop: Header=BB18_23 Depth=4
	v_add_u32_e32 v14, s76, v11
	v_mad_u64_u32 v[12:13], s[4:5], v14, s56, 0
	v_mov_b32_e32 v0, v13
	v_mad_u64_u32 v[14:15], s[4:5], v14, s55, v[0:1]
	v_mov_b32_e32 v13, v14
	v_lshlrev_b64 v[12:13], 2, v[12:13]
	v_mov_b32_e32 v0, s64
	v_add_co_u32_e64 v12, s[4:5], s9, v12
	v_addc_co_u32_e64 v13, s[4:5], v0, v13, s[4:5]
	s_mov_b64 s[44:45], 0
	v_mov_b32_e32 v14, v10
	v_mov_b32_e32 v15, v2
.LBB18_25:                              ;   Parent Loop BB18_3 Depth=1
                                        ;     Parent Loop BB18_7 Depth=2
                                        ;       Parent Loop BB18_17 Depth=3
                                        ;         Parent Loop BB18_23 Depth=4
                                        ; =>        This Inner Loop Header: Depth=5
	v_mov_b32_e32 v0, s73
	v_mov_b32_e32 v16, s68
	v_cmp_gt_u32_e64 s[4:5], s69, v15
	v_cndmask_b32_e64 v0, v0, v16, s[4:5]
	v_add_u32_e32 v0, v0, v15
	v_lshlrev_b64 v[16:17], 2, v[0:1]
	v_add_co_u32_e64 v16, s[4:5], v12, v16
	v_addc_co_u32_e64 v17, s[4:5], v13, v17, s[4:5]
	global_load_dword v0, v[16:17], off
	v_add_u32_e32 v15, s27, v15
	v_cmp_le_u32_e64 s[4:5], s70, v15
	s_or_b64 s[44:45], s[4:5], s[44:45]
	s_waitcnt vmcnt(0)
	ds_write_b32 v14, v0
	v_add_u32_e32 v14, s63, v14
	s_andn2_b64 exec, exec, s[44:45]
	s_cbranch_execnz .LBB18_25
	s_branch .LBB18_22
.LBB18_26:                              ;   in Loop: Header=BB18_17 Depth=3
	s_or_b64 exec, exec, s[30:31]
	s_waitcnt lgkmcnt(0)
	s_barrier
	s_and_saveexec_b64 s[4:5], vcc
	s_cbranch_execz .LBB18_15
; %bb.27:                               ;   in Loop: Header=BB18_17 Depth=3
	s_mov_b64 s[30:31], 0
	v_mov_b32_e32 v10, v9
	v_mov_b32_e32 v11, v4
	s_branch .LBB18_29
.LBB18_28:                              ;   in Loop: Header=BB18_29 Depth=4
	s_or_b64 exec, exec, s[40:41]
	v_add_u32_e32 v11, s48, v11
	v_cmp_le_u32_e32 vcc, s77, v11
	s_or_b64 s[30:31], vcc, s[30:31]
	v_add_u32_e32 v10, s74, v10
	s_andn2_b64 exec, exec, s[30:31]
	s_cbranch_execz .LBB18_15
.LBB18_29:                              ;   Parent Loop BB18_3 Depth=1
                                        ;     Parent Loop BB18_7 Depth=2
                                        ;       Parent Loop BB18_17 Depth=3
                                        ; =>      This Loop Header: Depth=4
                                        ;           Child Loop BB18_32 Depth 5
                                        ;             Child Loop BB18_34 Depth 6
	s_and_saveexec_b64 s[40:41], s[2:3]
	s_cbranch_execz .LBB18_28
; %bb.30:                               ;   in Loop: Header=BB18_29 Depth=4
	v_add_u32_e32 v14, s76, v11
	v_mad_u64_u32 v[12:13], s[42:43], v14, s56, 0
	v_mov_b32_e32 v0, v13
	v_mad_u64_u32 v[14:15], s[42:43], v14, s55, v[0:1]
	v_mov_b32_e32 v13, v14
	v_lshlrev_b64 v[12:13], 2, v[12:13]
	v_mov_b32_e32 v0, s64
	v_add_co_u32_e32 v12, vcc, s9, v12
	v_addc_co_u32_e32 v13, vcc, v0, v13, vcc
	s_mov_b64 s[42:43], 0
	v_mov_b32_e32 v14, v2
	s_branch .LBB18_32
.LBB18_31:                              ;   in Loop: Header=BB18_32 Depth=5
	v_mov_b32_e32 v0, s73
	v_mov_b32_e32 v16, s68
	v_cmp_gt_u32_e32 vcc, s69, v14
	v_cndmask_b32_e32 v0, v0, v16, vcc
	v_add_u32_e32 v0, v14, v0
	v_lshlrev_b64 v[16:17], 2, v[0:1]
	v_add_co_u32_e32 v16, vcc, v12, v16
	v_addc_co_u32_e32 v17, vcc, v13, v17, vcc
	v_add_u32_e32 v14, s27, v14
	v_cmp_le_u32_e32 vcc, s70, v14
	s_or_b64 s[42:43], vcc, s[42:43]
	global_store_dword v[16:17], v15, off
	s_andn2_b64 exec, exec, s[42:43]
	s_cbranch_execz .LBB18_28
.LBB18_32:                              ;   Parent Loop BB18_3 Depth=1
                                        ;     Parent Loop BB18_7 Depth=2
                                        ;       Parent Loop BB18_17 Depth=3
                                        ;         Parent Loop BB18_29 Depth=4
                                        ; =>        This Loop Header: Depth=5
                                        ;             Child Loop BB18_34 Depth 6
	v_mov_b32_e32 v15, 0
	s_andn2_b64 vcc, exec, s[28:29]
	s_cbranch_vccnz .LBB18_31
; %bb.33:                               ;   in Loop: Header=BB18_32 Depth=5
	v_mov_b32_e32 v16, v10
	v_mov_b32_e32 v0, v14
	s_mov_b32 s44, s70
.LBB18_34:                              ;   Parent Loop BB18_3 Depth=1
                                        ;     Parent Loop BB18_7 Depth=2
                                        ;       Parent Loop BB18_17 Depth=3
                                        ;         Parent Loop BB18_29 Depth=4
                                        ;           Parent Loop BB18_32 Depth=5
                                        ; =>          This Inner Loop Header: Depth=6
	v_lshlrev_b64 v[18:19], 2, v[0:1]
	v_mov_b32_e32 v17, s71
	v_add_co_u32_e32 v18, vcc, s72, v18
	v_addc_co_u32_e32 v19, vcc, v17, v19, vcc
	flat_load_dword v17, v[18:19]
	ds_read_b32 v18, v16
	s_add_i32 s44, s44, -1
	v_add_u32_e32 v0, s49, v0
	v_add_u32_e32 v16, 4, v16
	s_cmp_eq_u32 s44, 0
	s_waitcnt vmcnt(0) lgkmcnt(0)
	v_fmac_f32_e32 v15, v17, v18
	s_cbranch_scc0 .LBB18_34
	s_branch .LBB18_31
.LBB18_35:
	s_endpgm
	.section	.rodata,"a",@progbits
	.p2align	6, 0x0
	.amdhsa_kernel _ZN9rocsolver6v33100L17syevj_offd_rotateILb1EffPfEEvbiiT2_iilPT0_PiS6_S6_i
		.amdhsa_group_segment_fixed_size 0
		.amdhsa_private_segment_fixed_size 0
		.amdhsa_kernarg_size 336
		.amdhsa_user_sgpr_count 6
		.amdhsa_user_sgpr_private_segment_buffer 1
		.amdhsa_user_sgpr_dispatch_ptr 0
		.amdhsa_user_sgpr_queue_ptr 0
		.amdhsa_user_sgpr_kernarg_segment_ptr 1
		.amdhsa_user_sgpr_dispatch_id 0
		.amdhsa_user_sgpr_flat_scratch_init 0
		.amdhsa_user_sgpr_kernarg_preload_length 0
		.amdhsa_user_sgpr_kernarg_preload_offset 0
		.amdhsa_user_sgpr_private_segment_size 0
		.amdhsa_uses_dynamic_stack 0
		.amdhsa_system_sgpr_private_segment_wavefront_offset 0
		.amdhsa_system_sgpr_workgroup_id_x 1
		.amdhsa_system_sgpr_workgroup_id_y 1
		.amdhsa_system_sgpr_workgroup_id_z 1
		.amdhsa_system_sgpr_workgroup_info 0
		.amdhsa_system_vgpr_workitem_id 1
		.amdhsa_next_free_vgpr 20
		.amdhsa_next_free_sgpr 78
		.amdhsa_accum_offset 20
		.amdhsa_reserve_vcc 1
		.amdhsa_reserve_flat_scratch 0
		.amdhsa_float_round_mode_32 0
		.amdhsa_float_round_mode_16_64 0
		.amdhsa_float_denorm_mode_32 3
		.amdhsa_float_denorm_mode_16_64 3
		.amdhsa_dx10_clamp 1
		.amdhsa_ieee_mode 1
		.amdhsa_fp16_overflow 0
		.amdhsa_tg_split 0
		.amdhsa_exception_fp_ieee_invalid_op 0
		.amdhsa_exception_fp_denorm_src 0
		.amdhsa_exception_fp_ieee_div_zero 0
		.amdhsa_exception_fp_ieee_overflow 0
		.amdhsa_exception_fp_ieee_underflow 0
		.amdhsa_exception_fp_ieee_inexact 0
		.amdhsa_exception_int_div_zero 0
	.end_amdhsa_kernel
	.section	.text._ZN9rocsolver6v33100L17syevj_offd_rotateILb1EffPfEEvbiiT2_iilPT0_PiS6_S6_i,"axG",@progbits,_ZN9rocsolver6v33100L17syevj_offd_rotateILb1EffPfEEvbiiT2_iilPT0_PiS6_S6_i,comdat
.Lfunc_end18:
	.size	_ZN9rocsolver6v33100L17syevj_offd_rotateILb1EffPfEEvbiiT2_iilPT0_PiS6_S6_i, .Lfunc_end18-_ZN9rocsolver6v33100L17syevj_offd_rotateILb1EffPfEEvbiiT2_iilPT0_PiS6_S6_i
                                        ; -- End function
	.section	.AMDGPU.csdata,"",@progbits
; Kernel info:
; codeLenInByte = 1468
; NumSgprs: 82
; NumVgprs: 20
; NumAgprs: 0
; TotalNumVgprs: 20
; ScratchSize: 0
; MemoryBound: 0
; FloatMode: 240
; IeeeMode: 1
; LDSByteSize: 0 bytes/workgroup (compile time only)
; SGPRBlocks: 10
; VGPRBlocks: 2
; NumSGPRsForWavesPerEU: 82
; NumVGPRsForWavesPerEU: 20
; AccumOffset: 20
; Occupancy: 8
; WaveLimiterHint : 1
; COMPUTE_PGM_RSRC2:SCRATCH_EN: 0
; COMPUTE_PGM_RSRC2:USER_SGPR: 6
; COMPUTE_PGM_RSRC2:TRAP_HANDLER: 0
; COMPUTE_PGM_RSRC2:TGID_X_EN: 1
; COMPUTE_PGM_RSRC2:TGID_Y_EN: 1
; COMPUTE_PGM_RSRC2:TGID_Z_EN: 1
; COMPUTE_PGM_RSRC2:TIDIG_COMP_CNT: 1
; COMPUTE_PGM_RSRC3_GFX90A:ACCUM_OFFSET: 4
; COMPUTE_PGM_RSRC3_GFX90A:TG_SPLIT: 0
	.section	.text._ZN9rocsolver6v33100L17syevj_cycle_pairsIfEEviPiS2_,"axG",@progbits,_ZN9rocsolver6v33100L17syevj_cycle_pairsIfEEviPiS2_,comdat
	.globl	_ZN9rocsolver6v33100L17syevj_cycle_pairsIfEEviPiS2_ ; -- Begin function _ZN9rocsolver6v33100L17syevj_cycle_pairsIfEEviPiS2_
	.p2align	8
	.type	_ZN9rocsolver6v33100L17syevj_cycle_pairsIfEEviPiS2_,@function
_ZN9rocsolver6v33100L17syevj_cycle_pairsIfEEviPiS2_: ; @_ZN9rocsolver6v33100L17syevj_cycle_pairsIfEEviPiS2_
; %bb.0:
	s_load_dword s8, s[4:5], 0x0
	s_load_dwordx4 s[0:3], s[4:5], 0x8
	s_load_dword s11, s[4:5], 0x24
	v_cmp_eq_u32_e32 vcc, 0, v0
	s_waitcnt lgkmcnt(0)
	s_add_i32 s9, s8, -1
	s_and_saveexec_b64 s[4:5], vcc
	s_cbranch_execz .LBB19_6
; %bb.1:
	s_lshl_b32 s6, s9, 1
	s_or_b32 s7, s6, 1
	s_bfe_i32 s10, s9, 0x1001e
	s_add_i32 s12, s7, s10
	s_xor_b32 s10, s12, s10
	v_cvt_f32_u32_e32 v1, s10
	s_load_dword s12, s[2:3], 0x0
	s_sub_i32 s14, 0, s10
	v_rcp_iflag_f32_e32 v1, v1
	s_waitcnt lgkmcnt(0)
	s_add_i32 s12, s12, -1
	s_ashr_i32 s13, s12, 31
	v_mul_f32_e32 v1, 0x4f7ffffe, v1
	v_cvt_u32_f32_e32 v1, v1
	s_abs_i32 s12, s12
	v_readfirstlane_b32 s15, v1
	s_mul_i32 s14, s14, s15
	s_mul_hi_u32 s14, s15, s14
	s_add_i32 s15, s15, s14
	s_mul_hi_u32 s14, s12, s15
	s_mul_i32 s14, s14, s10
	s_sub_i32 s12, s12, s14
	s_sub_i32 s14, s12, s10
	s_cmp_ge_u32 s12, s10
	s_cselect_b32 s12, s14, s12
	s_sub_i32 s14, s12, s10
	s_cmp_ge_u32 s12, s10
	s_cselect_b32 s10, s14, s12
	s_xor_b32 s10, s10, s13
	s_sub_i32 s10, s10, s13
	s_bitcmp0_b32 s10, 0
	s_cbranch_scc1 .LBB19_3
; %bb.2:
	s_add_i32 s12, s10, 3
	s_cmp_gt_i32 s12, s6
	s_cselect_b32 s12, s7, s12
	s_cbranch_execz .LBB19_4
	s_branch .LBB19_5
.LBB19_3:
                                        ; implicit-def: $sgpr12
.LBB19_4:
	s_add_i32 s6, s10, -1
	s_cmp_gt_i32 s10, 1
	s_cselect_b32 s12, s6, 2
.LBB19_5:
	v_mov_b32_e32 v1, 0
	v_mov_b32_e32 v2, s12
	global_store_dword v1, v2, s[2:3]
.LBB19_6:
	s_or_b64 exec, exec, s[4:5]
	v_add_u32_e32 v4, 1, v0
	v_cmp_gt_i32_e32 vcc, s8, v4
	s_and_saveexec_b64 s[4:5], vcc
	s_cbranch_execz .LBB19_17
; %bb.7:
	s_lshl_b32 s9, s9, 1
	s_or_b32 s10, s9, 1
	v_cvt_f32_u32_e32 v1, s10
	v_lshlrev_b32_e32 v0, 2, v0
	v_add_co_u32_e32 v0, vcc, 4, v0
	v_rcp_iflag_f32_e32 v1, v1
	s_and_b32 s11, 0xffff, s11
	s_mov_b32 s6, 0
	s_lshl_b32 s12, s11, 2
	v_mul_f32_e32 v1, 0x4f7ffffe, v1
	v_cvt_u32_f32_e32 v2, v1
	v_addc_co_u32_e64 v1, s[4:5], 0, 0, vcc
	s_sub_i32 s4, 0, s10
	v_mul_lo_u32 v3, s4, v2
	v_mul_hi_u32 v3, v2, v3
	v_add_u32_e32 v5, v2, v3
	s_mov_b64 s[4:5], 0
	v_mov_b32_e32 v6, s1
	v_mov_b32_e32 v7, s3
	;; [unrolled: 1-line block ×3, first 2 shown]
	s_branch .LBB19_9
.LBB19_8:                               ;   in Loop: Header=BB19_9 Depth=1
	s_or_b64 exec, exec, s[6:7]
	v_add_u32_e32 v4, s11, v4
	v_cmp_le_i32_e32 vcc, s8, v4
	s_or_b64 s[4:5], vcc, s[4:5]
	v_add_co_u32_e32 v0, vcc, s12, v0
	v_addc_co_u32_e32 v1, vcc, v1, v8, vcc
	global_store_dword v[2:3], v9, off
	s_andn2_b64 exec, exec, s[4:5]
	s_cbranch_execz .LBB19_17
.LBB19_9:                               ; =>This Inner Loop Header: Depth=1
	v_add_co_u32_e32 v2, vcc, s0, v0
	v_addc_co_u32_e32 v3, vcc, v6, v1, vcc
	global_load_dword v9, v[2:3], off
	s_waitcnt vmcnt(0)
	v_add_u32_e32 v9, -1, v9
	v_sub_u32_e32 v11, 0, v9
	v_ashrrev_i32_e32 v10, 31, v9
	v_max_i32_e32 v9, v9, v11
	v_mul_hi_u32 v11, v9, v5
	v_mul_lo_u32 v11, v11, s10
	v_sub_u32_e32 v9, v9, v11
	v_subrev_u32_e32 v11, s10, v9
	v_cmp_le_u32_e32 vcc, s10, v9
	v_cndmask_b32_e32 v9, v9, v11, vcc
	v_subrev_u32_e32 v11, s10, v9
	v_cmp_le_u32_e32 vcc, s10, v9
	v_cndmask_b32_e32 v9, v9, v11, vcc
	v_xor_b32_e32 v9, v9, v10
	v_sub_u32_e32 v10, v9, v10
	v_and_b32_e32 v9, 1, v10
	v_cmp_eq_u32_e32 vcc, 1, v9
                                        ; implicit-def: $vgpr9
	s_and_saveexec_b64 s[6:7], vcc
	s_xor_b64 s[6:7], exec, s[6:7]
; %bb.10:                               ;   in Loop: Header=BB19_9 Depth=1
	v_add_u32_e32 v9, 3, v10
	v_mov_b32_e32 v10, s10
	v_cmp_lt_i32_e32 vcc, s9, v9
	v_cndmask_b32_e32 v9, v9, v10, vcc
                                        ; implicit-def: $vgpr10
; %bb.11:                               ;   in Loop: Header=BB19_9 Depth=1
	s_andn2_saveexec_b64 s[6:7], s[6:7]
; %bb.12:                               ;   in Loop: Header=BB19_9 Depth=1
	v_add_u32_e32 v9, -1, v10
	v_cmp_lt_i32_e32 vcc, 1, v10
	v_cndmask_b32_e32 v9, 2, v9, vcc
; %bb.13:                               ;   in Loop: Header=BB19_9 Depth=1
	s_or_b64 exec, exec, s[6:7]
	global_store_dword v[2:3], v9, off
	v_add_co_u32_e32 v2, vcc, s2, v0
	v_addc_co_u32_e32 v3, vcc, v7, v1, vcc
	global_load_dword v9, v[2:3], off
	s_waitcnt vmcnt(0)
	v_add_u32_e32 v9, -1, v9
	v_sub_u32_e32 v11, 0, v9
	v_ashrrev_i32_e32 v10, 31, v9
	v_max_i32_e32 v9, v9, v11
	v_mul_hi_u32 v11, v9, v5
	v_mul_lo_u32 v11, v11, s10
	v_sub_u32_e32 v9, v9, v11
	v_subrev_u32_e32 v11, s10, v9
	v_cmp_le_u32_e32 vcc, s10, v9
	v_cndmask_b32_e32 v9, v9, v11, vcc
	v_subrev_u32_e32 v11, s10, v9
	v_cmp_le_u32_e32 vcc, s10, v9
	v_cndmask_b32_e32 v9, v9, v11, vcc
	v_xor_b32_e32 v9, v9, v10
	v_sub_u32_e32 v10, v9, v10
	v_and_b32_e32 v9, 1, v10
	v_cmp_eq_u32_e32 vcc, 1, v9
                                        ; implicit-def: $vgpr9
	s_and_saveexec_b64 s[6:7], vcc
	s_xor_b64 s[6:7], exec, s[6:7]
; %bb.14:                               ;   in Loop: Header=BB19_9 Depth=1
	v_add_u32_e32 v9, 3, v10
	v_mov_b32_e32 v10, s10
	v_cmp_lt_i32_e32 vcc, s9, v9
	v_cndmask_b32_e32 v9, v9, v10, vcc
                                        ; implicit-def: $vgpr10
; %bb.15:                               ;   in Loop: Header=BB19_9 Depth=1
	s_andn2_saveexec_b64 s[6:7], s[6:7]
	s_cbranch_execz .LBB19_8
; %bb.16:                               ;   in Loop: Header=BB19_9 Depth=1
	v_add_u32_e32 v9, -1, v10
	v_cmp_lt_i32_e32 vcc, 1, v10
	v_cndmask_b32_e32 v9, 2, v9, vcc
	s_branch .LBB19_8
.LBB19_17:
	s_endpgm
	.section	.rodata,"a",@progbits
	.p2align	6, 0x0
	.amdhsa_kernel _ZN9rocsolver6v33100L17syevj_cycle_pairsIfEEviPiS2_
		.amdhsa_group_segment_fixed_size 0
		.amdhsa_private_segment_fixed_size 0
		.amdhsa_kernarg_size 280
		.amdhsa_user_sgpr_count 6
		.amdhsa_user_sgpr_private_segment_buffer 1
		.amdhsa_user_sgpr_dispatch_ptr 0
		.amdhsa_user_sgpr_queue_ptr 0
		.amdhsa_user_sgpr_kernarg_segment_ptr 1
		.amdhsa_user_sgpr_dispatch_id 0
		.amdhsa_user_sgpr_flat_scratch_init 0
		.amdhsa_user_sgpr_kernarg_preload_length 0
		.amdhsa_user_sgpr_kernarg_preload_offset 0
		.amdhsa_user_sgpr_private_segment_size 0
		.amdhsa_uses_dynamic_stack 0
		.amdhsa_system_sgpr_private_segment_wavefront_offset 0
		.amdhsa_system_sgpr_workgroup_id_x 1
		.amdhsa_system_sgpr_workgroup_id_y 0
		.amdhsa_system_sgpr_workgroup_id_z 0
		.amdhsa_system_sgpr_workgroup_info 0
		.amdhsa_system_vgpr_workitem_id 0
		.amdhsa_next_free_vgpr 12
		.amdhsa_next_free_sgpr 16
		.amdhsa_accum_offset 12
		.amdhsa_reserve_vcc 1
		.amdhsa_reserve_flat_scratch 0
		.amdhsa_float_round_mode_32 0
		.amdhsa_float_round_mode_16_64 0
		.amdhsa_float_denorm_mode_32 3
		.amdhsa_float_denorm_mode_16_64 3
		.amdhsa_dx10_clamp 1
		.amdhsa_ieee_mode 1
		.amdhsa_fp16_overflow 0
		.amdhsa_tg_split 0
		.amdhsa_exception_fp_ieee_invalid_op 0
		.amdhsa_exception_fp_denorm_src 0
		.amdhsa_exception_fp_ieee_div_zero 0
		.amdhsa_exception_fp_ieee_overflow 0
		.amdhsa_exception_fp_ieee_underflow 0
		.amdhsa_exception_fp_ieee_inexact 0
		.amdhsa_exception_int_div_zero 0
	.end_amdhsa_kernel
	.section	.text._ZN9rocsolver6v33100L17syevj_cycle_pairsIfEEviPiS2_,"axG",@progbits,_ZN9rocsolver6v33100L17syevj_cycle_pairsIfEEviPiS2_,comdat
.Lfunc_end19:
	.size	_ZN9rocsolver6v33100L17syevj_cycle_pairsIfEEviPiS2_, .Lfunc_end19-_ZN9rocsolver6v33100L17syevj_cycle_pairsIfEEviPiS2_
                                        ; -- End function
	.section	.AMDGPU.csdata,"",@progbits
; Kernel info:
; codeLenInByte = 692
; NumSgprs: 20
; NumVgprs: 12
; NumAgprs: 0
; TotalNumVgprs: 12
; ScratchSize: 0
; MemoryBound: 0
; FloatMode: 240
; IeeeMode: 1
; LDSByteSize: 0 bytes/workgroup (compile time only)
; SGPRBlocks: 2
; VGPRBlocks: 1
; NumSGPRsForWavesPerEU: 20
; NumVGPRsForWavesPerEU: 12
; AccumOffset: 12
; Occupancy: 8
; WaveLimiterHint : 0
; COMPUTE_PGM_RSRC2:SCRATCH_EN: 0
; COMPUTE_PGM_RSRC2:USER_SGPR: 6
; COMPUTE_PGM_RSRC2:TRAP_HANDLER: 0
; COMPUTE_PGM_RSRC2:TGID_X_EN: 1
; COMPUTE_PGM_RSRC2:TGID_Y_EN: 0
; COMPUTE_PGM_RSRC2:TGID_Z_EN: 0
; COMPUTE_PGM_RSRC2:TIDIG_COMP_CNT: 0
; COMPUTE_PGM_RSRC3_GFX90A:ACCUM_OFFSET: 2
; COMPUTE_PGM_RSRC3_GFX90A:TG_SPLIT: 0
	.section	.text._ZN9rocsolver6v33100L15syevj_calc_normIffEEviiPT0_PT_S3_Pi,"axG",@progbits,_ZN9rocsolver6v33100L15syevj_calc_normIffEEviiPT0_PT_S3_Pi,comdat
	.globl	_ZN9rocsolver6v33100L15syevj_calc_normIffEEviiPT0_PT_S3_Pi ; -- Begin function _ZN9rocsolver6v33100L15syevj_calc_normIffEEviiPT0_PT_S3_Pi
	.p2align	8
	.type	_ZN9rocsolver6v33100L15syevj_calc_normIffEEviiPT0_PT_S3_Pi,@function
_ZN9rocsolver6v33100L15syevj_calc_normIffEEviiPT0_PT_S3_Pi: ; @_ZN9rocsolver6v33100L15syevj_calc_normIffEEviiPT0_PT_S3_Pi
; %bb.0:
	s_load_dwordx8 s[8:15], s[4:5], 0x8
	s_mov_b32 s16, s7
	s_ashr_i32 s17, s7, 31
	s_lshl_b64 s[6:7], s[16:17], 2
	s_waitcnt lgkmcnt(0)
	s_add_u32 s0, s14, s6
	s_addc_u32 s1, s15, s7
	s_load_dword s2, s[0:1], 0x4
	s_waitcnt lgkmcnt(0)
	s_cmp_lg_u32 s2, 0
	s_cbranch_scc0 .LBB20_2
.LBB20_1:
	s_endpgm
.LBB20_2:
	s_load_dword s17, s[4:5], 0x34
	s_load_dwordx2 s[2:3], s[4:5], 0x0
	v_mov_b32_e32 v1, 0
	s_waitcnt lgkmcnt(0)
	s_and_b32 s22, s17, 0xffff
	v_cmp_gt_i32_e32 vcc, s2, v0
	s_and_saveexec_b64 s[4:5], vcc
	s_cbranch_execz .LBB20_10
; %bb.3:
	s_mul_i32 s16, s16, s2
	s_mul_i32 s16, s16, s2
	s_ashr_i32 s17, s16, 31
	s_lshl_b64 s[16:17], s[16:17], 2
	s_add_u32 s10, s10, s16
	v_lshlrev_b32_e32 v1, 2, v0
	s_addc_u32 s11, s11, s17
	v_mov_b32_e32 v3, s11
	v_add_co_u32_e32 v2, vcc, s10, v1
	s_ashr_i32 s11, s2, 31
	s_mov_b32 s10, s2
	s_mov_b32 s18, 0
	s_lshl_b64 s[16:17], s[10:11], 2
	v_addc_co_u32_e32 v3, vcc, 0, v3, vcc
	s_lshl_b32 s23, s22, 2
	s_mov_b64 s[10:11], 0
	v_mov_b32_e32 v1, 0
	v_mov_b32_e32 v6, s17
	;; [unrolled: 1-line block ×4, first 2 shown]
	s_branch .LBB20_6
.LBB20_4:                               ;   in Loop: Header=BB20_6 Depth=1
	s_or_b64 exec, exec, s[20:21]
.LBB20_5:                               ;   in Loop: Header=BB20_6 Depth=1
	s_or_b64 exec, exec, s[18:19]
	v_add_u32_e32 v8, s22, v8
	v_cmp_le_i32_e32 vcc, s2, v8
	s_or_b64 s[10:11], vcc, s[10:11]
	v_add_co_u32_e32 v2, vcc, s23, v2
	v_addc_co_u32_e32 v3, vcc, v3, v7, vcc
	s_andn2_b64 exec, exec, s[10:11]
	s_cbranch_execz .LBB20_9
.LBB20_6:                               ; =>This Loop Header: Depth=1
                                        ;     Child Loop BB20_8 Depth 2
	v_cmp_ne_u32_e32 vcc, 0, v8
	s_and_saveexec_b64 s[18:19], vcc
	s_cbranch_execz .LBB20_5
; %bb.7:                                ;   in Loop: Header=BB20_6 Depth=1
	s_mov_b32 s17, 0
	s_mov_b64 s[20:21], 0
	v_pk_mov_b32 v[4:5], v[2:3], v[2:3] op_sel:[0,1]
.LBB20_8:                               ;   Parent Loop BB20_6 Depth=1
                                        ; =>  This Inner Loop Header: Depth=2
	global_load_dword v9, v[4:5], off
	v_add_co_u32_e32 v4, vcc, s16, v4
	s_add_i32 s17, s17, 1
	v_addc_co_u32_e32 v5, vcc, v5, v6, vcc
	v_cmp_ge_u32_e32 vcc, s17, v8
	s_or_b64 s[20:21], vcc, s[20:21]
	s_waitcnt vmcnt(0)
	v_mul_f32_e32 v9, v9, v9
	v_fmac_f32_e32 v1, 2.0, v9
	s_andn2_b64 exec, exec, s[20:21]
	s_cbranch_execnz .LBB20_8
	s_branch .LBB20_4
.LBB20_9:
	s_or_b64 exec, exec, s[10:11]
.LBB20_10:
	s_or_b64 exec, exec, s[4:5]
	v_lshl_add_u32 v2, v0, 2, 0
	v_cmp_eq_u32_e32 vcc, 0, v0
	ds_write_b32 v2, v1
	s_waitcnt lgkmcnt(0)
	s_barrier
	s_and_saveexec_b64 s[4:5], vcc
	s_cbranch_execz .LBB20_1
; %bb.11:
	s_min_i32 s4, s22, s2
	s_cmp_lt_i32 s4, 2
	s_cbranch_scc1 .LBB20_20
; %bb.12:
	s_add_i32 s2, s4, -1
	s_add_i32 s4, s4, -2
	s_cmp_lt_u32 s4, 7
	s_cbranch_scc1 .LBB20_16
; %bb.13:
	s_mov_b32 s10, 0
	s_add_i32 s4, 0, 4
	s_and_b32 s5, s2, -8
.LBB20_14:                              ; =>This Inner Loop Header: Depth=1
	v_mov_b32_e32 v0, s4
	ds_read2_b32 v[2:3], v0 offset1:1
	ds_read2_b32 v[4:5], v0 offset0:2 offset1:3
	ds_read2_b32 v[6:7], v0 offset0:4 offset1:5
	;; [unrolled: 1-line block ×3, first 2 shown]
	s_mov_b32 s11, s10
	s_waitcnt lgkmcnt(3)
	v_add_f32_e32 v0, v1, v2
	v_add_f32_e32 v0, v0, v3
	s_waitcnt lgkmcnt(2)
	v_add_f32_e32 v0, v0, v4
	v_add_f32_e32 v0, v0, v5
	;; [unrolled: 3-line block ×3, first 2 shown]
	s_add_i32 s4, s4, 32
	s_add_i32 s10, s10, 8
	s_waitcnt lgkmcnt(0)
	v_add_f32_e32 v0, v0, v8
	s_cmp_lg_u32 s5, s10
	v_add_f32_e32 v1, v0, v9
	s_cbranch_scc1 .LBB20_14
; %bb.15:
	s_add_i32 s4, s11, 9
	s_branch .LBB20_17
.LBB20_16:
	s_mov_b32 s4, 1
.LBB20_17:
	s_and_b32 s2, s2, 7
	s_cmp_eq_u32 s2, 0
	s_cbranch_scc1 .LBB20_20
; %bb.18:
	s_lshl_b32 s4, s4, 2
	s_add_i32 s4, s4, 0
.LBB20_19:                              ; =>This Inner Loop Header: Depth=1
	v_mov_b32_e32 v0, s4
	ds_read_b32 v0, v0
	s_add_i32 s4, s4, 4
	s_add_i32 s2, s2, -1
	s_cmp_lg_u32 s2, 0
	s_waitcnt lgkmcnt(0)
	v_add_f32_e32 v1, v1, v0
	s_cbranch_scc1 .LBB20_19
.LBB20_20:
	s_add_u32 s4, s8, s6
	s_addc_u32 s5, s9, s7
	v_mov_b32_e32 v0, 0
	global_store_dword v0, v1, s[4:5]
	s_add_u32 s4, s12, s6
	s_addc_u32 s5, s13, s7
	global_load_dword v2, v0, s[4:5]
	s_waitcnt vmcnt(0)
	v_cmp_lt_f32_e32 vcc, v1, v2
	s_and_b64 exec, exec, vcc
	s_cbranch_execz .LBB20_1
; %bb.21:
	s_add_i32 s2, s3, 1
	s_mov_b64 s[4:5], exec
	v_mov_b32_e32 v1, s2
	global_store_dword v0, v1, s[0:1] offset:4
	v_mbcnt_lo_u32_b32 v0, s4, 0
	v_mbcnt_hi_u32_b32 v0, s5, v0
	v_cmp_eq_u32_e32 vcc, 0, v0
	s_and_b64 s[0:1], exec, vcc
	s_mov_b64 exec, s[0:1]
	s_cbranch_execz .LBB20_1
; %bb.22:
	s_bcnt1_i32_b64 s0, s[4:5]
	v_mov_b32_e32 v0, 0
	v_mov_b32_e32 v1, s0
	global_atomic_add v0, v1, s[14:15]
	s_endpgm
	.section	.rodata,"a",@progbits
	.p2align	6, 0x0
	.amdhsa_kernel _ZN9rocsolver6v33100L15syevj_calc_normIffEEviiPT0_PT_S3_Pi
		.amdhsa_group_segment_fixed_size 0
		.amdhsa_private_segment_fixed_size 0
		.amdhsa_kernarg_size 296
		.amdhsa_user_sgpr_count 6
		.amdhsa_user_sgpr_private_segment_buffer 1
		.amdhsa_user_sgpr_dispatch_ptr 0
		.amdhsa_user_sgpr_queue_ptr 0
		.amdhsa_user_sgpr_kernarg_segment_ptr 1
		.amdhsa_user_sgpr_dispatch_id 0
		.amdhsa_user_sgpr_flat_scratch_init 0
		.amdhsa_user_sgpr_kernarg_preload_length 0
		.amdhsa_user_sgpr_kernarg_preload_offset 0
		.amdhsa_user_sgpr_private_segment_size 0
		.amdhsa_uses_dynamic_stack 0
		.amdhsa_system_sgpr_private_segment_wavefront_offset 0
		.amdhsa_system_sgpr_workgroup_id_x 1
		.amdhsa_system_sgpr_workgroup_id_y 1
		.amdhsa_system_sgpr_workgroup_id_z 0
		.amdhsa_system_sgpr_workgroup_info 0
		.amdhsa_system_vgpr_workitem_id 0
		.amdhsa_next_free_vgpr 10
		.amdhsa_next_free_sgpr 24
		.amdhsa_accum_offset 12
		.amdhsa_reserve_vcc 1
		.amdhsa_reserve_flat_scratch 0
		.amdhsa_float_round_mode_32 0
		.amdhsa_float_round_mode_16_64 0
		.amdhsa_float_denorm_mode_32 3
		.amdhsa_float_denorm_mode_16_64 3
		.amdhsa_dx10_clamp 1
		.amdhsa_ieee_mode 1
		.amdhsa_fp16_overflow 0
		.amdhsa_tg_split 0
		.amdhsa_exception_fp_ieee_invalid_op 0
		.amdhsa_exception_fp_denorm_src 0
		.amdhsa_exception_fp_ieee_div_zero 0
		.amdhsa_exception_fp_ieee_overflow 0
		.amdhsa_exception_fp_ieee_underflow 0
		.amdhsa_exception_fp_ieee_inexact 0
		.amdhsa_exception_int_div_zero 0
	.end_amdhsa_kernel
	.section	.text._ZN9rocsolver6v33100L15syevj_calc_normIffEEviiPT0_PT_S3_Pi,"axG",@progbits,_ZN9rocsolver6v33100L15syevj_calc_normIffEEviiPT0_PT_S3_Pi,comdat
.Lfunc_end20:
	.size	_ZN9rocsolver6v33100L15syevj_calc_normIffEEviiPT0_PT_S3_Pi, .Lfunc_end20-_ZN9rocsolver6v33100L15syevj_calc_normIffEEviiPT0_PT_S3_Pi
                                        ; -- End function
	.section	.AMDGPU.csdata,"",@progbits
; Kernel info:
; codeLenInByte = 684
; NumSgprs: 28
; NumVgprs: 10
; NumAgprs: 0
; TotalNumVgprs: 10
; ScratchSize: 0
; MemoryBound: 0
; FloatMode: 240
; IeeeMode: 1
; LDSByteSize: 0 bytes/workgroup (compile time only)
; SGPRBlocks: 3
; VGPRBlocks: 1
; NumSGPRsForWavesPerEU: 28
; NumVGPRsForWavesPerEU: 10
; AccumOffset: 12
; Occupancy: 8
; WaveLimiterHint : 0
; COMPUTE_PGM_RSRC2:SCRATCH_EN: 0
; COMPUTE_PGM_RSRC2:USER_SGPR: 6
; COMPUTE_PGM_RSRC2:TRAP_HANDLER: 0
; COMPUTE_PGM_RSRC2:TGID_X_EN: 1
; COMPUTE_PGM_RSRC2:TGID_Y_EN: 1
; COMPUTE_PGM_RSRC2:TGID_Z_EN: 0
; COMPUTE_PGM_RSRC2:TIDIG_COMP_CNT: 0
; COMPUTE_PGM_RSRC3_GFX90A:ACCUM_OFFSET: 2
; COMPUTE_PGM_RSRC3_GFX90A:TG_SPLIT: 0
	.section	.text._ZN9rocsolver6v33100L14syevj_finalizeIffPfEEv14rocblas_esort_14rocblas_evect_iT1_iilPT0_iPiS7_lS8_PT_S8_,"axG",@progbits,_ZN9rocsolver6v33100L14syevj_finalizeIffPfEEv14rocblas_esort_14rocblas_evect_iT1_iilPT0_iPiS7_lS8_PT_S8_,comdat
	.globl	_ZN9rocsolver6v33100L14syevj_finalizeIffPfEEv14rocblas_esort_14rocblas_evect_iT1_iilPT0_iPiS7_lS8_PT_S8_ ; -- Begin function _ZN9rocsolver6v33100L14syevj_finalizeIffPfEEv14rocblas_esort_14rocblas_evect_iT1_iilPT0_iPiS7_lS8_PT_S8_
	.p2align	8
	.type	_ZN9rocsolver6v33100L14syevj_finalizeIffPfEEv14rocblas_esort_14rocblas_evect_iT1_iilPT0_iPiS7_lS8_PT_S8_,@function
_ZN9rocsolver6v33100L14syevj_finalizeIffPfEEv14rocblas_esort_14rocblas_evect_iT1_iilPT0_iPiS7_lS8_PT_S8_: ; @_ZN9rocsolver6v33100L14syevj_finalizeIffPfEEv14rocblas_esort_14rocblas_evect_iT1_iilPT0_iPiS7_lS8_PT_S8_
; %bb.0:
	s_load_dwordx4 s[20:23], s[4:5], 0x20
	s_load_dwordx8 s[8:15], s[4:5], 0x38
	s_load_dwordx4 s[24:27], s[4:5], 0x58
	s_mov_b32 s28, s7
	s_ashr_i32 s29, s7, 31
	v_cmp_eq_u32_e64 s[0:1], 0, v0
	s_and_saveexec_b64 s[6:7], s[0:1]
	s_cbranch_execz .LBB21_2
; %bb.1:
	s_lshl_b64 s[16:17], s[28:29], 2
	s_waitcnt lgkmcnt(0)
	s_add_u32 s2, s26, s16
	s_addc_u32 s3, s27, s17
	s_add_u32 s18, s22, s16
	s_addc_u32 s19, s23, s17
	s_load_dword s22, s[18:19], 0x0
	v_mov_b32_e32 v1, 0xf800000
	v_mov_b32_e32 v2, 0x4f800000
	s_load_dword s23, s[2:3], 0x4
	s_waitcnt lgkmcnt(0)
	v_mul_f32_e32 v2, s22, v2
	v_mov_b32_e32 v3, s22
	v_cmp_lt_f32_e32 vcc, s22, v1
	v_cndmask_b32_e32 v1, v3, v2, vcc
	v_sqrt_f32_e32 v2, v1
	s_load_dword s22, s[4:5], 0x30
	v_mov_b32_e32 v3, 0
	v_add_u32_e32 v4, -1, v2
	v_fma_f32 v5, -v4, v2, v1
	v_cmp_ge_f32_e64 s[2:3], 0, v5
	v_add_u32_e32 v5, 1, v2
	v_cndmask_b32_e64 v4, v2, v4, s[2:3]
	v_fma_f32 v2, -v5, v2, v1
	v_cmp_lt_f32_e64 s[2:3], 0, v2
	v_cndmask_b32_e64 v2, v4, v5, s[2:3]
	v_mul_f32_e32 v4, 0x37800000, v2
	v_cndmask_b32_e32 v2, v2, v4, vcc
	v_mov_b32_e32 v4, 0x260
	v_cmp_class_f32_e32 vcc, v1, v4
	v_cndmask_b32_e32 v1, v2, v1, vcc
	s_waitcnt lgkmcnt(0)
	global_store_dword v3, v1, s[18:19]
	s_add_i32 s18, s23, -1
	s_cmp_lt_i32 s23, 1
	s_cselect_b64 s[2:3], -1, 0
	v_cndmask_b32_e64 v1, 0, 1, s[2:3]
	s_and_b64 s[2:3], s[2:3], exec
	s_cselect_b32 s18, s22, s18
	s_add_u32 s2, s8, s16
	s_addc_u32 s3, s9, s17
	v_mov_b32_e32 v2, s18
	global_store_dword v3, v2, s[2:3]
	s_add_u32 s2, s14, s16
	s_addc_u32 s3, s15, s17
	global_store_dword v3, v1, s[2:3]
.LBB21_2:
	s_or_b64 exec, exec, s[6:7]
	s_load_dwordx4 s[16:19], s[4:5], 0x0
	s_waitcnt lgkmcnt(0)
	s_mul_i32 s2, s28, s13
	s_mul_hi_u32 s3, s28, s12
	s_add_i32 s2, s3, s2
	s_mul_i32 s3, s29, s12
	s_add_i32 s3, s2, s3
	s_mul_i32 s2, s28, s12
	s_lshl_b64 s[22:23], s[2:3], 2
	s_add_u32 s19, s10, s22
	s_addc_u32 s26, s11, s23
	v_cmp_gt_i32_e64 s[2:3], s18, v0
	s_and_saveexec_b64 s[6:7], s[2:3]
	s_cbranch_execz .LBB21_5
; %bb.3:
	s_mul_i32 s8, s28, s18
	s_load_dword s13, s[4:5], 0x74
	s_mul_i32 s8, s8, s18
	s_ashr_i32 s9, s8, 31
	s_lshl_b64 s[8:9], s[8:9], 2
	s_add_u32 s12, s24, s8
	s_addc_u32 s15, s25, s9
	s_add_i32 s14, s18, 1
	s_waitcnt lgkmcnt(0)
	s_and_b32 s13, s13, 0xffff
	v_mad_u64_u32 v[2:3], s[8:9], v0, s18, v[0:1]
	s_mul_i32 s14, s14, s13
	s_mov_b64 s[8:9], 0
	v_mov_b32_e32 v1, s15
	v_mov_b32_e32 v6, s26
	;; [unrolled: 1-line block ×3, first 2 shown]
.LBB21_4:                               ; =>This Inner Loop Header: Depth=1
	v_ashrrev_i32_e32 v3, 31, v2
	v_lshlrev_b64 v[8:9], 2, v[2:3]
	v_add_co_u32_e32 v8, vcc, s12, v8
	v_addc_co_u32_e32 v9, vcc, v1, v9, vcc
	global_load_dword v3, v[8:9], off
	v_ashrrev_i32_e32 v5, 31, v4
	v_lshlrev_b64 v[8:9], 2, v[4:5]
	v_add_co_u32_e32 v8, vcc, s19, v8
	v_add_u32_e32 v4, s13, v4
	v_addc_co_u32_e32 v9, vcc, v6, v9, vcc
	v_cmp_le_i32_e32 vcc, s18, v4
	s_or_b64 s[8:9], vcc, s[8:9]
	v_add_u32_e32 v2, s14, v2
	s_waitcnt vmcnt(0)
	global_store_dword v[8:9], v3, off
	s_andn2_b64 exec, exec, s[8:9]
	s_cbranch_execnz .LBB21_4
.LBB21_5:
	s_or_b64 exec, exec, s[6:7]
	s_cmpk_lg_i32 s17, 0xd5
	s_cselect_b64 s[24:25], -1, 0
	v_cmp_eq_u32_e32 vcc, 0, v0
	s_or_b64 s[8:9], vcc, s[24:25]
	s_cmpk_lg_i32 s16, 0xfb
	s_cselect_b64 s[12:13], -1, 0
	s_and_b64 s[8:9], s[12:13], s[8:9]
	s_cmp_gt_i32 s18, 1
	s_cselect_b64 s[12:13], -1, 0
	s_mov_b32 s7, 0
	s_and_b64 s[8:9], s[12:13], s[8:9]
	s_barrier
	s_and_saveexec_b64 s[12:13], s[8:9]
	s_cbranch_execz .LBB21_18
; %bb.6:
	s_load_dwordx4 s[12:15], s[4:5], 0x10
	s_mul_i32 s6, s28, s21
	s_mul_hi_u32 s8, s28, s20
	s_add_i32 s6, s8, s6
	s_mul_i32 s16, s28, s20
	s_waitcnt lgkmcnt(0)
	s_ashr_i32 s9, s14, 31
	s_mov_b32 s8, s14
	s_mul_i32 s14, s29, s20
	s_add_i32 s17, s6, s14
	s_lshl_b64 s[16:17], s[16:17], 2
	s_add_u32 s6, s12, s16
	s_addc_u32 s12, s13, s17
	s_lshl_b64 s[8:9], s[8:9], 2
	s_add_u32 s14, s6, s8
	s_addc_u32 s27, s12, s9
	s_add_u32 s8, s4, 0x68
	s_addc_u32 s9, s5, 0
	s_add_i32 s28, s18, -2
	s_add_u32 s4, s22, s10
	s_addc_u32 s5, s23, s11
	s_add_u32 s10, s4, 4
	v_cndmask_b32_e64 v2, 0, 1, s[24:25]
	s_addc_u32 s11, s5, 0
	v_mov_b32_e32 v1, 0
	v_cmp_ne_u32_e64 s[4:5], 1, v2
	s_mov_b32 s22, 0
	s_mov_b32 s23, 0
	s_branch .LBB21_9
.LBB21_7:                               ;   in Loop: Header=BB21_9 Depth=1
	s_or_b64 exec, exec, s[16:17]
	s_barrier
.LBB21_8:                               ;   in Loop: Header=BB21_9 Depth=1
	s_add_u32 s10, s10, 4
	s_addc_u32 s11, s11, 0
	s_add_i32 s22, s22, s15
	s_cmp_lg_u32 s6, s28
	s_cbranch_scc0 .LBB21_18
.LBB21_9:                               ; =>This Loop Header: Depth=1
                                        ;     Child Loop BB21_10 Depth 2
                                        ;     Child Loop BB21_17 Depth 2
	s_mov_b32 s6, s23
	s_lshl_b64 s[12:13], s[6:7], 2
	s_add_u32 s16, s19, s12
	s_addc_u32 s17, s26, s13
	global_load_dword v2, v1, s[16:17]
	s_add_i32 s23, s23, 1
	s_mov_b64 s[20:21], s[10:11]
	s_mov_b32 s13, s23
	s_mov_b32 s12, s6
.LBB21_10:                              ;   Parent Loop BB21_9 Depth=1
                                        ; =>  This Inner Loop Header: Depth=2
	global_load_dword v3, v1, s[20:21]
	s_waitcnt vmcnt(0)
	v_cmp_lt_f32_e32 vcc, v3, v2
	s_and_b64 s[24:25], vcc, exec
	s_cselect_b32 s12, s13, s12
	s_add_i32 s13, s13, 1
	s_add_u32 s20, s20, 4
	s_addc_u32 s21, s21, 0
	v_cndmask_b32_e32 v2, v2, v3, vcc
	s_cmp_lt_i32 s13, s18
	s_cbranch_scc1 .LBB21_10
; %bb.11:                               ;   in Loop: Header=BB21_9 Depth=1
	s_cmp_eq_u32 s12, s6
	s_barrier
	s_cbranch_scc1 .LBB21_8
; %bb.12:                               ;   in Loop: Header=BB21_9 Depth=1
	s_and_saveexec_b64 s[20:21], s[0:1]
	s_cbranch_execz .LBB21_14
; %bb.13:                               ;   in Loop: Header=BB21_9 Depth=1
	global_load_dword v3, v1, s[16:17]
	s_ashr_i32 s13, s12, 31
	s_lshl_b64 s[24:25], s[12:13], 2
	s_add_u32 s24, s19, s24
	s_addc_u32 s25, s26, s25
	s_waitcnt vmcnt(0)
	global_store_dword v1, v3, s[24:25]
	global_store_dword v1, v2, s[16:17]
.LBB21_14:                              ;   in Loop: Header=BB21_9 Depth=1
	s_or_b64 exec, exec, s[20:21]
	s_and_b64 vcc, exec, s[4:5]
	s_cbranch_vccnz .LBB21_8
; %bb.15:                               ;   in Loop: Header=BB21_9 Depth=1
	s_and_saveexec_b64 s[16:17], s[2:3]
	s_cbranch_execz .LBB21_7
; %bb.16:                               ;   in Loop: Header=BB21_9 Depth=1
	s_load_dword s21, s[8:9], 0xc
	s_mul_i32 s20, s12, s15
	s_mov_b64 s[12:13], 0
	v_mov_b32_e32 v2, v0
	s_waitcnt lgkmcnt(0)
	s_and_b32 s21, s21, 0xffff
.LBB21_17:                              ;   Parent Loop BB21_9 Depth=1
                                        ; =>  This Inner Loop Header: Depth=2
	v_add_u32_e32 v4, s20, v2
	v_ashrrev_i32_e32 v5, 31, v4
	v_add_u32_e32 v6, s22, v2
	v_lshlrev_b64 v[4:5], 2, v[4:5]
	v_mov_b32_e32 v3, s27
	v_ashrrev_i32_e32 v7, 31, v6
	v_add_co_u32_e32 v4, vcc, s14, v4
	v_lshlrev_b64 v[6:7], 2, v[6:7]
	v_addc_co_u32_e32 v5, vcc, v3, v5, vcc
	v_mov_b32_e32 v8, s27
	v_add_co_u32_e32 v6, vcc, s14, v6
	v_addc_co_u32_e32 v7, vcc, v8, v7, vcc
	global_load_dword v3, v[6:7], off
	global_load_dword v8, v[4:5], off
	v_add_u32_e32 v2, s21, v2
	v_cmp_le_i32_e32 vcc, s18, v2
	s_or_b64 s[12:13], vcc, s[12:13]
	s_waitcnt vmcnt(1)
	global_store_dword v[4:5], v3, off
	s_waitcnt vmcnt(1)
	global_store_dword v[6:7], v8, off
	s_andn2_b64 exec, exec, s[12:13]
	s_cbranch_execnz .LBB21_17
	s_branch .LBB21_7
.LBB21_18:
	s_endpgm
	.section	.rodata,"a",@progbits
	.p2align	6, 0x0
	.amdhsa_kernel _ZN9rocsolver6v33100L14syevj_finalizeIffPfEEv14rocblas_esort_14rocblas_evect_iT1_iilPT0_iPiS7_lS8_PT_S8_
		.amdhsa_group_segment_fixed_size 0
		.amdhsa_private_segment_fixed_size 0
		.amdhsa_kernarg_size 360
		.amdhsa_user_sgpr_count 6
		.amdhsa_user_sgpr_private_segment_buffer 1
		.amdhsa_user_sgpr_dispatch_ptr 0
		.amdhsa_user_sgpr_queue_ptr 0
		.amdhsa_user_sgpr_kernarg_segment_ptr 1
		.amdhsa_user_sgpr_dispatch_id 0
		.amdhsa_user_sgpr_flat_scratch_init 0
		.amdhsa_user_sgpr_kernarg_preload_length 0
		.amdhsa_user_sgpr_kernarg_preload_offset 0
		.amdhsa_user_sgpr_private_segment_size 0
		.amdhsa_uses_dynamic_stack 0
		.amdhsa_system_sgpr_private_segment_wavefront_offset 0
		.amdhsa_system_sgpr_workgroup_id_x 1
		.amdhsa_system_sgpr_workgroup_id_y 1
		.amdhsa_system_sgpr_workgroup_id_z 0
		.amdhsa_system_sgpr_workgroup_info 0
		.amdhsa_system_vgpr_workitem_id 0
		.amdhsa_next_free_vgpr 10
		.amdhsa_next_free_sgpr 30
		.amdhsa_accum_offset 12
		.amdhsa_reserve_vcc 1
		.amdhsa_reserve_flat_scratch 0
		.amdhsa_float_round_mode_32 0
		.amdhsa_float_round_mode_16_64 0
		.amdhsa_float_denorm_mode_32 3
		.amdhsa_float_denorm_mode_16_64 3
		.amdhsa_dx10_clamp 1
		.amdhsa_ieee_mode 1
		.amdhsa_fp16_overflow 0
		.amdhsa_tg_split 0
		.amdhsa_exception_fp_ieee_invalid_op 0
		.amdhsa_exception_fp_denorm_src 0
		.amdhsa_exception_fp_ieee_div_zero 0
		.amdhsa_exception_fp_ieee_overflow 0
		.amdhsa_exception_fp_ieee_underflow 0
		.amdhsa_exception_fp_ieee_inexact 0
		.amdhsa_exception_int_div_zero 0
	.end_amdhsa_kernel
	.section	.text._ZN9rocsolver6v33100L14syevj_finalizeIffPfEEv14rocblas_esort_14rocblas_evect_iT1_iilPT0_iPiS7_lS8_PT_S8_,"axG",@progbits,_ZN9rocsolver6v33100L14syevj_finalizeIffPfEEv14rocblas_esort_14rocblas_evect_iT1_iilPT0_iPiS7_lS8_PT_S8_,comdat
.Lfunc_end21:
	.size	_ZN9rocsolver6v33100L14syevj_finalizeIffPfEEv14rocblas_esort_14rocblas_evect_iT1_iilPT0_iPiS7_lS8_PT_S8_, .Lfunc_end21-_ZN9rocsolver6v33100L14syevj_finalizeIffPfEEv14rocblas_esort_14rocblas_evect_iT1_iilPT0_iPiS7_lS8_PT_S8_
                                        ; -- End function
	.section	.AMDGPU.csdata,"",@progbits
; Kernel info:
; codeLenInByte = 1076
; NumSgprs: 34
; NumVgprs: 10
; NumAgprs: 0
; TotalNumVgprs: 10
; ScratchSize: 0
; MemoryBound: 0
; FloatMode: 240
; IeeeMode: 1
; LDSByteSize: 0 bytes/workgroup (compile time only)
; SGPRBlocks: 4
; VGPRBlocks: 1
; NumSGPRsForWavesPerEU: 34
; NumVGPRsForWavesPerEU: 10
; AccumOffset: 12
; Occupancy: 8
; WaveLimiterHint : 0
; COMPUTE_PGM_RSRC2:SCRATCH_EN: 0
; COMPUTE_PGM_RSRC2:USER_SGPR: 6
; COMPUTE_PGM_RSRC2:TRAP_HANDLER: 0
; COMPUTE_PGM_RSRC2:TGID_X_EN: 1
; COMPUTE_PGM_RSRC2:TGID_Y_EN: 1
; COMPUTE_PGM_RSRC2:TGID_Z_EN: 0
; COMPUTE_PGM_RSRC2:TIDIG_COMP_CNT: 0
; COMPUTE_PGM_RSRC3_GFX90A:ACCUM_OFFSET: 2
; COMPUTE_PGM_RSRC3_GFX90A:TG_SPLIT: 0
	.section	.text._ZN9rocsolver6v33100L18geqr2_kernel_smallILi256EfifPfEEvT1_S3_T3_lS3_lPT2_lPT0_l,"axG",@progbits,_ZN9rocsolver6v33100L18geqr2_kernel_smallILi256EfifPfEEvT1_S3_T3_lS3_lPT2_lPT0_l,comdat
	.globl	_ZN9rocsolver6v33100L18geqr2_kernel_smallILi256EfifPfEEvT1_S3_T3_lS3_lPT2_lPT0_l ; -- Begin function _ZN9rocsolver6v33100L18geqr2_kernel_smallILi256EfifPfEEvT1_S3_T3_lS3_lPT2_lPT0_l
	.p2align	8
	.type	_ZN9rocsolver6v33100L18geqr2_kernel_smallILi256EfifPfEEvT1_S3_T3_lS3_lPT2_lPT0_l,@function
_ZN9rocsolver6v33100L18geqr2_kernel_smallILi256EfifPfEEvT1_S3_T3_lS3_lPT2_lPT0_l: ; @_ZN9rocsolver6v33100L18geqr2_kernel_smallILi256EfifPfEEvT1_S3_T3_lS3_lPT2_lPT0_l
; %bb.0:
	s_load_dwordx8 s[12:19], s[4:5], 0x20
	s_load_dwordx2 s[20:21], s[4:5], 0x0
	s_load_dwordx4 s[0:3], s[4:5], 0x8
	s_load_dword s33, s[4:5], 0x18
	s_load_dwordx2 s[22:23], s[4:5], 0x40
	s_ashr_i32 s6, s7, 31
	s_waitcnt lgkmcnt(0)
	s_mul_i32 s4, s7, s13
	s_mul_hi_u32 s5, s7, s12
	s_add_i32 s4, s5, s4
	s_mul_i32 s5, s6, s12
	s_add_i32 s5, s4, s5
	s_mul_i32 s4, s7, s12
	s_lshl_b64 s[4:5], s[4:5], 2
	s_add_u32 s4, s0, s4
	s_addc_u32 s5, s1, s5
	s_lshl_b64 s[0:1], s[2:3], 2
	s_add_u32 s40, s4, s0
	v_and_b32_e32 v2, 0x7f, v0
	s_addc_u32 s41, s5, s1
	v_cmp_gt_i32_e64 s[0:1], s20, v2
	v_lshrrev_b32_e32 v4, 7, v0
	v_lshl_add_u32 v6, v2, 2, 0
	s_and_saveexec_b64 s[24:25], s[0:1]
	s_cbranch_execz .LBB22_15
; %bb.1:
	s_lshl_b32 s42, s33, 1
	s_sub_i32 s10, 0, s42
	s_cmp_lt_i32 s42, 0
	v_lshrrev_b32_e32 v8, 7, v0
	s_cselect_b64 s[4:5], -1, 0
	v_xad_u32 v5, v8, -1, s21
	s_and_b64 s[8:9], s[4:5], exec
	v_lshrrev_b32_e32 v7, 1, v5
	s_cselect_b32 s8, s10, s42
	v_add_u32_e32 v10, 1, v7
	v_cmp_gt_u32_e64 s[26:27], 26, v5
	v_cmp_lt_u32_e64 s[2:3], 25, v5
	v_mul_lo_u32 v5, s8, v7
	v_mul_hi_u32 v7, s8, v7
	v_cmp_ne_u32_e64 s[10:11], 0, v7
	v_and_b32_e32 v7, -2, v10
	v_mul_lo_u32 v1, v8, s33
	v_lshl_or_b32 v11, v7, 1, v8
	v_cmp_gt_i32_e32 vcc, s21, v8
	s_mov_b32 s43, 0
	v_add_u32_e32 v3, v1, v2
	v_or_b32_e32 v9, 2, v8
	s_mov_b32 s44, s33
	s_mov_b32 s45, s20
	;; [unrolled: 1-line block ×3, first 2 shown]
	v_cmp_ne_u32_e64 s[8:9], v10, v7
	v_lshl_add_u32 v10, v2, 2, 0
	s_lshl_b32 s47, s20, 2
	s_lshl_b32 s48, s20, 3
	s_mov_b64 s[28:29], 0
	v_mul_lo_u32 v18, s33, v11
	v_mov_b32_e32 v12, v2
	s_branch .LBB22_3
.LBB22_2:                               ;   in Loop: Header=BB22_3 Depth=1
	s_or_b64 exec, exec, s[30:31]
	v_add_u32_e32 v12, 0x80, v12
	s_add_i32 s43, s43, 1
	v_cmp_le_i32_e64 s[12:13], s20, v12
	s_or_b64 s[28:29], s[12:13], s[28:29]
	v_add_u32_e32 v10, 0x200, v10
	s_andn2_b64 exec, exec, s[28:29]
	s_cbranch_execz .LBB22_15
.LBB22_3:                               ; =>This Loop Header: Depth=1
                                        ;     Child Loop BB22_7 Depth 2
                                        ;     Child Loop BB22_14 Depth 2
	s_and_saveexec_b64 s[30:31], vcc
	s_cbranch_execz .LBB22_2
; %bb.4:                                ;   in Loop: Header=BB22_3 Depth=1
	s_mov_b64 s[12:13], s[26:27]
	v_mov_b32_e32 v13, v8
	v_mov_b32_e32 v16, v1
	s_and_saveexec_b64 s[34:35], s[2:3]
	s_cbranch_execz .LBB22_12
; %bb.5:                                ;   in Loop: Header=BB22_3 Depth=1
	v_lshl_add_u32 v13, s43, 7, v3
	v_sub_u32_e32 v15, v13, v5
	v_add_u32_e32 v14, v13, v5
	v_cmp_gt_i32_e64 s[12:13], v15, v13
	v_cndmask_b32_e64 v15, 0, 1, s[12:13]
	v_cmp_lt_i32_e64 s[12:13], v14, v13
	v_cndmask_b32_e64 v13, 0, 1, s[12:13]
	v_cndmask_b32_e64 v13, v13, v15, s[4:5]
	v_and_b32_e32 v13, 1, v13
	v_cmp_eq_u32_e64 s[12:13], 1, v13
	s_or_b64 s[36:37], s[12:13], s[10:11]
	s_mov_b64 s[12:13], -1
	s_xor_b64 s[38:39], s[36:37], -1
	v_mov_b32_e32 v13, v8
	v_mov_b32_e32 v16, v1
	s_and_saveexec_b64 s[36:37], s[38:39]
	s_cbranch_execz .LBB22_11
; %bb.6:                                ;   in Loop: Header=BB22_3 Depth=1
	v_lshl_add_u32 v16, v12, 2, 0
	v_mov_b32_e32 v13, v12
	s_mov_b64 s[38:39], 0
	v_mov_b32_e32 v17, v7
	v_pk_mov_b32 v[14:15], v[8:9], v[8:9] op_sel:[0,1]
.LBB22_7:                               ;   Parent Loop BB22_3 Depth=1
                                        ; =>  This Inner Loop Header: Depth=2
	v_mad_u64_u32 v[20:21], s[12:13], v14, s33, v[12:13]
	v_mov_b32_e32 v22, v13
	v_ashrrev_i32_e32 v21, 31, v20
	v_mad_u64_u32 v[22:23], s[12:13], v15, s44, v[22:23]
	v_lshlrev_b64 v[20:21], 2, v[20:21]
	v_mov_b32_e32 v19, s41
	v_ashrrev_i32_e32 v23, 31, v22
	v_add_co_u32_e64 v20, s[12:13], s40, v20
	v_addc_co_u32_e64 v21, s[12:13], v19, v21, s[12:13]
	v_lshlrev_b64 v[22:23], 2, v[22:23]
	v_mov_b32_e32 v24, s41
	v_add_co_u32_e64 v22, s[12:13], s40, v22
	v_addc_co_u32_e64 v23, s[12:13], v24, v23, s[12:13]
	global_load_dword v19, v[20:21], off
	s_nop 0
	global_load_dword v20, v[22:23], off
	v_add_u32_e32 v17, -2, v17
	v_mul_lo_u32 v22, v14, s45
	v_cmp_eq_u32_e64 s[12:13], 0, v17
	v_mul_lo_u32 v21, v15, s46
	v_add_u32_e32 v14, 4, v14
	v_lshl_add_u32 v22, v22, 2, v16
	v_add_u32_e32 v15, 4, v15
	s_or_b64 s[38:39], s[12:13], s[38:39]
	v_lshl_add_u32 v21, v21, 2, v16
	s_waitcnt vmcnt(1)
	ds_write_b32 v22, v19
	s_waitcnt vmcnt(0)
	ds_write_b32 v21, v20
	s_andn2_b64 exec, exec, s[38:39]
	s_cbranch_execnz .LBB22_7
; %bb.8:                                ;   in Loop: Header=BB22_3 Depth=1
	s_or_b64 exec, exec, s[38:39]
	s_mov_b64 s[12:13], 0
	s_and_saveexec_b64 s[38:39], s[8:9]
	s_xor_b64 s[38:39], exec, s[38:39]
; %bb.9:                                ;   in Loop: Header=BB22_3 Depth=1
	s_mov_b64 s[12:13], exec
; %bb.10:                               ;   in Loop: Header=BB22_3 Depth=1
	s_or_b64 exec, exec, s[38:39]
	s_orn2_b64 s[12:13], s[12:13], exec
	v_mov_b32_e32 v13, v11
	v_mov_b32_e32 v16, v18
.LBB22_11:                              ;   in Loop: Header=BB22_3 Depth=1
	s_or_b64 exec, exec, s[36:37]
	s_andn2_b64 s[36:37], s[26:27], exec
	s_and_b64 s[12:13], s[12:13], exec
	s_or_b64 s[12:13], s[36:37], s[12:13]
.LBB22_12:                              ;   in Loop: Header=BB22_3 Depth=1
	s_or_b64 exec, exec, s[34:35]
	s_and_b64 exec, exec, s[12:13]
	s_cbranch_execz .LBB22_2
; %bb.13:                               ;   in Loop: Header=BB22_3 Depth=1
	v_mad_u64_u32 v[14:15], s[12:13], s47, v13, v[10:11]
	v_add_u32_e32 v16, v12, v16
	s_mov_b64 s[34:35], 0
.LBB22_14:                              ;   Parent Loop BB22_3 Depth=1
                                        ; =>  This Inner Loop Header: Depth=2
	v_ashrrev_i32_e32 v17, 31, v16
	v_lshlrev_b64 v[20:21], 2, v[16:17]
	v_mov_b32_e32 v15, s41
	v_add_co_u32_e64 v20, s[12:13], s40, v20
	v_addc_co_u32_e64 v21, s[12:13], v15, v21, s[12:13]
	global_load_dword v15, v[20:21], off
	v_add_u32_e32 v13, 2, v13
	v_cmp_le_i32_e64 s[12:13], s21, v13
	v_add_u32_e32 v16, s42, v16
	s_or_b64 s[34:35], s[12:13], s[34:35]
	s_waitcnt vmcnt(0)
	ds_write_b32 v14, v15
	v_add_u32_e32 v14, s48, v14
	s_andn2_b64 exec, exec, s[34:35]
	s_cbranch_execnz .LBB22_14
	s_branch .LBB22_2
.LBB22_15:
	s_or_b64 exec, exec, s[24:25]
	s_min_i32 s24, s21, s20
	s_cmp_lt_i32 s24, 1
	s_waitcnt lgkmcnt(0)
	s_barrier
	s_cbranch_scc1 .LBB22_53
; %bb.16:
	s_mul_i32 s2, s7, s17
	s_mul_hi_u32 s3, s7, s16
	s_add_i32 s2, s3, s2
	s_mul_i32 s3, s6, s16
	s_add_i32 s3, s2, s3
	s_mul_i32 s2, s7, s16
	s_lshl_b64 s[2:3], s[2:3], 2
	s_add_u32 s25, s14, s2
	v_mbcnt_lo_u32_b32 v1, -1, 0
	s_addc_u32 s26, s15, s3
	s_mul_i32 s2, s7, s23
	s_mul_hi_u32 s3, s7, s22
	v_mbcnt_hi_u32_b32 v9, -1, v1
	s_add_i32 s2, s3, s2
	s_mul_i32 s3, s6, s22
	v_and_b32_e32 v10, 63, v9
	s_add_i32 s3, s2, s3
	s_mul_i32 s2, s7, s22
	v_cmp_ne_u32_e32 vcc, 63, v10
	s_lshl_b64 s[2:3], s[2:3], 2
	v_addc_co_u32_e32 v1, vcc, 0, v9, vcc
	s_add_u32 s27, s18, s2
	s_mul_i32 s2, s21, s20
	v_cmp_gt_u32_e32 vcc, 62, v10
	s_addc_u32 s28, s19, s3
	s_lshl_b32 s2, s2, 2
	v_cndmask_b32_e64 v3, 0, 1, vcc
	v_cmp_gt_u32_e32 vcc, 60, v10
	s_add_i32 s29, s2, 0
	s_lshl_b32 s2, s21, 2
	v_cndmask_b32_e64 v5, 0, 1, vcc
	v_cmp_gt_u32_e32 vcc, 56, v10
	s_add_i32 s30, s29, s2
	v_cndmask_b32_e64 v7, 0, 1, vcc
	v_cmp_gt_u32_e32 vcc, 48, v10
	v_cndmask_b32_e64 v8, 0, 1, vcc
	v_cmp_gt_u32_e32 vcc, 32, v10
	s_cmp_eq_u64 s[14:15], 0
	v_cndmask_b32_e64 v10, 0, 1, vcc
	s_cselect_b64 s[12:13], -1, 0
	s_cmp_lg_u64 s[14:15], 0
	v_lshlrev_b32_e32 v3, 1, v3
	v_lshlrev_b32_e32 v5, 2, v5
	;; [unrolled: 1-line block ×5, first 2 shown]
	s_cselect_b64 s[14:15], -1, 0
	s_lshl_b32 s31, s20, 2
	v_mul_lo_u32 v11, s20, v0
	s_mov_b32 s11, 0
	v_add_lshl_u32 v3, v3, v9, 2
	v_add_lshl_u32 v5, v5, v9, 2
	;; [unrolled: 1-line block ×5, first 2 shown]
	v_and_b32_e32 v10, 63, v0
	v_lshrrev_b32_e32 v13, 4, v0
	v_lshlrev_b32_e32 v12, 2, v0
	v_add_u32_e32 v11, s20, v11
	s_add_i32 s6, s31, 0
	v_lshlrev_b32_e32 v1, 2, v1
	v_cmp_eq_u32_e64 s[2:3], 0, v10
	v_cmp_eq_u32_e64 s[4:5], 0, v0
	v_add3_u32 v10, v12, 0, 4
	s_add_i32 s34, s31, 4
	v_lshl_add_u32 v11, v11, 2, 0
	s_lshl_b32 s35, s20, 10
	v_add_u32_e32 v12, s6, v12
	v_add_u32_e32 v13, s30, v13
	v_mov_b32_e32 v14, 0
	s_mov_b32 s36, 0xf800000
	v_mov_b32_e32 v15, 0x260
	s_mov_b32 s37, 0
	s_mov_b32 s10, s11
	s_branch .LBB22_18
.LBB22_17:                              ;   in Loop: Header=BB22_18 Depth=1
	s_or_b64 exec, exec, s[6:7]
	s_add_i32 s10, s10, 1
	s_add_i32 s37, s37, s34
	v_add_u32_e32 v10, s34, v10
	v_add_u32_e32 v11, s34, v11
	s_cmp_eq_u32 s10, s24
	v_add_u32_e32 v12, s34, v12
	s_waitcnt lgkmcnt(0)
	s_barrier
	s_cbranch_scc1 .LBB22_53
.LBB22_18:                              ; =>This Loop Header: Depth=1
                                        ;     Child Loop BB22_20 Depth 2
                                        ;     Child Loop BB22_34 Depth 2
	;; [unrolled: 1-line block ×3, first 2 shown]
                                        ;       Child Loop BB22_41 Depth 3
                                        ;     Child Loop BB22_45 Depth 2
                                        ;       Child Loop BB22_47 Depth 3
	s_sub_i32 s38, s20, s10
	s_add_i32 s42, s38, -1
	v_cmp_gt_i32_e64 s[6:7], s42, v0
	v_mov_b32_e32 v16, 0
	s_and_saveexec_b64 s[8:9], s[6:7]
	s_cbranch_execz .LBB22_22
; %bb.19:                               ;   in Loop: Header=BB22_18 Depth=1
	s_mov_b64 s[16:17], 0
	v_mov_b32_e32 v16, 0
	v_mov_b32_e32 v17, v10
	;; [unrolled: 1-line block ×3, first 2 shown]
.LBB22_20:                              ;   Parent Loop BB22_18 Depth=1
                                        ; =>  This Inner Loop Header: Depth=2
	ds_read_b32 v19, v17
	v_add_u32_e32 v18, 0x100, v18
	v_cmp_le_i32_e32 vcc, s42, v18
	v_add_u32_e32 v17, 0x400, v17
	s_or_b64 s[16:17], vcc, s[16:17]
	s_waitcnt lgkmcnt(0)
	v_mul_f32_e32 v19, v19, v19
	v_add_f32_e32 v16, v16, v19
	s_andn2_b64 exec, exec, s[16:17]
	s_cbranch_execnz .LBB22_20
; %bb.21:                               ;   in Loop: Header=BB22_18 Depth=1
	s_or_b64 exec, exec, s[16:17]
.LBB22_22:                              ;   in Loop: Header=BB22_18 Depth=1
	s_or_b64 exec, exec, s[8:9]
	ds_bpermute_b32 v17, v1, v16
	s_waitcnt lgkmcnt(0)
	v_add_f32_e32 v16, v16, v17
	ds_bpermute_b32 v17, v3, v16
	s_waitcnt lgkmcnt(0)
	v_add_f32_e32 v16, v16, v17
	;; [unrolled: 3-line block ×6, first 2 shown]
	s_and_saveexec_b64 s[8:9], s[2:3]
	s_cbranch_execz .LBB22_24
; %bb.23:                               ;   in Loop: Header=BB22_18 Depth=1
	ds_write_b32 v13, v16 offset:4
.LBB22_24:                              ;   in Loop: Header=BB22_18 Depth=1
	s_or_b64 exec, exec, s[8:9]
	s_lshl_b32 s8, s10, 2
	s_add_i32 s39, s8, 0
	s_mul_i32 s8, s10, s20
	s_lshl_b32 s8, s8, 2
	s_add_i32 s39, s39, s8
	s_waitcnt lgkmcnt(0)
	s_barrier
	s_and_saveexec_b64 s[16:17], s[4:5]
	s_cbranch_execz .LBB22_32
; %bb.25:                               ;   in Loop: Header=BB22_18 Depth=1
	v_mov_b32_e32 v17, s30
	ds_read2_b32 v[18:19], v17 offset0:2 offset1:3
	ds_read_b32 v17, v17 offset:16
	s_mov_b64 s[8:9], 0
	s_mov_b64 s[18:19], 0
                                        ; implicit-def: $sgpr43
                                        ; implicit-def: $sgpr44
                                        ; implicit-def: $sgpr45
	s_waitcnt lgkmcnt(1)
	v_add_f32_e32 v16, v16, v18
	v_add_f32_e32 v16, v16, v19
	s_waitcnt lgkmcnt(0)
	v_add_f32_e32 v18, v16, v17
	v_cmp_nlt_f32_e32 vcc, 0, v18
                                        ; implicit-def: $vgpr16
	s_and_saveexec_b64 s[22:23], vcc
	s_xor_b64 s[22:23], exec, s[22:23]
	s_cbranch_execnz .LBB22_48
; %bb.26:                               ;   in Loop: Header=BB22_18 Depth=1
	s_or_saveexec_b64 s[22:23], s[22:23]
	v_mov_b32_e32 v17, s45
	s_xor_b64 exec, exec, s[22:23]
	s_cbranch_execnz .LBB22_52
.LBB22_27:                              ;   in Loop: Header=BB22_18 Depth=1
	s_or_b64 exec, exec, s[22:23]
	s_and_saveexec_b64 s[22:23], s[18:19]
	s_cbranch_execz .LBB22_29
.LBB22_28:                              ;   in Loop: Header=BB22_18 Depth=1
	s_lshl_b64 s[18:19], s[10:11], 2
	s_add_u32 s18, s25, s18
	s_addc_u32 s19, s26, s19
	s_waitcnt lgkmcnt(0)
	global_store_dword v14, v16, s[18:19]
	v_mov_b32_e32 v16, 1.0
	s_or_b64 s[8:9], s[8:9], exec
.LBB22_29:                              ;   in Loop: Header=BB22_18 Depth=1
	s_or_b64 exec, exec, s[22:23]
	v_mov_b32_e32 v18, s44
	v_mov_b32_e32 v19, s43
	s_and_saveexec_b64 s[18:19], s[8:9]
	s_cbranch_execz .LBB22_31
; %bb.30:                               ;   in Loop: Header=BB22_18 Depth=1
	v_mov_b32_e32 v18, s39
	s_waitcnt lgkmcnt(0)
	ds_write_b32 v18, v16
	v_mov_b32_e32 v16, s30
	ds_read_b32 v18, v16
	v_mov_b32_e32 v19, v17
.LBB22_31:                              ;   in Loop: Header=BB22_18 Depth=1
	s_or_b64 exec, exec, s[18:19]
	s_lshl_b64 s[8:9], s[10:11], 2
	s_add_u32 s8, s27, s8
	s_addc_u32 s9, s28, s9
	s_waitcnt lgkmcnt(0)
	v_mov_b32_e32 v16, s30
	global_store_dword v14, v18, s[8:9]
	ds_write_b32 v16, v19 offset:4
.LBB22_32:                              ;   in Loop: Header=BB22_18 Depth=1
	s_or_b64 exec, exec, s[16:17]
	s_waitcnt lgkmcnt(0)
	s_barrier
	s_and_saveexec_b64 s[8:9], s[6:7]
	s_cbranch_execz .LBB22_35
; %bb.33:                               ;   in Loop: Header=BB22_18 Depth=1
	s_mov_b32 s16, 0
	s_mov_b64 s[6:7], 0
	v_mov_b32_e32 v16, v0
.LBB22_34:                              ;   Parent Loop BB22_18 Depth=1
                                        ; =>  This Inner Loop Header: Depth=2
	v_mov_b32_e32 v17, s30
	v_add_u32_e32 v18, s16, v10
	ds_read_b32 v17, v17 offset:4
	ds_read_b32 v19, v18
	v_add_u32_e32 v16, 0x100, v16
	s_addk_i32 s16, 0x400
	v_cmp_le_i32_e32 vcc, s42, v16
	s_or_b64 s[6:7], vcc, s[6:7]
	s_waitcnt lgkmcnt(0)
	v_mul_f32_e32 v17, v17, v19
	ds_write_b32 v18, v17
	s_andn2_b64 exec, exec, s[6:7]
	s_cbranch_execnz .LBB22_34
.LBB22_35:                              ;   in Loop: Header=BB22_18 Depth=1
	s_or_b64 exec, exec, s[8:9]
	s_not_b32 s18, s10
	s_add_i32 s18, s18, s21
	v_cmp_gt_i32_e32 vcc, s18, v0
	s_waitcnt lgkmcnt(0)
	s_barrier
	s_and_saveexec_b64 s[6:7], vcc
	s_cbranch_execz .LBB22_42
; %bb.36:                               ;   in Loop: Header=BB22_18 Depth=1
	s_cmp_gt_i32 s38, 0
	s_mov_b64 s[8:9], 0
	s_cselect_b64 s[16:17], -1, 0
	v_mov_b32_e32 v16, v11
	v_mov_b32_e32 v17, v0
	s_branch .LBB22_39
.LBB22_37:                              ;   in Loop: Header=BB22_39 Depth=2
	v_mov_b32_e32 v18, 0
.LBB22_38:                              ;   in Loop: Header=BB22_39 Depth=2
	v_mov_b32_e32 v19, s30
	ds_read_b32 v19, v19
	v_lshl_add_u32 v20, v17, 2, s29
	v_add_u32_e32 v17, 0x100, v17
	v_cmp_le_i32_e32 vcc, s18, v17
	s_or_b64 s[8:9], vcc, s[8:9]
	s_waitcnt lgkmcnt(0)
	v_mul_f32_e32 v18, v18, v19
	v_add_u32_e32 v16, s35, v16
	ds_write_b32 v20, v18
	s_andn2_b64 exec, exec, s[8:9]
	s_cbranch_execz .LBB22_42
.LBB22_39:                              ;   Parent Loop BB22_18 Depth=1
                                        ; =>  This Loop Header: Depth=2
                                        ;       Child Loop BB22_41 Depth 3
	s_andn2_b64 vcc, exec, s[16:17]
	s_cbranch_vccnz .LBB22_37
; %bb.40:                               ;   in Loop: Header=BB22_39 Depth=2
	s_mov_b32 s19, 0
	v_mov_b32_e32 v18, 0
	s_mov_b32 s22, s37
	v_mov_b32_e32 v19, v16
.LBB22_41:                              ;   Parent Loop BB22_18 Depth=1
                                        ;     Parent Loop BB22_39 Depth=2
                                        ; =>    This Inner Loop Header: Depth=3
	v_mov_b32_e32 v21, s22
	ds_read_b32 v20, v19
	ds_read_b32 v21, v21
	s_add_i32 s19, s19, 1
	s_add_i32 s22, s22, 4
	v_add_u32_e32 v19, 4, v19
	s_cmp_ge_i32 s19, s38
	s_waitcnt lgkmcnt(0)
	v_fmac_f32_e32 v18, v20, v21
	s_cbranch_scc0 .LBB22_41
	s_branch .LBB22_38
.LBB22_42:                              ;   in Loop: Header=BB22_18 Depth=1
	s_or_b64 exec, exec, s[6:7]
	v_cmp_gt_i32_e32 vcc, s38, v0
	s_waitcnt lgkmcnt(0)
	s_barrier
	s_and_saveexec_b64 s[6:7], vcc
	s_cbranch_execz .LBB22_17
; %bb.43:                               ;   in Loop: Header=BB22_18 Depth=1
	s_cmp_gt_i32 s18, 0
	s_mov_b64 s[8:9], 0
	s_cselect_b64 s[16:17], -1, 0
	v_mov_b32_e32 v16, v12
	v_mov_b32_e32 v17, v0
	s_branch .LBB22_45
.LBB22_44:                              ;   in Loop: Header=BB22_45 Depth=2
	v_add_u32_e32 v17, 0x100, v17
	v_cmp_le_i32_e32 vcc, s38, v17
	s_or_b64 s[8:9], vcc, s[8:9]
	v_add_u32_e32 v16, 0x400, v16
	s_andn2_b64 exec, exec, s[8:9]
	s_cbranch_execz .LBB22_17
.LBB22_45:                              ;   Parent Loop BB22_18 Depth=1
                                        ; =>  This Loop Header: Depth=2
                                        ;       Child Loop BB22_47 Depth 3
	s_andn2_b64 vcc, exec, s[16:17]
	s_cbranch_vccnz .LBB22_44
; %bb.46:                               ;   in Loop: Header=BB22_45 Depth=2
	v_lshl_add_u32 v18, v17, 2, s39
	s_mov_b32 s19, 0
	s_mov_b32 s22, s29
	v_mov_b32_e32 v19, v16
.LBB22_47:                              ;   Parent Loop BB22_18 Depth=1
                                        ;     Parent Loop BB22_45 Depth=2
                                        ; =>    This Inner Loop Header: Depth=3
	v_mov_b32_e32 v22, s22
	ds_read_b32 v20, v19
	ds_read_b32 v21, v18
	;; [unrolled: 1-line block ×3, first 2 shown]
	s_add_i32 s19, s19, 1
	s_add_i32 s22, s22, 4
	s_cmp_ge_i32 s19, s18
	s_waitcnt lgkmcnt(0)
	v_fma_f32 v20, -v21, v22, v20
	ds_write_b32 v19, v20
	v_add_u32_e32 v19, s31, v19
	s_cbranch_scc0 .LBB22_47
	s_branch .LBB22_44
.LBB22_48:                              ;   in Loop: Header=BB22_18 Depth=1
	v_mov_b32_e32 v16, s30
	s_and_b64 vcc, exec, s[14:15]
	ds_write_b32 v16, v14
	s_cbranch_vccz .LBB22_50
; %bb.49:                               ;   in Loop: Header=BB22_18 Depth=1
	v_mov_b32_e32 v16, s39
	ds_read_b32 v16, v16
	s_mov_b64 s[18:19], -1
	s_mov_b32 s45, 1.0
	s_branch .LBB22_51
.LBB22_50:                              ;   in Loop: Header=BB22_18 Depth=1
                                        ; implicit-def: $vgpr16
                                        ; implicit-def: $sgpr45
.LBB22_51:                              ;   in Loop: Header=BB22_18 Depth=1
	s_mov_b32 s44, 0
	s_mov_b32 s43, 1.0
	s_and_b64 s[18:19], s[18:19], exec
                                        ; implicit-def: $vgpr18
	s_or_saveexec_b64 s[22:23], s[22:23]
	v_mov_b32_e32 v17, s45
	s_xor_b64 exec, exec, s[22:23]
	s_cbranch_execz .LBB22_27
.LBB22_52:                              ;   in Loop: Header=BB22_18 Depth=1
	s_waitcnt lgkmcnt(0)
	v_mov_b32_e32 v16, s39
	ds_read_b32 v17, v16
	s_andn2_b64 s[18:19], s[18:19], exec
	s_and_b64 s[46:47], s[14:15], exec
	s_or_b64 s[18:19], s[18:19], s[46:47]
	s_waitcnt lgkmcnt(0)
	v_fmac_f32_e32 v18, v17, v17
	v_mul_f32_e32 v16, 0x4f800000, v18
	v_cmp_gt_f32_e32 vcc, s36, v18
	v_cndmask_b32_e32 v16, v18, v16, vcc
	v_sqrt_f32_e32 v18, v16
	v_add_u32_e32 v19, -1, v18
	v_add_u32_e32 v20, 1, v18
	v_fma_f32 v21, -v19, v18, v16
	v_fma_f32 v22, -v20, v18, v16
	v_cmp_ge_f32_e64 s[8:9], 0, v21
	v_cndmask_b32_e64 v18, v18, v19, s[8:9]
	v_cmp_lt_f32_e64 s[8:9], 0, v22
	v_cndmask_b32_e64 v18, v18, v20, s[8:9]
	v_mul_f32_e32 v19, 0x37800000, v18
	v_cndmask_b32_e32 v18, v18, v19, vcc
	v_cmp_class_f32_e32 vcc, v16, v15
	v_cndmask_b32_e32 v16, v18, v16, vcc
	v_cmp_le_f32_e32 vcc, 0, v17
	v_cndmask_b32_e64 v16, v16, -v16, vcc
	v_sub_f32_e32 v18, v17, v16
	v_div_scale_f32 v19, s[8:9], v18, v18, 1.0
	v_rcp_f32_e32 v20, v19
	v_div_scale_f32 v21, vcc, 1.0, v18, 1.0
	v_fma_f32 v22, -v19, v20, 1.0
	v_fmac_f32_e32 v20, v22, v20
	v_mul_f32_e32 v22, v21, v20
	v_fma_f32 v23, -v19, v22, v21
	v_fmac_f32_e32 v22, v23, v20
	v_fma_f32 v19, -v19, v22, v21
	v_sub_f32_e32 v21, v16, v17
	v_div_scale_f32 v23, s[8:9], v16, v16, v21
	v_rcp_f32_e32 v24, v23
	v_div_fmas_f32 v17, v19, v20, v22
	v_div_fixup_f32 v17, v17, v18, 1.0
	s_and_b64 s[8:9], s[12:13], exec
	v_fma_f32 v18, -v23, v24, 1.0
	v_fmac_f32_e32 v24, v18, v24
	v_div_scale_f32 v18, vcc, v21, v16, v21
	v_mul_f32_e32 v19, v18, v24
	v_fma_f32 v20, -v23, v19, v18
	v_fmac_f32_e32 v19, v20, v24
	v_fma_f32 v18, -v23, v19, v18
	v_div_fmas_f32 v18, v18, v24, v19
	v_div_fixup_f32 v18, v18, v16, v21
	v_mov_b32_e32 v19, s30
	ds_write_b32 v19, v18
	s_or_b64 exec, exec, s[22:23]
	s_and_saveexec_b64 s[22:23], s[18:19]
	s_cbranch_execnz .LBB22_28
	s_branch .LBB22_29
.LBB22_53:
	s_and_saveexec_b64 s[2:3], s[0:1]
	s_cbranch_execz .LBB22_68
; %bb.54:
	s_lshl_b32 s24, s33, 1
	s_sub_i32 s6, 0, s24
	v_xad_u32 v0, v4, -1, s21
	s_cmp_lt_i32 s24, 0
	v_lshrrev_b32_e32 v1, 1, v0
	s_cselect_b64 s[2:3], -1, 0
	v_add_u32_e32 v3, 1, v1
	s_and_b64 s[4:5], s[2:3], exec
	s_cselect_b32 s4, s6, s24
	v_and_b32_e32 v12, -2, v3
	v_mul_lo_u32 v7, v4, s33
	v_cmp_gt_u32_e64 s[12:13], 26, v0
	v_cmp_lt_u32_e64 s[0:1], 25, v0
	v_mul_hi_u32 v0, s4, v1
	v_lshl_or_b32 v13, v12, 1, v4
	v_cmp_gt_i32_e32 vcc, s21, v4
	s_mov_b32 s25, 0
	v_add_u32_e32 v10, v7, v2
	v_mul_lo_u32 v11, s4, v1
	v_cmp_ne_u32_e64 s[4:5], 0, v0
	v_or_b32_e32 v5, 2, v4
	s_mov_b32 s26, s20
	s_mov_b32 s27, s20
	s_mov_b32 s28, s33
	v_cmp_ne_u32_e64 s[6:7], v3, v12
	s_lshl_b32 s29, s20, 2
	s_lshl_b32 s30, s20, 3
	s_mov_b64 s[14:15], 0
	v_mul_lo_u32 v14, s33, v13
	s_branch .LBB22_56
.LBB22_55:                              ;   in Loop: Header=BB22_56 Depth=1
	s_or_b64 exec, exec, s[16:17]
	v_add_u32_e32 v2, 0x80, v2
	s_add_i32 s25, s25, 1
	v_cmp_le_i32_e64 s[8:9], s20, v2
	s_or_b64 s[14:15], s[8:9], s[14:15]
	v_add_u32_e32 v6, 0x200, v6
	s_andn2_b64 exec, exec, s[14:15]
	s_cbranch_execz .LBB22_68
.LBB22_56:                              ; =>This Loop Header: Depth=1
                                        ;     Child Loop BB22_60 Depth 2
                                        ;     Child Loop BB22_67 Depth 2
	s_and_saveexec_b64 s[16:17], vcc
	s_cbranch_execz .LBB22_55
; %bb.57:                               ;   in Loop: Header=BB22_56 Depth=1
	s_mov_b64 s[8:9], s[12:13]
	v_mov_b32_e32 v3, v4
	v_mov_b32_e32 v0, v7
	s_and_saveexec_b64 s[10:11], s[0:1]
	s_cbranch_execz .LBB22_65
; %bb.58:                               ;   in Loop: Header=BB22_56 Depth=1
	v_lshl_add_u32 v0, s25, 7, v10
	v_sub_u32_e32 v3, v0, v11
	v_add_u32_e32 v1, v0, v11
	v_cmp_gt_i32_e64 s[8:9], v3, v0
	v_cndmask_b32_e64 v3, 0, 1, s[8:9]
	v_cmp_lt_i32_e64 s[8:9], v1, v0
	v_cndmask_b32_e64 v0, 0, 1, s[8:9]
	v_cndmask_b32_e64 v0, v0, v3, s[2:3]
	v_and_b32_e32 v0, 1, v0
	v_cmp_eq_u32_e64 s[8:9], 1, v0
	s_or_b64 s[18:19], s[8:9], s[4:5]
	s_mov_b64 s[8:9], -1
	s_xor_b64 s[22:23], s[18:19], -1
	v_mov_b32_e32 v3, v4
	v_mov_b32_e32 v0, v7
	s_and_saveexec_b64 s[18:19], s[22:23]
	s_cbranch_execz .LBB22_64
; %bb.59:                               ;   in Loop: Header=BB22_56 Depth=1
	v_lshl_add_u32 v8, v2, 2, 0
	v_mov_b32_e32 v3, v2
	s_mov_b64 s[22:23], 0
	v_mov_b32_e32 v9, v12
	v_pk_mov_b32 v[0:1], v[4:5], v[4:5] op_sel:[0,1]
.LBB22_60:                              ;   Parent Loop BB22_56 Depth=1
                                        ; =>  This Inner Loop Header: Depth=2
	v_mul_lo_u32 v15, v1, s27
	v_mul_lo_u32 v19, v0, s26
	v_mad_u64_u32 v[16:17], s[8:9], v0, s33, v[2:3]
	v_mov_b32_e32 v18, v3
	v_lshl_add_u32 v22, v19, 2, v8
	v_lshl_add_u32 v15, v15, 2, v8
	v_add_u32_e32 v9, -2, v9
	v_mad_u64_u32 v[18:19], s[8:9], v1, s28, v[18:19]
	v_ashrrev_i32_e32 v17, 31, v16
	ds_read_b32 v22, v22
	ds_read_b32 v15, v15
	v_cmp_eq_u32_e64 s[8:9], 0, v9
	v_lshlrev_b64 v[16:17], 2, v[16:17]
	v_mov_b32_e32 v20, s41
	v_ashrrev_i32_e32 v19, 31, v18
	s_or_b64 s[22:23], s[8:9], s[22:23]
	v_add_co_u32_e64 v16, s[8:9], s40, v16
	v_addc_co_u32_e64 v17, s[8:9], v20, v17, s[8:9]
	v_lshlrev_b64 v[18:19], 2, v[18:19]
	v_mov_b32_e32 v21, s41
	v_add_u32_e32 v0, 4, v0
	v_add_u32_e32 v1, 4, v1
	v_add_co_u32_e64 v18, s[8:9], s40, v18
	v_addc_co_u32_e64 v19, s[8:9], v21, v19, s[8:9]
	s_waitcnt lgkmcnt(1)
	global_store_dword v[16:17], v22, off
	s_waitcnt lgkmcnt(0)
	global_store_dword v[18:19], v15, off
	s_andn2_b64 exec, exec, s[22:23]
	s_cbranch_execnz .LBB22_60
; %bb.61:                               ;   in Loop: Header=BB22_56 Depth=1
	s_or_b64 exec, exec, s[22:23]
	s_mov_b64 s[8:9], 0
	s_and_saveexec_b64 s[22:23], s[6:7]
	s_xor_b64 s[22:23], exec, s[22:23]
; %bb.62:                               ;   in Loop: Header=BB22_56 Depth=1
	s_mov_b64 s[8:9], exec
; %bb.63:                               ;   in Loop: Header=BB22_56 Depth=1
	s_or_b64 exec, exec, s[22:23]
	s_orn2_b64 s[8:9], s[8:9], exec
	v_mov_b32_e32 v3, v13
	v_mov_b32_e32 v0, v14
.LBB22_64:                              ;   in Loop: Header=BB22_56 Depth=1
	s_or_b64 exec, exec, s[18:19]
	s_andn2_b64 s[18:19], s[12:13], exec
	s_and_b64 s[8:9], s[8:9], exec
	s_or_b64 s[8:9], s[18:19], s[8:9]
.LBB22_65:                              ;   in Loop: Header=BB22_56 Depth=1
	s_or_b64 exec, exec, s[10:11]
	s_and_b64 exec, exec, s[8:9]
	s_cbranch_execz .LBB22_55
; %bb.66:                               ;   in Loop: Header=BB22_56 Depth=1
	v_add_u32_e32 v0, v2, v0
	v_mad_u64_u32 v[8:9], s[8:9], s29, v3, v[6:7]
	s_mov_b64 s[18:19], 0
.LBB22_67:                              ;   Parent Loop BB22_56 Depth=1
                                        ; =>  This Inner Loop Header: Depth=2
	ds_read_b32 v9, v8
	v_ashrrev_i32_e32 v1, 31, v0
	v_add_u32_e32 v3, 2, v3
	v_lshlrev_b64 v[16:17], 2, v[0:1]
	v_mov_b32_e32 v15, s41
	v_cmp_le_i32_e64 s[8:9], s21, v3
	v_add_co_u32_e64 v16, s[10:11], s40, v16
	v_add_u32_e32 v8, s30, v8
	v_add_u32_e32 v0, s24, v0
	v_addc_co_u32_e64 v17, s[10:11], v15, v17, s[10:11]
	s_or_b64 s[18:19], s[8:9], s[18:19]
	s_waitcnt lgkmcnt(0)
	global_store_dword v[16:17], v9, off
	s_andn2_b64 exec, exec, s[18:19]
	s_cbranch_execnz .LBB22_67
	s_branch .LBB22_55
.LBB22_68:
	s_endpgm
	.section	.rodata,"a",@progbits
	.p2align	6, 0x0
	.amdhsa_kernel _ZN9rocsolver6v33100L18geqr2_kernel_smallILi256EfifPfEEvT1_S3_T3_lS3_lPT2_lPT0_l
		.amdhsa_group_segment_fixed_size 0
		.amdhsa_private_segment_fixed_size 0
		.amdhsa_kernarg_size 72
		.amdhsa_user_sgpr_count 6
		.amdhsa_user_sgpr_private_segment_buffer 1
		.amdhsa_user_sgpr_dispatch_ptr 0
		.amdhsa_user_sgpr_queue_ptr 0
		.amdhsa_user_sgpr_kernarg_segment_ptr 1
		.amdhsa_user_sgpr_dispatch_id 0
		.amdhsa_user_sgpr_flat_scratch_init 0
		.amdhsa_user_sgpr_kernarg_preload_length 0
		.amdhsa_user_sgpr_kernarg_preload_offset 0
		.amdhsa_user_sgpr_private_segment_size 0
		.amdhsa_uses_dynamic_stack 0
		.amdhsa_system_sgpr_private_segment_wavefront_offset 0
		.amdhsa_system_sgpr_workgroup_id_x 1
		.amdhsa_system_sgpr_workgroup_id_y 0
		.amdhsa_system_sgpr_workgroup_id_z 1
		.amdhsa_system_sgpr_workgroup_info 0
		.amdhsa_system_vgpr_workitem_id 0
		.amdhsa_next_free_vgpr 25
		.amdhsa_next_free_sgpr 49
		.amdhsa_accum_offset 28
		.amdhsa_reserve_vcc 1
		.amdhsa_reserve_flat_scratch 0
		.amdhsa_float_round_mode_32 0
		.amdhsa_float_round_mode_16_64 0
		.amdhsa_float_denorm_mode_32 3
		.amdhsa_float_denorm_mode_16_64 3
		.amdhsa_dx10_clamp 1
		.amdhsa_ieee_mode 1
		.amdhsa_fp16_overflow 0
		.amdhsa_tg_split 0
		.amdhsa_exception_fp_ieee_invalid_op 0
		.amdhsa_exception_fp_denorm_src 0
		.amdhsa_exception_fp_ieee_div_zero 0
		.amdhsa_exception_fp_ieee_overflow 0
		.amdhsa_exception_fp_ieee_underflow 0
		.amdhsa_exception_fp_ieee_inexact 0
		.amdhsa_exception_int_div_zero 0
	.end_amdhsa_kernel
	.section	.text._ZN9rocsolver6v33100L18geqr2_kernel_smallILi256EfifPfEEvT1_S3_T3_lS3_lPT2_lPT0_l,"axG",@progbits,_ZN9rocsolver6v33100L18geqr2_kernel_smallILi256EfifPfEEvT1_S3_T3_lS3_lPT2_lPT0_l,comdat
.Lfunc_end22:
	.size	_ZN9rocsolver6v33100L18geqr2_kernel_smallILi256EfifPfEEvT1_S3_T3_lS3_lPT2_lPT0_l, .Lfunc_end22-_ZN9rocsolver6v33100L18geqr2_kernel_smallILi256EfifPfEEvT1_S3_T3_lS3_lPT2_lPT0_l
                                        ; -- End function
	.section	.AMDGPU.csdata,"",@progbits
; Kernel info:
; codeLenInByte = 3380
; NumSgprs: 53
; NumVgprs: 25
; NumAgprs: 0
; TotalNumVgprs: 25
; ScratchSize: 0
; MemoryBound: 0
; FloatMode: 240
; IeeeMode: 1
; LDSByteSize: 0 bytes/workgroup (compile time only)
; SGPRBlocks: 6
; VGPRBlocks: 3
; NumSGPRsForWavesPerEU: 53
; NumVGPRsForWavesPerEU: 25
; AccumOffset: 28
; Occupancy: 8
; WaveLimiterHint : 0
; COMPUTE_PGM_RSRC2:SCRATCH_EN: 0
; COMPUTE_PGM_RSRC2:USER_SGPR: 6
; COMPUTE_PGM_RSRC2:TRAP_HANDLER: 0
; COMPUTE_PGM_RSRC2:TGID_X_EN: 1
; COMPUTE_PGM_RSRC2:TGID_Y_EN: 0
; COMPUTE_PGM_RSRC2:TGID_Z_EN: 1
; COMPUTE_PGM_RSRC2:TIDIG_COMP_CNT: 0
; COMPUTE_PGM_RSRC3_GFX90A:ACCUM_OFFSET: 6
; COMPUTE_PGM_RSRC3_GFX90A:TG_SPLIT: 0
	.section	.text._ZN9rocsolver6v33100L16reset_batch_infoIfiiPfEEvT2_lT0_T1_,"axG",@progbits,_ZN9rocsolver6v33100L16reset_batch_infoIfiiPfEEvT2_lT0_T1_,comdat
	.globl	_ZN9rocsolver6v33100L16reset_batch_infoIfiiPfEEvT2_lT0_T1_ ; -- Begin function _ZN9rocsolver6v33100L16reset_batch_infoIfiiPfEEvT2_lT0_T1_
	.p2align	8
	.type	_ZN9rocsolver6v33100L16reset_batch_infoIfiiPfEEvT2_lT0_T1_,@function
_ZN9rocsolver6v33100L16reset_batch_infoIfiiPfEEvT2_lT0_T1_: ; @_ZN9rocsolver6v33100L16reset_batch_infoIfiiPfEEvT2_lT0_T1_
; %bb.0:
	s_load_dword s2, s[4:5], 0x24
	s_load_dwordx2 s[0:1], s[4:5], 0x10
	s_waitcnt lgkmcnt(0)
	s_and_b32 s2, s2, 0xffff
	s_mul_i32 s6, s6, s2
	v_add_u32_e32 v0, s6, v0
	v_cmp_gt_i32_e32 vcc, s0, v0
	s_and_saveexec_b64 s[2:3], vcc
	s_cbranch_execz .LBB23_2
; %bb.1:
	s_load_dwordx4 s[8:11], s[4:5], 0x0
	s_ashr_i32 s0, s7, 31
	v_ashrrev_i32_e32 v1, 31, v0
	v_cvt_f32_i32_e32 v3, s1
	v_lshlrev_b64 v[0:1], 2, v[0:1]
	s_waitcnt lgkmcnt(0)
	s_mul_i32 s3, s7, s11
	s_mul_hi_u32 s4, s7, s10
	s_mul_i32 s0, s0, s10
	s_add_i32 s3, s4, s3
	s_mul_i32 s2, s7, s10
	s_add_i32 s3, s3, s0
	s_lshl_b64 s[2:3], s[2:3], 2
	s_add_u32 s0, s8, s2
	s_addc_u32 s2, s9, s3
	v_mov_b32_e32 v2, s2
	v_add_co_u32_e32 v0, vcc, s0, v0
	v_addc_co_u32_e32 v1, vcc, v2, v1, vcc
	global_store_dword v[0:1], v3, off
.LBB23_2:
	s_endpgm
	.section	.rodata,"a",@progbits
	.p2align	6, 0x0
	.amdhsa_kernel _ZN9rocsolver6v33100L16reset_batch_infoIfiiPfEEvT2_lT0_T1_
		.amdhsa_group_segment_fixed_size 0
		.amdhsa_private_segment_fixed_size 0
		.amdhsa_kernarg_size 280
		.amdhsa_user_sgpr_count 6
		.amdhsa_user_sgpr_private_segment_buffer 1
		.amdhsa_user_sgpr_dispatch_ptr 0
		.amdhsa_user_sgpr_queue_ptr 0
		.amdhsa_user_sgpr_kernarg_segment_ptr 1
		.amdhsa_user_sgpr_dispatch_id 0
		.amdhsa_user_sgpr_flat_scratch_init 0
		.amdhsa_user_sgpr_kernarg_preload_length 0
		.amdhsa_user_sgpr_kernarg_preload_offset 0
		.amdhsa_user_sgpr_private_segment_size 0
		.amdhsa_uses_dynamic_stack 0
		.amdhsa_system_sgpr_private_segment_wavefront_offset 0
		.amdhsa_system_sgpr_workgroup_id_x 1
		.amdhsa_system_sgpr_workgroup_id_y 1
		.amdhsa_system_sgpr_workgroup_id_z 0
		.amdhsa_system_sgpr_workgroup_info 0
		.amdhsa_system_vgpr_workitem_id 0
		.amdhsa_next_free_vgpr 4
		.amdhsa_next_free_sgpr 12
		.amdhsa_accum_offset 4
		.amdhsa_reserve_vcc 1
		.amdhsa_reserve_flat_scratch 0
		.amdhsa_float_round_mode_32 0
		.amdhsa_float_round_mode_16_64 0
		.amdhsa_float_denorm_mode_32 3
		.amdhsa_float_denorm_mode_16_64 3
		.amdhsa_dx10_clamp 1
		.amdhsa_ieee_mode 1
		.amdhsa_fp16_overflow 0
		.amdhsa_tg_split 0
		.amdhsa_exception_fp_ieee_invalid_op 0
		.amdhsa_exception_fp_denorm_src 0
		.amdhsa_exception_fp_ieee_div_zero 0
		.amdhsa_exception_fp_ieee_overflow 0
		.amdhsa_exception_fp_ieee_underflow 0
		.amdhsa_exception_fp_ieee_inexact 0
		.amdhsa_exception_int_div_zero 0
	.end_amdhsa_kernel
	.section	.text._ZN9rocsolver6v33100L16reset_batch_infoIfiiPfEEvT2_lT0_T1_,"axG",@progbits,_ZN9rocsolver6v33100L16reset_batch_infoIfiiPfEEvT2_lT0_T1_,comdat
.Lfunc_end23:
	.size	_ZN9rocsolver6v33100L16reset_batch_infoIfiiPfEEvT2_lT0_T1_, .Lfunc_end23-_ZN9rocsolver6v33100L16reset_batch_infoIfiiPfEEvT2_lT0_T1_
                                        ; -- End function
	.section	.AMDGPU.csdata,"",@progbits
; Kernel info:
; codeLenInByte = 140
; NumSgprs: 16
; NumVgprs: 4
; NumAgprs: 0
; TotalNumVgprs: 4
; ScratchSize: 0
; MemoryBound: 0
; FloatMode: 240
; IeeeMode: 1
; LDSByteSize: 0 bytes/workgroup (compile time only)
; SGPRBlocks: 1
; VGPRBlocks: 0
; NumSGPRsForWavesPerEU: 16
; NumVGPRsForWavesPerEU: 4
; AccumOffset: 4
; Occupancy: 8
; WaveLimiterHint : 0
; COMPUTE_PGM_RSRC2:SCRATCH_EN: 0
; COMPUTE_PGM_RSRC2:USER_SGPR: 6
; COMPUTE_PGM_RSRC2:TRAP_HANDLER: 0
; COMPUTE_PGM_RSRC2:TGID_X_EN: 1
; COMPUTE_PGM_RSRC2:TGID_Y_EN: 1
; COMPUTE_PGM_RSRC2:TGID_Z_EN: 0
; COMPUTE_PGM_RSRC2:TIDIG_COMP_CNT: 0
; COMPUTE_PGM_RSRC3_GFX90A:ACCUM_OFFSET: 0
; COMPUTE_PGM_RSRC3_GFX90A:TG_SPLIT: 0
	.section	.text._ZN9rocsolver6v33100L8set_diagIfifPfTnNSt9enable_ifIXoont18rocblas_is_complexIT_E18rocblas_is_complexIT1_EEiE4typeELi0EEEvPS5_llT2_lT0_lSA_b,"axG",@progbits,_ZN9rocsolver6v33100L8set_diagIfifPfTnNSt9enable_ifIXoont18rocblas_is_complexIT_E18rocblas_is_complexIT1_EEiE4typeELi0EEEvPS5_llT2_lT0_lSA_b,comdat
	.globl	_ZN9rocsolver6v33100L8set_diagIfifPfTnNSt9enable_ifIXoont18rocblas_is_complexIT_E18rocblas_is_complexIT1_EEiE4typeELi0EEEvPS5_llT2_lT0_lSA_b ; -- Begin function _ZN9rocsolver6v33100L8set_diagIfifPfTnNSt9enable_ifIXoont18rocblas_is_complexIT_E18rocblas_is_complexIT1_EEiE4typeELi0EEEvPS5_llT2_lT0_lSA_b
	.p2align	8
	.type	_ZN9rocsolver6v33100L8set_diagIfifPfTnNSt9enable_ifIXoont18rocblas_is_complexIT_E18rocblas_is_complexIT1_EEiE4typeELi0EEEvPS5_llT2_lT0_lSA_b,@function
_ZN9rocsolver6v33100L8set_diagIfifPfTnNSt9enable_ifIXoont18rocblas_is_complexIT_E18rocblas_is_complexIT1_EEiE4typeELi0EEEvPS5_llT2_lT0_lSA_b: ; @_ZN9rocsolver6v33100L8set_diagIfifPfTnNSt9enable_ifIXoont18rocblas_is_complexIT_E18rocblas_is_complexIT1_EEiE4typeELi0EEEvPS5_llT2_lT0_lSA_b
; %bb.0:
	s_load_dword s2, s[4:5], 0x4c
	s_load_dwordx2 s[0:1], s[4:5], 0x38
	v_bfe_u32 v0, v0, 10, 10
	s_waitcnt lgkmcnt(0)
	s_lshr_b32 s2, s2, 16
	s_mul_i32 s7, s7, s2
	v_add_u32_e32 v0, s7, v0
	v_cmp_gt_i32_e32 vcc, s0, v0
	s_and_saveexec_b64 s[2:3], vcc
	s_cbranch_execz .LBB24_2
; %bb.1:
	s_load_dwordx2 s[2:3], s[4:5], 0x20
	s_load_dword s7, s[4:5], 0x28
	s_load_dwordx2 s[16:17], s[4:5], 0x30
	s_load_dwordx8 s[8:15], s[4:5], 0x0
	s_bitcmp1_b32 s1, 0
	s_cselect_b64 s[0:1], -1, 0
	s_ashr_i32 s18, s6, 31
	s_waitcnt lgkmcnt(0)
	s_mul_i32 s4, s6, s17
	s_mul_hi_u32 s5, s6, s16
	s_add_i32 s4, s5, s4
	s_mul_i32 s5, s18, s16
	s_add_i32 s5, s4, s5
	s_mul_i32 s4, s6, s16
	s_lshl_b64 s[4:5], s[4:5], 2
	s_add_u32 s4, s14, s4
	s_addc_u32 s5, s15, s5
	s_lshl_b64 s[2:3], s[2:3], 2
	s_add_u32 s4, s4, s2
	s_addc_u32 s5, s5, s3
	v_mad_u64_u32 v[2:3], s[2:3], v0, s7, v[0:1]
	v_ashrrev_i32_e32 v3, 31, v2
	v_lshlrev_b64 v[2:3], 2, v[2:3]
	v_mov_b32_e32 v1, s5
	v_add_co_u32_e32 v2, vcc, s4, v2
	v_addc_co_u32_e32 v3, vcc, v1, v3, vcc
	global_load_dword v4, v[2:3], off
	s_mul_i32 s3, s6, s13
	s_mul_hi_u32 s4, s6, s12
	s_mul_i32 s18, s18, s12
	s_add_i32 s3, s4, s3
	s_mul_i32 s2, s6, s12
	s_add_i32 s3, s3, s18
	s_lshl_b64 s[2:3], s[2:3], 2
	s_add_u32 s4, s8, s2
	s_addc_u32 s5, s9, s3
	s_lshl_b64 s[2:3], s[10:11], 2
	v_ashrrev_i32_e32 v1, 31, v0
	s_add_u32 s2, s4, s2
	v_lshlrev_b64 v[0:1], 2, v[0:1]
	s_addc_u32 s3, s5, s3
	v_mov_b32_e32 v5, s3
	v_add_co_u32_e32 v0, vcc, s2, v0
	v_addc_co_u32_e32 v1, vcc, v5, v1, vcc
	s_waitcnt vmcnt(0)
	global_store_dword v[0:1], v4, off
	v_cndmask_b32_e64 v0, v4, 1.0, s[0:1]
	global_store_dword v[2:3], v0, off
.LBB24_2:
	s_endpgm
	.section	.rodata,"a",@progbits
	.p2align	6, 0x0
	.amdhsa_kernel _ZN9rocsolver6v33100L8set_diagIfifPfTnNSt9enable_ifIXoont18rocblas_is_complexIT_E18rocblas_is_complexIT1_EEiE4typeELi0EEEvPS5_llT2_lT0_lSA_b
		.amdhsa_group_segment_fixed_size 0
		.amdhsa_private_segment_fixed_size 0
		.amdhsa_kernarg_size 320
		.amdhsa_user_sgpr_count 6
		.amdhsa_user_sgpr_private_segment_buffer 1
		.amdhsa_user_sgpr_dispatch_ptr 0
		.amdhsa_user_sgpr_queue_ptr 0
		.amdhsa_user_sgpr_kernarg_segment_ptr 1
		.amdhsa_user_sgpr_dispatch_id 0
		.amdhsa_user_sgpr_flat_scratch_init 0
		.amdhsa_user_sgpr_kernarg_preload_length 0
		.amdhsa_user_sgpr_kernarg_preload_offset 0
		.amdhsa_user_sgpr_private_segment_size 0
		.amdhsa_uses_dynamic_stack 0
		.amdhsa_system_sgpr_private_segment_wavefront_offset 0
		.amdhsa_system_sgpr_workgroup_id_x 1
		.amdhsa_system_sgpr_workgroup_id_y 1
		.amdhsa_system_sgpr_workgroup_id_z 0
		.amdhsa_system_sgpr_workgroup_info 0
		.amdhsa_system_vgpr_workitem_id 1
		.amdhsa_next_free_vgpr 6
		.amdhsa_next_free_sgpr 19
		.amdhsa_accum_offset 8
		.amdhsa_reserve_vcc 1
		.amdhsa_reserve_flat_scratch 0
		.amdhsa_float_round_mode_32 0
		.amdhsa_float_round_mode_16_64 0
		.amdhsa_float_denorm_mode_32 3
		.amdhsa_float_denorm_mode_16_64 3
		.amdhsa_dx10_clamp 1
		.amdhsa_ieee_mode 1
		.amdhsa_fp16_overflow 0
		.amdhsa_tg_split 0
		.amdhsa_exception_fp_ieee_invalid_op 0
		.amdhsa_exception_fp_denorm_src 0
		.amdhsa_exception_fp_ieee_div_zero 0
		.amdhsa_exception_fp_ieee_overflow 0
		.amdhsa_exception_fp_ieee_underflow 0
		.amdhsa_exception_fp_ieee_inexact 0
		.amdhsa_exception_int_div_zero 0
	.end_amdhsa_kernel
	.section	.text._ZN9rocsolver6v33100L8set_diagIfifPfTnNSt9enable_ifIXoont18rocblas_is_complexIT_E18rocblas_is_complexIT1_EEiE4typeELi0EEEvPS5_llT2_lT0_lSA_b,"axG",@progbits,_ZN9rocsolver6v33100L8set_diagIfifPfTnNSt9enable_ifIXoont18rocblas_is_complexIT_E18rocblas_is_complexIT1_EEiE4typeELi0EEEvPS5_llT2_lT0_lSA_b,comdat
.Lfunc_end24:
	.size	_ZN9rocsolver6v33100L8set_diagIfifPfTnNSt9enable_ifIXoont18rocblas_is_complexIT_E18rocblas_is_complexIT1_EEiE4typeELi0EEEvPS5_llT2_lT0_lSA_b, .Lfunc_end24-_ZN9rocsolver6v33100L8set_diagIfifPfTnNSt9enable_ifIXoont18rocblas_is_complexIT_E18rocblas_is_complexIT1_EEiE4typeELi0EEEvPS5_llT2_lT0_lSA_b
                                        ; -- End function
	.section	.AMDGPU.csdata,"",@progbits
; Kernel info:
; codeLenInByte = 292
; NumSgprs: 23
; NumVgprs: 6
; NumAgprs: 0
; TotalNumVgprs: 6
; ScratchSize: 0
; MemoryBound: 0
; FloatMode: 240
; IeeeMode: 1
; LDSByteSize: 0 bytes/workgroup (compile time only)
; SGPRBlocks: 2
; VGPRBlocks: 0
; NumSGPRsForWavesPerEU: 23
; NumVGPRsForWavesPerEU: 6
; AccumOffset: 8
; Occupancy: 8
; WaveLimiterHint : 0
; COMPUTE_PGM_RSRC2:SCRATCH_EN: 0
; COMPUTE_PGM_RSRC2:USER_SGPR: 6
; COMPUTE_PGM_RSRC2:TRAP_HANDLER: 0
; COMPUTE_PGM_RSRC2:TGID_X_EN: 1
; COMPUTE_PGM_RSRC2:TGID_Y_EN: 1
; COMPUTE_PGM_RSRC2:TGID_Z_EN: 0
; COMPUTE_PGM_RSRC2:TIDIG_COMP_CNT: 1
; COMPUTE_PGM_RSRC3_GFX90A:ACCUM_OFFSET: 1
; COMPUTE_PGM_RSRC3_GFX90A:TG_SPLIT: 0
	.section	.text._ZN9rocsolver6v33100L11set_taubetaIfifPfEEvPT_lS4_T2_llPT1_ll,"axG",@progbits,_ZN9rocsolver6v33100L11set_taubetaIfifPfEEvPT_lS4_T2_llPT1_ll,comdat
	.globl	_ZN9rocsolver6v33100L11set_taubetaIfifPfEEvPT_lS4_T2_llPT1_ll ; -- Begin function _ZN9rocsolver6v33100L11set_taubetaIfifPfEEvPT_lS4_T2_llPT1_ll
	.p2align	8
	.type	_ZN9rocsolver6v33100L11set_taubetaIfifPfEEvPT_lS4_T2_llPT1_ll,@function
_ZN9rocsolver6v33100L11set_taubetaIfifPfEEvPT_lS4_T2_llPT1_ll: ; @_ZN9rocsolver6v33100L11set_taubetaIfifPfEEvPT_lS4_T2_llPT1_ll
; %bb.0:
	s_load_dwordx16 s[8:23], s[4:5], 0x0
	s_ashr_i32 s7, s6, 31
	s_mov_b64 s[0:1], 0
	s_mov_b64 s[2:3], 0
	s_waitcnt lgkmcnt(0)
	s_cmp_eq_u64 s[20:21], 0
	s_cbranch_scc1 .LBB25_2
; %bb.1:
	s_load_dwordx2 s[2:3], s[4:5], 0x40
	s_waitcnt lgkmcnt(0)
	s_mul_i32 s3, s6, s3
	s_mul_hi_u32 s4, s6, s2
	s_mul_i32 s5, s7, s2
	s_add_i32 s3, s4, s3
	s_mul_i32 s2, s6, s2
	s_add_i32 s3, s3, s5
	s_lshl_b64 s[2:3], s[2:3], 2
	s_add_u32 s4, s20, s2
	s_addc_u32 s5, s21, s3
	s_lshl_b64 s[2:3], s[22:23], 2
	s_add_u32 s2, s4, s2
	s_addc_u32 s3, s5, s3
.LBB25_2:
	s_mul_i32 s4, s6, s19
	s_mul_hi_u32 s5, s6, s18
	s_add_i32 s4, s5, s4
	s_mul_i32 s5, s7, s18
	s_add_i32 s5, s4, s5
	s_mul_i32 s4, s6, s18
	s_lshl_b64 s[4:5], s[4:5], 2
	s_add_u32 s14, s14, s4
	s_addc_u32 s15, s15, s5
	s_lshl_b64 s[4:5], s[16:17], 2
	s_add_u32 s4, s14, s4
	s_mul_i32 s11, s6, s11
	s_mul_hi_u32 s14, s6, s10
	s_addc_u32 s5, s15, s5
	s_add_i32 s11, s14, s11
	s_mul_i32 s14, s7, s10
	s_add_i32 s11, s11, s14
	s_mul_i32 s10, s6, s10
	s_lshl_b64 s[10:11], s[10:11], 2
	s_add_u32 s8, s8, s10
	s_addc_u32 s9, s9, s11
	s_lshl_b64 s[6:7], s[6:7], 2
	s_add_u32 s12, s12, s6
	s_addc_u32 s13, s13, s7
	s_load_dword s16, s[12:13], 0x0
	s_cmp_eq_u64 s[2:3], 0
	s_cselect_b64 s[6:7], -1, 0
	s_cmp_lg_u64 s[2:3], 0
	s_cselect_b64 s[10:11], -1, 0
	s_waitcnt lgkmcnt(0)
	v_cmp_ngt_f32_e64 s[14:15], s16, 0
	s_and_b64 vcc, exec, s[14:15]
	s_cbranch_vccz .LBB25_6
; %bb.3:
	v_mov_b32_e32 v1, 1.0
	v_mov_b32_e32 v0, 0
	s_mov_b64 s[14:15], 0
	s_and_b64 vcc, exec, s[10:11]
	global_store_dword v0, v1, s[12:13]
	global_store_dword v0, v0, s[8:9]
	s_cbranch_vccz .LBB25_7
; %bb.4:
	global_load_dword v0, v0, s[4:5]
	s_mov_b64 s[0:1], -1
	s_and_b64 vcc, exec, s[14:15]
	s_cbranch_vccnz .LBB25_8
.LBB25_5:
	s_mov_b64 s[6:7], 0
	s_andn2_b64 vcc, exec, s[0:1]
	s_cbranch_vccz .LBB25_9
	s_branch .LBB25_10
.LBB25_6:
	s_mov_b64 s[14:15], -1
.LBB25_7:
                                        ; implicit-def: $vgpr0
	s_and_b64 vcc, exec, s[14:15]
	s_cbranch_vccz .LBB25_5
.LBB25_8:
	s_load_dword s14, s[4:5], 0x0
	s_waitcnt vmcnt(0)
	v_mov_b32_e32 v0, s16
	s_mov_b32 s0, 0xf800000
	s_waitcnt lgkmcnt(0)
	v_fmac_f32_e64 v0, s14, s14
	v_mul_f32_e32 v1, 0x4f800000, v0
	v_cmp_gt_f32_e32 vcc, s0, v0
	v_cndmask_b32_e32 v0, v0, v1, vcc
	v_sqrt_f32_e32 v1, v0
	v_add_u32_e32 v2, -1, v1
	v_add_u32_e32 v3, 1, v1
	v_fma_f32 v4, -v2, v1, v0
	v_fma_f32 v5, -v3, v1, v0
	v_cmp_ge_f32_e64 s[0:1], 0, v4
	v_cndmask_b32_e64 v1, v1, v2, s[0:1]
	v_cmp_lt_f32_e64 s[0:1], 0, v5
	v_cndmask_b32_e64 v1, v1, v3, s[0:1]
	v_mul_f32_e32 v2, 0x37800000, v1
	v_cndmask_b32_e32 v1, v1, v2, vcc
	v_mov_b32_e32 v2, 0x260
	v_cmp_class_f32_e32 vcc, v0, v2
	v_cndmask_b32_e32 v0, v1, v0, vcc
	v_cmp_ge_f32_e64 s[0:1], s14, 0
	v_cndmask_b32_e64 v0, v0, -v0, s[0:1]
	v_sub_f32_e32 v1, s14, v0
	v_div_scale_f32 v2, s[0:1], v1, v1, 1.0
	v_rcp_f32_e32 v3, v2
	v_mov_b32_e32 v4, 0
	v_fma_f32 v5, -v2, v3, 1.0
	v_fmac_f32_e32 v3, v5, v3
	v_div_scale_f32 v5, vcc, 1.0, v1, 1.0
	v_mul_f32_e32 v6, v5, v3
	v_fma_f32 v7, -v2, v6, v5
	v_fmac_f32_e32 v6, v7, v3
	v_fma_f32 v2, -v2, v6, v5
	v_div_fmas_f32 v2, v2, v3, v6
	v_div_fixup_f32 v1, v2, v1, 1.0
	global_store_dword v4, v1, s[12:13]
	global_load_dword v1, v4, s[4:5]
	s_waitcnt vmcnt(0)
	v_sub_f32_e32 v1, v0, v1
	v_div_scale_f32 v2, s[0:1], v0, v0, v1
	v_rcp_f32_e32 v3, v2
	v_div_scale_f32 v5, vcc, v1, v0, v1
	s_mov_b64 s[0:1], s[10:11]
	v_fma_f32 v6, -v2, v3, 1.0
	v_fmac_f32_e32 v3, v6, v3
	v_mul_f32_e32 v6, v5, v3
	v_fma_f32 v7, -v2, v6, v5
	v_fmac_f32_e32 v6, v7, v3
	v_fma_f32 v2, -v2, v6, v5
	v_div_fmas_f32 v2, v2, v3, v6
	v_div_fixup_f32 v1, v2, v0, v1
	global_store_dword v4, v1, s[8:9]
	s_andn2_b64 vcc, exec, s[0:1]
	s_cbranch_vccnz .LBB25_10
.LBB25_9:
	v_pk_mov_b32 v[2:3], s[2:3], s[2:3] op_sel:[0,1]
	s_waitcnt vmcnt(0)
	flat_store_dword v[2:3], v0
	s_mov_b64 s[6:7], -1
	v_mov_b32_e32 v0, 1.0
.LBB25_10:
	s_andn2_b64 vcc, exec, s[6:7]
	s_cbranch_vccz .LBB25_12
; %bb.11:
	s_endpgm
.LBB25_12:
	v_mov_b32_e32 v1, 0
	s_waitcnt vmcnt(0) lgkmcnt(0)
	global_store_dword v1, v0, s[4:5]
	s_endpgm
	.section	.rodata,"a",@progbits
	.p2align	6, 0x0
	.amdhsa_kernel _ZN9rocsolver6v33100L11set_taubetaIfifPfEEvPT_lS4_T2_llPT1_ll
		.amdhsa_group_segment_fixed_size 0
		.amdhsa_private_segment_fixed_size 0
		.amdhsa_kernarg_size 72
		.amdhsa_user_sgpr_count 6
		.amdhsa_user_sgpr_private_segment_buffer 1
		.amdhsa_user_sgpr_dispatch_ptr 0
		.amdhsa_user_sgpr_queue_ptr 0
		.amdhsa_user_sgpr_kernarg_segment_ptr 1
		.amdhsa_user_sgpr_dispatch_id 0
		.amdhsa_user_sgpr_flat_scratch_init 0
		.amdhsa_user_sgpr_kernarg_preload_length 0
		.amdhsa_user_sgpr_kernarg_preload_offset 0
		.amdhsa_user_sgpr_private_segment_size 0
		.amdhsa_uses_dynamic_stack 0
		.amdhsa_system_sgpr_private_segment_wavefront_offset 0
		.amdhsa_system_sgpr_workgroup_id_x 1
		.amdhsa_system_sgpr_workgroup_id_y 0
		.amdhsa_system_sgpr_workgroup_id_z 0
		.amdhsa_system_sgpr_workgroup_info 0
		.amdhsa_system_vgpr_workitem_id 0
		.amdhsa_next_free_vgpr 8
		.amdhsa_next_free_sgpr 24
		.amdhsa_accum_offset 8
		.amdhsa_reserve_vcc 1
		.amdhsa_reserve_flat_scratch 0
		.amdhsa_float_round_mode_32 0
		.amdhsa_float_round_mode_16_64 0
		.amdhsa_float_denorm_mode_32 3
		.amdhsa_float_denorm_mode_16_64 3
		.amdhsa_dx10_clamp 1
		.amdhsa_ieee_mode 1
		.amdhsa_fp16_overflow 0
		.amdhsa_tg_split 0
		.amdhsa_exception_fp_ieee_invalid_op 0
		.amdhsa_exception_fp_denorm_src 0
		.amdhsa_exception_fp_ieee_div_zero 0
		.amdhsa_exception_fp_ieee_overflow 0
		.amdhsa_exception_fp_ieee_underflow 0
		.amdhsa_exception_fp_ieee_inexact 0
		.amdhsa_exception_int_div_zero 0
	.end_amdhsa_kernel
	.section	.text._ZN9rocsolver6v33100L11set_taubetaIfifPfEEvPT_lS4_T2_llPT1_ll,"axG",@progbits,_ZN9rocsolver6v33100L11set_taubetaIfifPfEEvPT_lS4_T2_llPT1_ll,comdat
.Lfunc_end25:
	.size	_ZN9rocsolver6v33100L11set_taubetaIfifPfEEvPT_lS4_T2_llPT1_ll, .Lfunc_end25-_ZN9rocsolver6v33100L11set_taubetaIfifPfEEvPT_lS4_T2_llPT1_ll
                                        ; -- End function
	.section	.AMDGPU.csdata,"",@progbits
; Kernel info:
; codeLenInByte = 728
; NumSgprs: 28
; NumVgprs: 8
; NumAgprs: 0
; TotalNumVgprs: 8
; ScratchSize: 0
; MemoryBound: 0
; FloatMode: 240
; IeeeMode: 1
; LDSByteSize: 0 bytes/workgroup (compile time only)
; SGPRBlocks: 3
; VGPRBlocks: 0
; NumSGPRsForWavesPerEU: 28
; NumVGPRsForWavesPerEU: 8
; AccumOffset: 8
; Occupancy: 8
; WaveLimiterHint : 0
; COMPUTE_PGM_RSRC2:SCRATCH_EN: 0
; COMPUTE_PGM_RSRC2:USER_SGPR: 6
; COMPUTE_PGM_RSRC2:TRAP_HANDLER: 0
; COMPUTE_PGM_RSRC2:TGID_X_EN: 1
; COMPUTE_PGM_RSRC2:TGID_Y_EN: 0
; COMPUTE_PGM_RSRC2:TGID_Z_EN: 0
; COMPUTE_PGM_RSRC2:TIDIG_COMP_CNT: 0
; COMPUTE_PGM_RSRC3_GFX90A:ACCUM_OFFSET: 1
; COMPUTE_PGM_RSRC3_GFX90A:TG_SPLIT: 0
	.section	.text._ZN9rocsolver6v33100L13conj_in_placeIfiPfTnNSt9enable_ifIXnt18rocblas_is_complexIT_EEiE4typeELi0EEEvT0_S7_T1_lS7_l,"axG",@progbits,_ZN9rocsolver6v33100L13conj_in_placeIfiPfTnNSt9enable_ifIXnt18rocblas_is_complexIT_EEiE4typeELi0EEEvT0_S7_T1_lS7_l,comdat
	.globl	_ZN9rocsolver6v33100L13conj_in_placeIfiPfTnNSt9enable_ifIXnt18rocblas_is_complexIT_EEiE4typeELi0EEEvT0_S7_T1_lS7_l ; -- Begin function _ZN9rocsolver6v33100L13conj_in_placeIfiPfTnNSt9enable_ifIXnt18rocblas_is_complexIT_EEiE4typeELi0EEEvT0_S7_T1_lS7_l
	.p2align	8
	.type	_ZN9rocsolver6v33100L13conj_in_placeIfiPfTnNSt9enable_ifIXnt18rocblas_is_complexIT_EEiE4typeELi0EEEvT0_S7_T1_lS7_l,@function
_ZN9rocsolver6v33100L13conj_in_placeIfiPfTnNSt9enable_ifIXnt18rocblas_is_complexIT_EEiE4typeELi0EEEvT0_S7_T1_lS7_l: ; @_ZN9rocsolver6v33100L13conj_in_placeIfiPfTnNSt9enable_ifIXnt18rocblas_is_complexIT_EEiE4typeELi0EEEvT0_S7_T1_lS7_l
; %bb.0:
	s_endpgm
	.section	.rodata,"a",@progbits
	.p2align	6, 0x0
	.amdhsa_kernel _ZN9rocsolver6v33100L13conj_in_placeIfiPfTnNSt9enable_ifIXnt18rocblas_is_complexIT_EEiE4typeELi0EEEvT0_S7_T1_lS7_l
		.amdhsa_group_segment_fixed_size 0
		.amdhsa_private_segment_fixed_size 0
		.amdhsa_kernarg_size 40
		.amdhsa_user_sgpr_count 6
		.amdhsa_user_sgpr_private_segment_buffer 1
		.amdhsa_user_sgpr_dispatch_ptr 0
		.amdhsa_user_sgpr_queue_ptr 0
		.amdhsa_user_sgpr_kernarg_segment_ptr 1
		.amdhsa_user_sgpr_dispatch_id 0
		.amdhsa_user_sgpr_flat_scratch_init 0
		.amdhsa_user_sgpr_kernarg_preload_length 0
		.amdhsa_user_sgpr_kernarg_preload_offset 0
		.amdhsa_user_sgpr_private_segment_size 0
		.amdhsa_uses_dynamic_stack 0
		.amdhsa_system_sgpr_private_segment_wavefront_offset 0
		.amdhsa_system_sgpr_workgroup_id_x 1
		.amdhsa_system_sgpr_workgroup_id_y 0
		.amdhsa_system_sgpr_workgroup_id_z 0
		.amdhsa_system_sgpr_workgroup_info 0
		.amdhsa_system_vgpr_workitem_id 0
		.amdhsa_next_free_vgpr 1
		.amdhsa_next_free_sgpr 0
		.amdhsa_accum_offset 4
		.amdhsa_reserve_vcc 0
		.amdhsa_reserve_flat_scratch 0
		.amdhsa_float_round_mode_32 0
		.amdhsa_float_round_mode_16_64 0
		.amdhsa_float_denorm_mode_32 3
		.amdhsa_float_denorm_mode_16_64 3
		.amdhsa_dx10_clamp 1
		.amdhsa_ieee_mode 1
		.amdhsa_fp16_overflow 0
		.amdhsa_tg_split 0
		.amdhsa_exception_fp_ieee_invalid_op 0
		.amdhsa_exception_fp_denorm_src 0
		.amdhsa_exception_fp_ieee_div_zero 0
		.amdhsa_exception_fp_ieee_overflow 0
		.amdhsa_exception_fp_ieee_underflow 0
		.amdhsa_exception_fp_ieee_inexact 0
		.amdhsa_exception_int_div_zero 0
	.end_amdhsa_kernel
	.section	.text._ZN9rocsolver6v33100L13conj_in_placeIfiPfTnNSt9enable_ifIXnt18rocblas_is_complexIT_EEiE4typeELi0EEEvT0_S7_T1_lS7_l,"axG",@progbits,_ZN9rocsolver6v33100L13conj_in_placeIfiPfTnNSt9enable_ifIXnt18rocblas_is_complexIT_EEiE4typeELi0EEEvT0_S7_T1_lS7_l,comdat
.Lfunc_end26:
	.size	_ZN9rocsolver6v33100L13conj_in_placeIfiPfTnNSt9enable_ifIXnt18rocblas_is_complexIT_EEiE4typeELi0EEEvT0_S7_T1_lS7_l, .Lfunc_end26-_ZN9rocsolver6v33100L13conj_in_placeIfiPfTnNSt9enable_ifIXnt18rocblas_is_complexIT_EEiE4typeELi0EEEvT0_S7_T1_lS7_l
                                        ; -- End function
	.section	.AMDGPU.csdata,"",@progbits
; Kernel info:
; codeLenInByte = 4
; NumSgprs: 4
; NumVgprs: 0
; NumAgprs: 0
; TotalNumVgprs: 0
; ScratchSize: 0
; MemoryBound: 0
; FloatMode: 240
; IeeeMode: 1
; LDSByteSize: 0 bytes/workgroup (compile time only)
; SGPRBlocks: 0
; VGPRBlocks: 0
; NumSGPRsForWavesPerEU: 4
; NumVGPRsForWavesPerEU: 1
; AccumOffset: 4
; Occupancy: 8
; WaveLimiterHint : 0
; COMPUTE_PGM_RSRC2:SCRATCH_EN: 0
; COMPUTE_PGM_RSRC2:USER_SGPR: 6
; COMPUTE_PGM_RSRC2:TRAP_HANDLER: 0
; COMPUTE_PGM_RSRC2:TGID_X_EN: 1
; COMPUTE_PGM_RSRC2:TGID_Y_EN: 0
; COMPUTE_PGM_RSRC2:TGID_Z_EN: 0
; COMPUTE_PGM_RSRC2:TIDIG_COMP_CNT: 0
; COMPUTE_PGM_RSRC3_GFX90A:ACCUM_OFFSET: 0
; COMPUTE_PGM_RSRC3_GFX90A:TG_SPLIT: 0
	.section	.text._ZN9rocsolver6v33100L16larf_left_kernelILi1024EfiPfEEvT1_S3_T2_lS3_lPKT0_lS4_lS3_l,"axG",@progbits,_ZN9rocsolver6v33100L16larf_left_kernelILi1024EfiPfEEvT1_S3_T2_lS3_lPKT0_lS4_lS3_l,comdat
	.globl	_ZN9rocsolver6v33100L16larf_left_kernelILi1024EfiPfEEvT1_S3_T2_lS3_lPKT0_lS4_lS3_l ; -- Begin function _ZN9rocsolver6v33100L16larf_left_kernelILi1024EfiPfEEvT1_S3_T2_lS3_lPKT0_lS4_lS3_l
	.p2align	8
	.type	_ZN9rocsolver6v33100L16larf_left_kernelILi1024EfiPfEEvT1_S3_T2_lS3_lPKT0_lS4_lS3_l,@function
_ZN9rocsolver6v33100L16larf_left_kernelILi1024EfiPfEEvT1_S3_T2_lS3_lPKT0_lS4_lS3_l: ; @_ZN9rocsolver6v33100L16larf_left_kernelILi1024EfiPfEEvT1_S3_T2_lS3_lPKT0_lS4_lS3_l
; %bb.0:
	s_load_dwordx2 s[0:1], s[4:5], 0x50
	s_load_dwordx2 s[2:3], s[4:5], 0x40
	s_load_dword s6, s[4:5], 0x48
	s_load_dword s9, s[4:5], 0x0
	s_load_dwordx8 s[12:19], s[4:5], 0x20
	s_ashr_i32 s33, s8, 31
	s_waitcnt lgkmcnt(0)
	s_mul_i32 s1, s8, s1
	s_mul_hi_u32 s10, s8, s0
	s_add_i32 s1, s10, s1
	s_mul_i32 s10, s33, s0
	s_add_i32 s11, s1, s10
	s_mul_i32 s10, s8, s0
	s_mul_hi_i32 s25, s6, s7
	s_mul_i32 s24, s6, s7
	v_cmp_gt_i32_e64 s[0:1], s9, v0
	v_mov_b32_e32 v1, 0
	v_xad_u32 v4, v0, -1, s9
	s_and_saveexec_b64 s[6:7], s[0:1]
	s_cbranch_execz .LBB27_11
; %bb.1:
	s_load_dword s26, s[4:5], 0x18
	s_load_dwordx4 s[20:23], s[4:5], 0x8
	s_sub_i32 s4, 1, s9
	s_mul_i32 s13, s8, s13
	s_mov_b64 s[30:31], -1
	s_waitcnt lgkmcnt(0)
	s_ashr_i32 s27, s26, 31
	s_mul_i32 s28, s4, s26
	v_cmp_lt_i64_e64 s[4:5], s[26:27], 1
	s_and_b64 s[4:5], s[4:5], exec
	s_cselect_b32 s4, s28, 0
	s_mul_hi_u32 s28, s8, s12
	s_add_i32 s13, s28, s13
	s_mul_i32 s28, s33, s12
	s_add_i32 s13, s13, s28
	s_movk_i32 s28, 0x3ff
	s_ashr_i32 s5, s4, 31
	s_mul_i32 s12, s8, s12
	v_cmp_lt_u32_e32 vcc, s28, v4
	v_mov_b32_e32 v1, v0
	s_and_saveexec_b64 s[28:29], vcc
	s_cbranch_execz .LBB27_5
; %bb.2:
	s_lshl_b64 s[30:31], s[12:13], 2
	s_add_u32 s34, s20, s30
	s_addc_u32 s35, s21, s31
	s_lshl_b64 s[30:31], s[22:23], 2
	s_add_u32 s34, s34, s30
	s_addc_u32 s35, s35, s31
	s_lshl_b64 s[30:31], s[4:5], 2
	v_lshrrev_b32_e32 v1, 10, v4
	s_add_u32 s34, s34, s30
	v_add_u32_e32 v5, 1, v1
	s_addc_u32 s37, s35, s31
	v_and_b32_e32 v6, 0x7ffffe, v5
	v_or_b32_e32 v1, 0x400, v0
	v_lshlrev_b32_e32 v2, 2, v0
	s_mov_b32 s35, s26
	s_mov_b32 s36, s27
	v_add3_u32 v7, v2, 0, 64
	s_mov_b64 s[30:31], 0
	v_mov_b32_e32 v8, s37
	v_mov_b32_e32 v9, v6
	v_pk_mov_b32 v[2:3], v[0:1], v[0:1] op_sel:[0,1]
.LBB27_3:                               ; =>This Inner Loop Header: Depth=1
	v_mad_u64_u32 v[12:13], s[38:39], s26, v2, 0
	v_mov_b32_e32 v16, v13
	v_mad_u64_u32 v[10:11], s[38:39], s35, v3, 0
	v_mad_u64_u32 v[16:17], s[38:39], s27, v2, v[16:17]
	v_mov_b32_e32 v14, v11
	v_mov_b32_e32 v13, v16
	v_mad_u64_u32 v[14:15], s[38:39], s36, v3, v[14:15]
	v_lshlrev_b64 v[12:13], 2, v[12:13]
	v_mov_b32_e32 v11, v14
	v_add_co_u32_e32 v12, vcc, s34, v12
	v_lshlrev_b64 v[10:11], 2, v[10:11]
	v_addc_co_u32_e32 v13, vcc, v8, v13, vcc
	v_add_co_u32_e32 v10, vcc, s34, v10
	v_addc_co_u32_e32 v11, vcc, v8, v11, vcc
	global_load_dword v1, v[12:13], off
	global_load_dword v14, v[10:11], off
	v_add_u32_e32 v9, -2, v9
	v_cmp_eq_u32_e32 vcc, 0, v9
	v_add_u32_e32 v3, 0x800, v3
	v_add_u32_e32 v2, 0x800, v2
	s_or_b64 s[30:31], vcc, s[30:31]
	s_waitcnt vmcnt(0)
	ds_write2st64_b32 v7, v1, v14 offset1:16
	v_add_u32_e32 v7, 0x2000, v7
	s_andn2_b64 exec, exec, s[30:31]
	s_cbranch_execnz .LBB27_3
; %bb.4:
	s_or_b64 exec, exec, s[30:31]
	v_cmp_ne_u32_e32 vcc, v5, v6
	v_lshl_or_b32 v1, v6, 10, v0
	s_orn2_b64 s[30:31], vcc, exec
.LBB27_5:
	s_or_b64 exec, exec, s[28:29]
	s_and_saveexec_b64 s[28:29], s[30:31]
	s_cbranch_execz .LBB27_8
; %bb.6:
	s_lshl_b64 s[12:13], s[12:13], 2
	s_lshl_b64 s[22:23], s[22:23], 2
	;; [unrolled: 1-line block ×3, first 2 shown]
	v_lshlrev_b32_e32 v2, 2, v1
	s_add_u32 s4, s20, s4
	v_add3_u32 v5, v2, 0, 64
	v_mad_u64_u32 v[2:3], s[30:31], s26, v1, 0
	s_addc_u32 s5, s21, s5
	v_mov_b32_e32 v6, v3
	s_add_u32 s4, s4, s22
	v_mad_u64_u32 v[6:7], s[30:31], s27, v1, v[6:7]
	s_addc_u32 s5, s5, s23
	v_mov_b32_e32 v3, v6
	s_add_u32 s4, s4, s12
	v_lshlrev_b64 v[2:3], 2, v[2:3]
	s_addc_u32 s5, s5, s13
	v_mov_b32_e32 v6, s5
	v_add_co_u32_e32 v2, vcc, s4, v2
	s_lshl_b64 s[4:5], s[26:27], 12
	v_addc_co_u32_e32 v3, vcc, v6, v3, vcc
	s_mov_b64 s[12:13], 0
	v_mov_b32_e32 v6, s5
.LBB27_7:                               ; =>This Inner Loop Header: Depth=1
	global_load_dword v7, v[2:3], off
	v_add_co_u32_e32 v2, vcc, s4, v2
	v_add_u32_e32 v1, 0x400, v1
	v_addc_co_u32_e32 v3, vcc, v3, v6, vcc
	v_cmp_le_i32_e32 vcc, s9, v1
	s_or_b64 s[12:13], vcc, s[12:13]
	s_waitcnt vmcnt(0)
	ds_write_b32 v5, v7
	v_add_u32_e32 v5, 0x1000, v5
	s_andn2_b64 exec, exec, s[12:13]
	s_cbranch_execnz .LBB27_7
.LBB27_8:
	s_or_b64 exec, exec, s[28:29]
	s_lshl_b64 s[4:5], s[10:11], 2
	s_lshl_b64 s[12:13], s[24:25], 2
	s_add_u32 s12, s4, s12
	s_addc_u32 s13, s5, s13
	s_lshl_b64 s[4:5], s[2:3], 2
	s_add_u32 s4, s12, s4
	s_addc_u32 s5, s13, s5
	s_add_u32 s4, s18, s4
	v_lshlrev_b32_e32 v2, 2, v0
	s_addc_u32 s5, s19, s5
	v_add3_u32 v5, v2, 0, 64
	v_mov_b32_e32 v3, s5
	v_add_co_u32_e32 v2, vcc, s4, v2
	v_mov_b32_e32 v1, 0
	v_addc_co_u32_e32 v3, vcc, 0, v3, vcc
	s_mov_b64 s[4:5], 0
	v_mov_b32_e32 v6, v0
.LBB27_9:                               ; =>This Inner Loop Header: Depth=1
	global_load_dword v7, v[2:3], off
	ds_read_b32 v8, v5
	v_add_co_u32_e32 v2, vcc, 0x1000, v2
	v_add_u32_e32 v6, 0x400, v6
	v_addc_co_u32_e32 v3, vcc, 0, v3, vcc
	v_cmp_le_i32_e32 vcc, s9, v6
	v_add_u32_e32 v5, 0x1000, v5
	s_or_b64 s[4:5], vcc, s[4:5]
	s_waitcnt vmcnt(0) lgkmcnt(0)
	v_mul_f32_e32 v7, v7, v8
	v_add_f32_e32 v1, v1, v7
	s_andn2_b64 exec, exec, s[4:5]
	s_cbranch_execnz .LBB27_9
; %bb.10:
	s_or_b64 exec, exec, s[4:5]
.LBB27_11:
	s_or_b64 exec, exec, s[6:7]
	v_mbcnt_lo_u32_b32 v2, -1, 0
	v_mbcnt_hi_u32_b32 v2, -1, v2
	v_and_b32_e32 v3, 63, v2
	v_cmp_ne_u32_e32 vcc, 63, v3
	v_addc_co_u32_e32 v5, vcc, 0, v2, vcc
	v_lshlrev_b32_e32 v5, 2, v5
	ds_bpermute_b32 v5, v5, v1
	v_cmp_gt_u32_e32 vcc, 62, v3
	v_cndmask_b32_e64 v6, 0, 1, vcc
	v_cmp_gt_u32_e32 vcc, 60, v3
	s_waitcnt lgkmcnt(0)
	v_add_f32_e32 v1, v1, v5
	v_lshlrev_b32_e32 v5, 1, v6
	v_add_lshl_u32 v5, v5, v2, 2
	ds_bpermute_b32 v5, v5, v1
	v_cndmask_b32_e64 v6, 0, 1, vcc
	v_cmp_gt_u32_e32 vcc, 56, v3
	s_waitcnt lgkmcnt(0)
	v_add_f32_e32 v1, v1, v5
	v_lshlrev_b32_e32 v5, 2, v6
	v_add_lshl_u32 v5, v5, v2, 2
	ds_bpermute_b32 v5, v5, v1
	;; [unrolled: 7-line block ×3, first 2 shown]
	v_cndmask_b32_e64 v6, 0, 1, vcc
	v_cmp_gt_u32_e32 vcc, 32, v3
	v_cndmask_b32_e64 v3, 0, 1, vcc
	v_lshlrev_b32_e32 v3, 5, v3
	s_waitcnt lgkmcnt(0)
	v_add_f32_e32 v1, v1, v5
	v_lshlrev_b32_e32 v5, 4, v6
	v_add_lshl_u32 v5, v5, v2, 2
	ds_bpermute_b32 v5, v5, v1
	v_add_lshl_u32 v2, v3, v2, 2
	v_and_b32_e32 v3, 63, v0
	v_cmp_eq_u32_e32 vcc, 0, v3
	s_waitcnt lgkmcnt(0)
	v_add_f32_e32 v1, v1, v5
	ds_bpermute_b32 v2, v2, v1
	s_waitcnt lgkmcnt(0)
	v_add_f32_e32 v1, v1, v2
	s_and_saveexec_b64 s[4:5], vcc
	s_cbranch_execz .LBB27_13
; %bb.12:
	v_lshrrev_b32_e32 v2, 4, v0
	v_add_u32_e32 v2, 0, v2
	ds_write_b32 v2, v1
.LBB27_13:
	s_or_b64 exec, exec, s[4:5]
	v_cmp_eq_u32_e32 vcc, 0, v0
	s_waitcnt lgkmcnt(0)
	s_barrier
	s_and_saveexec_b64 s[4:5], vcc
	s_cbranch_execz .LBB27_15
; %bb.14:
	v_mov_b32_e32 v5, 0
	ds_read2_b32 v[2:3], v5 offset0:1 offset1:2
	ds_read2_b32 v[6:7], v5 offset0:3 offset1:4
	;; [unrolled: 1-line block ×4, first 2 shown]
	s_waitcnt lgkmcnt(3)
	v_add_f32_e32 v1, v1, v2
	v_add_f32_e32 v1, v1, v3
	s_waitcnt lgkmcnt(2)
	v_add_f32_e32 v1, v1, v6
	v_add_f32_e32 v1, v1, v7
	ds_read2_b32 v[2:3], v5 offset0:9 offset1:10
	s_waitcnt lgkmcnt(2)
	v_add_f32_e32 v1, v1, v8
	v_add_f32_e32 v1, v1, v9
	s_waitcnt lgkmcnt(1)
	v_add_f32_e32 v1, v1, v10
	v_add_f32_e32 v1, v1, v11
	ds_read2_b32 v[6:7], v5 offset0:11 offset1:12
	ds_read2_b32 v[8:9], v5 offset0:13 offset1:14
	ds_read_b32 v10, v5 offset:60
	s_waitcnt lgkmcnt(3)
	v_add_f32_e32 v1, v1, v2
	v_add_f32_e32 v1, v1, v3
	s_waitcnt lgkmcnt(2)
	v_add_f32_e32 v1, v1, v6
	v_add_f32_e32 v1, v1, v7
	;; [unrolled: 3-line block ×3, first 2 shown]
	s_waitcnt lgkmcnt(0)
	v_add_f32_e32 v1, v1, v10
	ds_write_b32 v5, v1
.LBB27_15:
	s_or_b64 exec, exec, s[4:5]
	s_waitcnt lgkmcnt(0)
	s_barrier
	s_and_saveexec_b64 s[4:5], s[0:1]
	s_cbranch_execz .LBB27_23
; %bb.16:
	s_mul_i32 s0, s8, s17
	s_mul_hi_u32 s1, s8, s16
	s_add_i32 s0, s1, s0
	s_mul_i32 s1, s33, s16
	s_add_i32 s1, s0, s1
	s_mul_i32 s0, s8, s16
	s_lshl_b64 s[0:1], s[0:1], 2
	s_add_u32 s0, s14, s0
	s_addc_u32 s1, s15, s1
	v_mov_b32_e32 v5, 0
	s_load_dword s0, s[0:1], 0x0
	ds_read_b32 v1, v5
	s_mov_b64 s[4:5], -1
	s_waitcnt lgkmcnt(0)
	v_mul_f32_e64 v2, v1, -s0
	s_movk_i32 s0, 0x3ff
	v_cmp_lt_u32_e32 vcc, s0, v4
	s_and_saveexec_b64 s[0:1], vcc
	s_cbranch_execz .LBB27_20
; %bb.17:
	s_lshl_b64 s[4:5], s[10:11], 2
	s_add_u32 s6, s18, s4
	s_addc_u32 s7, s19, s5
	s_lshl_b64 s[4:5], s[2:3], 2
	s_add_u32 s6, s6, s4
	v_lshrrev_b32_e32 v1, 10, v4
	s_addc_u32 s7, s7, s5
	s_lshl_b64 s[4:5], s[24:25], 2
	v_add_u32_e32 v8, 1, v1
	s_add_u32 s6, s6, s4
	s_addc_u32 s7, s7, s5
	v_and_b32_e32 v9, 0x7ffffe, v8
	v_or_b32_e32 v1, 0x400, v0
	v_lshlrev_b32_e32 v4, 2, v0
	v_mov_b32_e32 v3, v2
	v_add3_u32 v10, v4, 0, 64
	s_mov_b64 s[4:5], 0
	v_mov_b32_e32 v11, s7
	v_mov_b32_e32 v12, v9
	v_pk_mov_b32 v[6:7], v[0:1], v[0:1] op_sel:[0,1]
.LBB27_18:                              ; =>This Inner Loop Header: Depth=1
	v_mov_b32_e32 v4, v6
	v_lshlrev_b64 v[14:15], 2, v[4:5]
	v_mov_b32_e32 v4, v7
	v_add_co_u32_e32 v14, vcc, s6, v14
	v_addc_co_u32_e32 v15, vcc, v11, v15, vcc
	v_lshlrev_b64 v[16:17], 2, v[4:5]
	v_add_co_u32_e32 v16, vcc, s6, v16
	v_addc_co_u32_e32 v17, vcc, v11, v17, vcc
	global_load_dword v18, v[14:15], off
	global_load_dword v19, v[16:17], off
	ds_read2st64_b32 v[20:21], v10 offset1:16
	v_add_u32_e32 v12, -2, v12
	v_cmp_eq_u32_e32 vcc, 0, v12
	v_add_u32_e32 v6, 0x800, v6
	v_add_u32_e32 v10, 0x2000, v10
	;; [unrolled: 1-line block ×3, first 2 shown]
	s_or_b64 s[4:5], vcc, s[4:5]
	s_waitcnt vmcnt(0) lgkmcnt(0)
	v_pk_fma_f32 v[18:19], v[2:3], v[20:21], v[18:19]
	global_store_dword v[14:15], v18, off
	global_store_dword v[16:17], v19, off
	s_andn2_b64 exec, exec, s[4:5]
	s_cbranch_execnz .LBB27_18
; %bb.19:
	s_or_b64 exec, exec, s[4:5]
	v_cmp_ne_u32_e32 vcc, v8, v9
	v_lshl_or_b32 v0, v9, 10, v0
	s_orn2_b64 s[4:5], vcc, exec
.LBB27_20:
	s_or_b64 exec, exec, s[0:1]
	s_and_b64 exec, exec, s[4:5]
	s_cbranch_execz .LBB27_23
; %bb.21:
	s_lshl_b64 s[0:1], s[10:11], 2
	s_lshl_b64 s[4:5], s[24:25], 2
	s_add_u32 s4, s0, s4
	s_addc_u32 s5, s1, s5
	s_lshl_b64 s[0:1], s[2:3], 2
	s_add_u32 s0, s4, s0
	v_lshlrev_b32_e32 v1, 2, v0
	s_addc_u32 s1, s5, s1
	v_add3_u32 v3, v1, 0, 64
	v_mov_b32_e32 v1, 0
	s_add_u32 s0, s18, s0
	v_lshlrev_b64 v[4:5], 2, v[0:1]
	s_addc_u32 s1, s19, s1
	v_mov_b32_e32 v1, s1
	v_add_co_u32_e32 v4, vcc, s0, v4
	v_addc_co_u32_e32 v5, vcc, v1, v5, vcc
	s_mov_b64 s[0:1], 0
.LBB27_22:                              ; =>This Inner Loop Header: Depth=1
	global_load_dword v1, v[4:5], off
	ds_read_b32 v6, v3
	v_add_u32_e32 v0, 0x400, v0
	v_cmp_le_i32_e32 vcc, s9, v0
	s_or_b64 s[0:1], vcc, s[0:1]
	v_add_u32_e32 v3, 0x1000, v3
	s_waitcnt vmcnt(0) lgkmcnt(0)
	v_fmac_f32_e32 v1, v2, v6
	global_store_dword v[4:5], v1, off
	v_add_co_u32_e32 v4, vcc, 0x1000, v4
	v_addc_co_u32_e32 v5, vcc, 0, v5, vcc
	s_andn2_b64 exec, exec, s[0:1]
	s_cbranch_execnz .LBB27_22
.LBB27_23:
	s_endpgm
	.section	.rodata,"a",@progbits
	.p2align	6, 0x0
	.amdhsa_kernel _ZN9rocsolver6v33100L16larf_left_kernelILi1024EfiPfEEvT1_S3_T2_lS3_lPKT0_lS4_lS3_l
		.amdhsa_group_segment_fixed_size 0
		.amdhsa_private_segment_fixed_size 0
		.amdhsa_kernarg_size 88
		.amdhsa_user_sgpr_count 6
		.amdhsa_user_sgpr_private_segment_buffer 1
		.amdhsa_user_sgpr_dispatch_ptr 0
		.amdhsa_user_sgpr_queue_ptr 0
		.amdhsa_user_sgpr_kernarg_segment_ptr 1
		.amdhsa_user_sgpr_dispatch_id 0
		.amdhsa_user_sgpr_flat_scratch_init 0
		.amdhsa_user_sgpr_kernarg_preload_length 0
		.amdhsa_user_sgpr_kernarg_preload_offset 0
		.amdhsa_user_sgpr_private_segment_size 0
		.amdhsa_uses_dynamic_stack 0
		.amdhsa_system_sgpr_private_segment_wavefront_offset 0
		.amdhsa_system_sgpr_workgroup_id_x 1
		.amdhsa_system_sgpr_workgroup_id_y 1
		.amdhsa_system_sgpr_workgroup_id_z 1
		.amdhsa_system_sgpr_workgroup_info 0
		.amdhsa_system_vgpr_workitem_id 0
		.amdhsa_next_free_vgpr 22
		.amdhsa_next_free_sgpr 40
		.amdhsa_accum_offset 24
		.amdhsa_reserve_vcc 1
		.amdhsa_reserve_flat_scratch 0
		.amdhsa_float_round_mode_32 0
		.amdhsa_float_round_mode_16_64 0
		.amdhsa_float_denorm_mode_32 3
		.amdhsa_float_denorm_mode_16_64 3
		.amdhsa_dx10_clamp 1
		.amdhsa_ieee_mode 1
		.amdhsa_fp16_overflow 0
		.amdhsa_tg_split 0
		.amdhsa_exception_fp_ieee_invalid_op 0
		.amdhsa_exception_fp_denorm_src 0
		.amdhsa_exception_fp_ieee_div_zero 0
		.amdhsa_exception_fp_ieee_overflow 0
		.amdhsa_exception_fp_ieee_underflow 0
		.amdhsa_exception_fp_ieee_inexact 0
		.amdhsa_exception_int_div_zero 0
	.end_amdhsa_kernel
	.section	.text._ZN9rocsolver6v33100L16larf_left_kernelILi1024EfiPfEEvT1_S3_T2_lS3_lPKT0_lS4_lS3_l,"axG",@progbits,_ZN9rocsolver6v33100L16larf_left_kernelILi1024EfiPfEEvT1_S3_T2_lS3_lPKT0_lS4_lS3_l,comdat
.Lfunc_end27:
	.size	_ZN9rocsolver6v33100L16larf_left_kernelILi1024EfiPfEEvT1_S3_T2_lS3_lPKT0_lS4_lS3_l, .Lfunc_end27-_ZN9rocsolver6v33100L16larf_left_kernelILi1024EfiPfEEvT1_S3_T2_lS3_lPKT0_lS4_lS3_l
                                        ; -- End function
	.section	.AMDGPU.csdata,"",@progbits
; Kernel info:
; codeLenInByte = 1812
; NumSgprs: 44
; NumVgprs: 22
; NumAgprs: 0
; TotalNumVgprs: 22
; ScratchSize: 0
; MemoryBound: 0
; FloatMode: 240
; IeeeMode: 1
; LDSByteSize: 0 bytes/workgroup (compile time only)
; SGPRBlocks: 5
; VGPRBlocks: 2
; NumSGPRsForWavesPerEU: 44
; NumVGPRsForWavesPerEU: 22
; AccumOffset: 24
; Occupancy: 8
; WaveLimiterHint : 0
; COMPUTE_PGM_RSRC2:SCRATCH_EN: 0
; COMPUTE_PGM_RSRC2:USER_SGPR: 6
; COMPUTE_PGM_RSRC2:TRAP_HANDLER: 0
; COMPUTE_PGM_RSRC2:TGID_X_EN: 1
; COMPUTE_PGM_RSRC2:TGID_Y_EN: 1
; COMPUTE_PGM_RSRC2:TGID_Z_EN: 1
; COMPUTE_PGM_RSRC2:TIDIG_COMP_CNT: 0
; COMPUTE_PGM_RSRC3_GFX90A:ACCUM_OFFSET: 5
; COMPUTE_PGM_RSRC3_GFX90A:TG_SPLIT: 0
	.section	.text._ZN9rocsolver6v33100L17larf_right_kernelILi1024EfiPfEEvT1_S3_T2_lS3_lPKT0_lS4_lS3_l,"axG",@progbits,_ZN9rocsolver6v33100L17larf_right_kernelILi1024EfiPfEEvT1_S3_T2_lS3_lPKT0_lS4_lS3_l,comdat
	.globl	_ZN9rocsolver6v33100L17larf_right_kernelILi1024EfiPfEEvT1_S3_T2_lS3_lPKT0_lS4_lS3_l ; -- Begin function _ZN9rocsolver6v33100L17larf_right_kernelILi1024EfiPfEEvT1_S3_T2_lS3_lPKT0_lS4_lS3_l
	.p2align	8
	.type	_ZN9rocsolver6v33100L17larf_right_kernelILi1024EfiPfEEvT1_S3_T2_lS3_lPKT0_lS4_lS3_l,@function
_ZN9rocsolver6v33100L17larf_right_kernelILi1024EfiPfEEvT1_S3_T2_lS3_lPKT0_lS4_lS3_l: ; @_ZN9rocsolver6v33100L17larf_right_kernelILi1024EfiPfEEvT1_S3_T2_lS3_lPKT0_lS4_lS3_l
; %bb.0:
	s_load_dword s9, s[4:5], 0x4
	s_load_dwordx8 s[12:19], s[4:5], 0x20
	s_load_dwordx2 s[10:11], s[4:5], 0x40
	s_load_dword s2, s[4:5], 0x48
	s_load_dwordx2 s[0:1], s[4:5], 0x50
	s_ashr_i32 s38, s8, 31
	s_mov_b32 s6, s7
	s_ashr_i32 s7, s7, 31
	s_waitcnt lgkmcnt(0)
	v_cmp_gt_i32_e32 vcc, s9, v0
	v_mov_b32_e32 v1, 0
	s_mul_i32 s33, s0, s38
	s_mul_hi_u32 s36, s0, s8
	s_mul_i32 s37, s1, s8
	s_mul_i32 s24, s0, s8
	s_and_saveexec_b64 s[26:27], vcc
	s_cbranch_execz .LBB28_11
; %bb.1:
	s_load_dword s28, s[4:5], 0x18
	s_load_dwordx4 s[20:23], s[4:5], 0x8
	s_sub_i32 s0, 1, s9
	s_mul_i32 s3, s8, s13
	v_xad_u32 v2, v0, -1, s9
	s_waitcnt lgkmcnt(0)
	s_ashr_i32 s29, s28, 31
	s_mul_i32 s4, s0, s28
	v_cmp_lt_i64_e64 s[0:1], s[28:29], 1
	s_and_b64 s[0:1], s[0:1], exec
	s_mul_hi_u32 s0, s8, s12
	s_cselect_b32 s4, s4, 0
	s_add_i32 s0, s0, s3
	s_mul_i32 s1, s38, s12
	s_add_i32 s13, s0, s1
	s_movk_i32 s0, 0x3ff
	s_ashr_i32 s5, s4, 31
	s_mul_i32 s12, s8, s12
	v_cmp_lt_u32_e64 s[0:1], s0, v2
	s_mov_b64 s[34:35], -1
	v_mov_b32_e32 v1, v0
	s_and_saveexec_b64 s[30:31], s[0:1]
	s_cbranch_execz .LBB28_5
; %bb.2:
	s_lshl_b64 s[0:1], s[12:13], 2
	s_add_u32 s3, s20, s0
	s_addc_u32 s25, s21, s1
	s_lshl_b64 s[0:1], s[22:23], 2
	s_add_u32 s3, s3, s0
	s_addc_u32 s25, s25, s1
	s_lshl_b64 s[0:1], s[4:5], 2
	v_lshrrev_b32_e32 v1, 10, v2
	s_add_u32 s3, s3, s0
	v_add_u32_e32 v4, 1, v1
	s_addc_u32 s0, s25, s1
	v_and_b32_e32 v5, 0x7ffffe, v4
	v_or_b32_e32 v1, 0x400, v0
	v_lshlrev_b32_e32 v2, 2, v0
	s_mov_b32 s25, s28
	s_mov_b32 s39, s29
	v_add3_u32 v6, v2, 0, 64
	s_mov_b64 s[34:35], 0
	v_mov_b32_e32 v7, s0
	v_mov_b32_e32 v8, v5
	v_pk_mov_b32 v[2:3], v[0:1], v[0:1] op_sel:[0,1]
.LBB28_3:                               ; =>This Inner Loop Header: Depth=1
	v_mad_u64_u32 v[12:13], s[0:1], s28, v2, 0
	v_mov_b32_e32 v16, v13
	v_mad_u64_u32 v[10:11], s[0:1], s25, v3, 0
	v_mad_u64_u32 v[16:17], s[0:1], s29, v2, v[16:17]
	v_mov_b32_e32 v14, v11
	v_mov_b32_e32 v13, v16
	v_mad_u64_u32 v[14:15], s[0:1], s39, v3, v[14:15]
	v_lshlrev_b64 v[12:13], 2, v[12:13]
	v_mov_b32_e32 v11, v14
	v_add_co_u32_e64 v12, s[0:1], s3, v12
	v_lshlrev_b64 v[10:11], 2, v[10:11]
	v_addc_co_u32_e64 v13, s[0:1], v7, v13, s[0:1]
	v_add_co_u32_e64 v10, s[0:1], s3, v10
	v_addc_co_u32_e64 v11, s[0:1], v7, v11, s[0:1]
	global_load_dword v1, v[12:13], off
	global_load_dword v9, v[10:11], off
	v_add_u32_e32 v8, -2, v8
	v_cmp_eq_u32_e64 s[0:1], 0, v8
	v_add_u32_e32 v3, 0x800, v3
	v_add_u32_e32 v2, 0x800, v2
	s_or_b64 s[34:35], s[0:1], s[34:35]
	s_waitcnt vmcnt(0)
	ds_write2st64_b32 v6, v1, v9 offset1:16
	v_add_u32_e32 v6, 0x2000, v6
	s_andn2_b64 exec, exec, s[34:35]
	s_cbranch_execnz .LBB28_3
; %bb.4:
	s_or_b64 exec, exec, s[34:35]
	v_cmp_ne_u32_e64 s[0:1], v4, v5
	v_lshl_or_b32 v1, v5, 10, v0
	s_orn2_b64 s[34:35], s[0:1], exec
.LBB28_5:
	s_or_b64 exec, exec, s[30:31]
	s_and_saveexec_b64 s[30:31], s[34:35]
	s_cbranch_execz .LBB28_8
; %bb.6:
	v_lshlrev_b32_e32 v2, 2, v1
	v_add3_u32 v4, v2, 0, 64
	s_lshl_b64 s[0:1], s[12:13], 2
	v_mad_u64_u32 v[2:3], s[12:13], s28, v1, 0
	v_mov_b32_e32 v6, v3
	v_mad_u64_u32 v[6:7], s[12:13], s29, v1, v[6:7]
	s_lshl_b64 s[12:13], s[22:23], 2
	s_lshl_b64 s[4:5], s[4:5], 2
	s_add_u32 s3, s20, s4
	s_addc_u32 s4, s21, s5
	s_add_u32 s3, s3, s12
	s_addc_u32 s4, s4, s13
	v_mov_b32_e32 v3, v6
	s_add_u32 s0, s3, s0
	v_lshlrev_b64 v[2:3], 2, v[2:3]
	s_addc_u32 s1, s4, s1
	v_mov_b32_e32 v5, s1
	v_add_co_u32_e64 v2, s[0:1], s0, v2
	s_lshl_b64 s[4:5], s[28:29], 12
	v_addc_co_u32_e64 v3, s[0:1], v5, v3, s[0:1]
	s_mov_b64 s[12:13], 0
	v_mov_b32_e32 v5, s5
.LBB28_7:                               ; =>This Inner Loop Header: Depth=1
	global_load_dword v6, v[2:3], off
	v_add_co_u32_e64 v2, s[0:1], s4, v2
	v_add_u32_e32 v1, 0x400, v1
	v_addc_co_u32_e64 v3, s[0:1], v3, v5, s[0:1]
	v_cmp_le_i32_e64 s[0:1], s9, v1
	s_or_b64 s[12:13], s[0:1], s[12:13]
	s_waitcnt vmcnt(0)
	ds_write_b32 v4, v6
	v_add_u32_e32 v4, 0x1000, v4
	s_andn2_b64 exec, exec, s[12:13]
	s_cbranch_execnz .LBB28_7
.LBB28_8:
	s_or_b64 exec, exec, s[30:31]
	s_add_i32 s0, s36, s33
	s_add_i32 s25, s0, s37
	v_mad_i64_i32 v[2:3], s[4:5], s2, v0, 0
	s_ashr_i32 s3, s2, 31
	s_lshl_b64 s[0:1], s[24:25], 2
	s_lshl_b64 s[4:5], s[10:11], 2
	;; [unrolled: 1-line block ×3, first 2 shown]
	s_add_u32 s12, s18, s12
	s_addc_u32 s13, s19, s13
	s_add_u32 s4, s12, s4
	s_addc_u32 s5, s13, s5
	s_add_u32 s0, s4, s0
	v_lshlrev_b32_e32 v1, 2, v0
	v_lshlrev_b64 v[2:3], 2, v[2:3]
	s_addc_u32 s1, s5, s1
	v_add3_u32 v4, v1, 0, 64
	v_mov_b32_e32 v1, s1
	v_add_co_u32_e64 v2, s[0:1], s0, v2
	s_lshl_b64 s[12:13], s[2:3], 12
	v_addc_co_u32_e64 v3, s[0:1], v1, v3, s[0:1]
	s_mov_b64 s[4:5], 0
	v_mov_b32_e32 v1, 0
	v_mov_b32_e32 v5, s13
	;; [unrolled: 1-line block ×3, first 2 shown]
.LBB28_9:                               ; =>This Inner Loop Header: Depth=1
	global_load_dword v7, v[2:3], off
	ds_read_b32 v8, v4
	v_add_co_u32_e64 v2, s[0:1], s12, v2
	v_add_u32_e32 v6, 0x400, v6
	v_addc_co_u32_e64 v3, s[0:1], v3, v5, s[0:1]
	v_cmp_le_i32_e64 s[0:1], s9, v6
	v_add_u32_e32 v4, 0x1000, v4
	s_or_b64 s[4:5], s[0:1], s[4:5]
	s_waitcnt vmcnt(0) lgkmcnt(0)
	v_mul_f32_e32 v7, v7, v8
	v_add_f32_e32 v1, v1, v7
	s_andn2_b64 exec, exec, s[4:5]
	s_cbranch_execnz .LBB28_9
; %bb.10:
	s_or_b64 exec, exec, s[4:5]
.LBB28_11:
	s_or_b64 exec, exec, s[26:27]
	v_mbcnt_lo_u32_b32 v2, -1, 0
	v_mbcnt_hi_u32_b32 v2, -1, v2
	v_and_b32_e32 v3, 63, v2
	v_cmp_ne_u32_e64 s[0:1], 63, v3
	v_addc_co_u32_e64 v4, s[0:1], 0, v2, s[0:1]
	v_lshlrev_b32_e32 v4, 2, v4
	ds_bpermute_b32 v4, v4, v1
	v_cmp_gt_u32_e64 s[0:1], 62, v3
	v_cndmask_b32_e64 v5, 0, 1, s[0:1]
	v_cmp_gt_u32_e64 s[0:1], 60, v3
	s_waitcnt lgkmcnt(0)
	v_add_f32_e32 v1, v1, v4
	v_lshlrev_b32_e32 v4, 1, v5
	v_add_lshl_u32 v4, v4, v2, 2
	ds_bpermute_b32 v4, v4, v1
	v_cndmask_b32_e64 v5, 0, 1, s[0:1]
	v_cmp_gt_u32_e64 s[0:1], 56, v3
	s_waitcnt lgkmcnt(0)
	v_add_f32_e32 v1, v1, v4
	v_lshlrev_b32_e32 v4, 2, v5
	v_add_lshl_u32 v4, v4, v2, 2
	ds_bpermute_b32 v4, v4, v1
	;; [unrolled: 7-line block ×3, first 2 shown]
	v_cndmask_b32_e64 v5, 0, 1, s[0:1]
	v_cmp_gt_u32_e64 s[0:1], 32, v3
	v_cndmask_b32_e64 v3, 0, 1, s[0:1]
	v_lshlrev_b32_e32 v3, 5, v3
	s_waitcnt lgkmcnt(0)
	v_add_f32_e32 v1, v1, v4
	v_lshlrev_b32_e32 v4, 4, v5
	v_add_lshl_u32 v4, v4, v2, 2
	ds_bpermute_b32 v4, v4, v1
	v_add_lshl_u32 v2, v3, v2, 2
	v_and_b32_e32 v3, 63, v0
	v_cmp_eq_u32_e64 s[0:1], 0, v3
	s_waitcnt lgkmcnt(0)
	v_add_f32_e32 v1, v1, v4
	ds_bpermute_b32 v2, v2, v1
	s_waitcnt lgkmcnt(0)
	v_add_f32_e32 v1, v1, v2
	s_and_saveexec_b64 s[4:5], s[0:1]
	s_cbranch_execz .LBB28_13
; %bb.12:
	v_lshrrev_b32_e32 v2, 4, v0
	v_add_u32_e32 v2, 0, v2
	ds_write_b32 v2, v1
.LBB28_13:
	s_or_b64 exec, exec, s[4:5]
	v_cmp_eq_u32_e64 s[0:1], 0, v0
	s_waitcnt lgkmcnt(0)
	s_barrier
	s_and_saveexec_b64 s[4:5], s[0:1]
	s_cbranch_execz .LBB28_15
; %bb.14:
	v_mov_b32_e32 v10, 0
	ds_read2_b32 v[2:3], v10 offset0:1 offset1:2
	ds_read2_b32 v[4:5], v10 offset0:3 offset1:4
	;; [unrolled: 1-line block ×4, first 2 shown]
	s_waitcnt lgkmcnt(3)
	v_add_f32_e32 v1, v1, v2
	v_add_f32_e32 v1, v1, v3
	s_waitcnt lgkmcnt(2)
	v_add_f32_e32 v1, v1, v4
	v_add_f32_e32 v1, v1, v5
	ds_read2_b32 v[2:3], v10 offset0:9 offset1:10
	s_waitcnt lgkmcnt(2)
	v_add_f32_e32 v1, v1, v6
	v_add_f32_e32 v1, v1, v7
	s_waitcnt lgkmcnt(1)
	v_add_f32_e32 v1, v1, v8
	v_add_f32_e32 v1, v1, v9
	ds_read2_b32 v[4:5], v10 offset0:11 offset1:12
	ds_read2_b32 v[6:7], v10 offset0:13 offset1:14
	ds_read_b32 v8, v10 offset:60
	s_waitcnt lgkmcnt(3)
	v_add_f32_e32 v1, v1, v2
	v_add_f32_e32 v1, v1, v3
	s_waitcnt lgkmcnt(2)
	v_add_f32_e32 v1, v1, v4
	v_add_f32_e32 v1, v1, v5
	;; [unrolled: 3-line block ×3, first 2 shown]
	s_waitcnt lgkmcnt(0)
	v_add_f32_e32 v1, v1, v8
	ds_write_b32 v10, v1
.LBB28_15:
	s_or_b64 exec, exec, s[4:5]
	s_waitcnt lgkmcnt(0)
	s_barrier
	s_and_saveexec_b64 s[0:1], vcc
	s_cbranch_execz .LBB28_18
; %bb.16:
	s_mul_i32 s0, s8, s17
	s_mul_hi_u32 s1, s8, s16
	s_add_i32 s0, s1, s0
	s_mul_i32 s1, s38, s16
	s_add_i32 s1, s0, s1
	s_mul_i32 s0, s8, s16
	s_lshl_b64 s[0:1], s[0:1], 2
	s_add_u32 s0, s14, s0
	s_addc_u32 s1, s15, s1
	v_mov_b32_e32 v1, 0
	s_load_dword s0, s[0:1], 0x0
	ds_read_b32 v1, v1
	v_lshlrev_b32_e32 v2, 2, v0
	v_add3_u32 v4, v2, 0, 64
	v_mad_i64_i32 v[2:3], s[4:5], s2, v0, 0
	s_waitcnt lgkmcnt(0)
	v_mul_f32_e64 v1, v1, -s0
	s_add_i32 s0, s36, s33
	s_add_i32 s25, s0, s37
	s_ashr_i32 s3, s2, 31
	s_lshl_b64 s[0:1], s[24:25], 2
	s_lshl_b64 s[4:5], s[10:11], 2
	;; [unrolled: 1-line block ×3, first 2 shown]
	s_add_u32 s6, s18, s6
	s_addc_u32 s7, s19, s7
	s_add_u32 s4, s6, s4
	s_addc_u32 s5, s7, s5
	s_add_u32 s0, s4, s0
	v_lshlrev_b64 v[2:3], 2, v[2:3]
	s_addc_u32 s1, s5, s1
	v_mov_b32_e32 v5, s1
	v_add_co_u32_e32 v2, vcc, s0, v2
	s_lshl_b64 s[0:1], s[2:3], 12
	v_addc_co_u32_e32 v3, vcc, v5, v3, vcc
	s_mov_b64 s[2:3], 0
	v_mov_b32_e32 v5, s1
.LBB28_17:                              ; =>This Inner Loop Header: Depth=1
	global_load_dword v6, v[2:3], off
	ds_read_b32 v7, v4
	v_add_u32_e32 v0, 0x400, v0
	v_cmp_le_i32_e32 vcc, s9, v0
	s_or_b64 s[2:3], vcc, s[2:3]
	v_add_u32_e32 v4, 0x1000, v4
	s_waitcnt vmcnt(0) lgkmcnt(0)
	v_fmac_f32_e32 v6, v1, v7
	global_store_dword v[2:3], v6, off
	v_add_co_u32_e32 v2, vcc, s0, v2
	v_addc_co_u32_e32 v3, vcc, v3, v5, vcc
	s_andn2_b64 exec, exec, s[2:3]
	s_cbranch_execnz .LBB28_17
.LBB28_18:
	s_endpgm
	.section	.rodata,"a",@progbits
	.p2align	6, 0x0
	.amdhsa_kernel _ZN9rocsolver6v33100L17larf_right_kernelILi1024EfiPfEEvT1_S3_T2_lS3_lPKT0_lS4_lS3_l
		.amdhsa_group_segment_fixed_size 0
		.amdhsa_private_segment_fixed_size 0
		.amdhsa_kernarg_size 88
		.amdhsa_user_sgpr_count 6
		.amdhsa_user_sgpr_private_segment_buffer 1
		.amdhsa_user_sgpr_dispatch_ptr 0
		.amdhsa_user_sgpr_queue_ptr 0
		.amdhsa_user_sgpr_kernarg_segment_ptr 1
		.amdhsa_user_sgpr_dispatch_id 0
		.amdhsa_user_sgpr_flat_scratch_init 0
		.amdhsa_user_sgpr_kernarg_preload_length 0
		.amdhsa_user_sgpr_kernarg_preload_offset 0
		.amdhsa_user_sgpr_private_segment_size 0
		.amdhsa_uses_dynamic_stack 0
		.amdhsa_system_sgpr_private_segment_wavefront_offset 0
		.amdhsa_system_sgpr_workgroup_id_x 1
		.amdhsa_system_sgpr_workgroup_id_y 1
		.amdhsa_system_sgpr_workgroup_id_z 1
		.amdhsa_system_sgpr_workgroup_info 0
		.amdhsa_system_vgpr_workitem_id 0
		.amdhsa_next_free_vgpr 18
		.amdhsa_next_free_sgpr 40
		.amdhsa_accum_offset 20
		.amdhsa_reserve_vcc 1
		.amdhsa_reserve_flat_scratch 0
		.amdhsa_float_round_mode_32 0
		.amdhsa_float_round_mode_16_64 0
		.amdhsa_float_denorm_mode_32 3
		.amdhsa_float_denorm_mode_16_64 3
		.amdhsa_dx10_clamp 1
		.amdhsa_ieee_mode 1
		.amdhsa_fp16_overflow 0
		.amdhsa_tg_split 0
		.amdhsa_exception_fp_ieee_invalid_op 0
		.amdhsa_exception_fp_denorm_src 0
		.amdhsa_exception_fp_ieee_div_zero 0
		.amdhsa_exception_fp_ieee_overflow 0
		.amdhsa_exception_fp_ieee_underflow 0
		.amdhsa_exception_fp_ieee_inexact 0
		.amdhsa_exception_int_div_zero 0
	.end_amdhsa_kernel
	.section	.text._ZN9rocsolver6v33100L17larf_right_kernelILi1024EfiPfEEvT1_S3_T2_lS3_lPKT0_lS4_lS3_l,"axG",@progbits,_ZN9rocsolver6v33100L17larf_right_kernelILi1024EfiPfEEvT1_S3_T2_lS3_lPKT0_lS4_lS3_l,comdat
.Lfunc_end28:
	.size	_ZN9rocsolver6v33100L17larf_right_kernelILi1024EfiPfEEvT1_S3_T2_lS3_lPKT0_lS4_lS3_l, .Lfunc_end28-_ZN9rocsolver6v33100L17larf_right_kernelILi1024EfiPfEEvT1_S3_T2_lS3_lPKT0_lS4_lS3_l
                                        ; -- End function
	.section	.AMDGPU.csdata,"",@progbits
; Kernel info:
; codeLenInByte = 1672
; NumSgprs: 44
; NumVgprs: 18
; NumAgprs: 0
; TotalNumVgprs: 18
; ScratchSize: 0
; MemoryBound: 0
; FloatMode: 240
; IeeeMode: 1
; LDSByteSize: 0 bytes/workgroup (compile time only)
; SGPRBlocks: 5
; VGPRBlocks: 2
; NumSGPRsForWavesPerEU: 44
; NumVGPRsForWavesPerEU: 18
; AccumOffset: 20
; Occupancy: 8
; WaveLimiterHint : 0
; COMPUTE_PGM_RSRC2:SCRATCH_EN: 0
; COMPUTE_PGM_RSRC2:USER_SGPR: 6
; COMPUTE_PGM_RSRC2:TRAP_HANDLER: 0
; COMPUTE_PGM_RSRC2:TGID_X_EN: 1
; COMPUTE_PGM_RSRC2:TGID_Y_EN: 1
; COMPUTE_PGM_RSRC2:TGID_Z_EN: 1
; COMPUTE_PGM_RSRC2:TIDIG_COMP_CNT: 0
; COMPUTE_PGM_RSRC3_GFX90A:ACCUM_OFFSET: 4
; COMPUTE_PGM_RSRC3_GFX90A:TG_SPLIT: 0
	.section	.text._ZN9rocsolver6v33100L12restore_diagIfifPfEEvPT1_llT2_lT0_lS6_,"axG",@progbits,_ZN9rocsolver6v33100L12restore_diagIfifPfEEvPT1_llT2_lT0_lS6_,comdat
	.globl	_ZN9rocsolver6v33100L12restore_diagIfifPfEEvPT1_llT2_lT0_lS6_ ; -- Begin function _ZN9rocsolver6v33100L12restore_diagIfifPfEEvPT1_llT2_lT0_lS6_
	.p2align	8
	.type	_ZN9rocsolver6v33100L12restore_diagIfifPfEEvPT1_llT2_lT0_lS6_,@function
_ZN9rocsolver6v33100L12restore_diagIfifPfEEvPT1_llT2_lT0_lS6_: ; @_ZN9rocsolver6v33100L12restore_diagIfifPfEEvPT1_llT2_lT0_lS6_
; %bb.0:
	s_load_dword s0, s[4:5], 0x4c
	s_load_dword s1, s[4:5], 0x38
	v_bfe_u32 v0, v0, 10, 10
	s_waitcnt lgkmcnt(0)
	s_lshr_b32 s0, s0, 16
	s_mul_i32 s7, s7, s0
	v_add_u32_e32 v0, s7, v0
	v_cmp_gt_i32_e32 vcc, s1, v0
	s_and_saveexec_b64 s[0:1], vcc
	s_cbranch_execz .LBB29_2
; %bb.1:
	s_load_dwordx2 s[0:1], s[4:5], 0x30
	s_load_dwordx2 s[2:3], s[4:5], 0x20
	s_load_dword s7, s[4:5], 0x28
	s_load_dwordx8 s[8:15], s[4:5], 0x0
	s_ashr_i32 s4, s6, 31
	s_waitcnt lgkmcnt(0)
	s_mul_i32 s1, s6, s1
	s_mul_hi_u32 s5, s6, s0
	s_add_i32 s1, s5, s1
	s_mul_i32 s5, s4, s0
	s_add_i32 s1, s1, s5
	s_mul_i32 s0, s6, s0
	s_lshl_b64 s[0:1], s[0:1], 2
	s_add_u32 s5, s14, s0
	s_addc_u32 s14, s15, s1
	s_lshl_b64 s[0:1], s[2:3], 2
	s_add_u32 s2, s5, s0
	s_addc_u32 s3, s14, s1
	s_mul_i32 s0, s6, s13
	s_mul_hi_u32 s1, s6, s12
	s_add_i32 s0, s1, s0
	s_mul_i32 s4, s4, s12
	s_add_i32 s1, s0, s4
	s_mul_i32 s0, s6, s12
	s_lshl_b64 s[0:1], s[0:1], 2
	s_add_u32 s4, s8, s0
	s_addc_u32 s5, s9, s1
	s_lshl_b64 s[0:1], s[10:11], 2
	s_add_u32 s4, s4, s0
	s_addc_u32 s5, s5, s1
	v_mad_u64_u32 v[2:3], s[0:1], v0, s7, v[0:1]
	v_ashrrev_i32_e32 v1, 31, v0
	v_lshlrev_b64 v[0:1], 2, v[0:1]
	v_mov_b32_e32 v3, s5
	v_add_co_u32_e32 v0, vcc, s4, v0
	v_addc_co_u32_e32 v1, vcc, v3, v1, vcc
	global_load_dword v4, v[0:1], off
	v_ashrrev_i32_e32 v3, 31, v2
	v_lshlrev_b64 v[0:1], 2, v[2:3]
	v_mov_b32_e32 v2, s3
	v_add_co_u32_e32 v0, vcc, s2, v0
	v_addc_co_u32_e32 v1, vcc, v2, v1, vcc
	s_waitcnt vmcnt(0)
	global_store_dword v[0:1], v4, off
.LBB29_2:
	s_endpgm
	.section	.rodata,"a",@progbits
	.p2align	6, 0x0
	.amdhsa_kernel _ZN9rocsolver6v33100L12restore_diagIfifPfEEvPT1_llT2_lT0_lS6_
		.amdhsa_group_segment_fixed_size 0
		.amdhsa_private_segment_fixed_size 0
		.amdhsa_kernarg_size 320
		.amdhsa_user_sgpr_count 6
		.amdhsa_user_sgpr_private_segment_buffer 1
		.amdhsa_user_sgpr_dispatch_ptr 0
		.amdhsa_user_sgpr_queue_ptr 0
		.amdhsa_user_sgpr_kernarg_segment_ptr 1
		.amdhsa_user_sgpr_dispatch_id 0
		.amdhsa_user_sgpr_flat_scratch_init 0
		.amdhsa_user_sgpr_kernarg_preload_length 0
		.amdhsa_user_sgpr_kernarg_preload_offset 0
		.amdhsa_user_sgpr_private_segment_size 0
		.amdhsa_uses_dynamic_stack 0
		.amdhsa_system_sgpr_private_segment_wavefront_offset 0
		.amdhsa_system_sgpr_workgroup_id_x 1
		.amdhsa_system_sgpr_workgroup_id_y 1
		.amdhsa_system_sgpr_workgroup_id_z 0
		.amdhsa_system_sgpr_workgroup_info 0
		.amdhsa_system_vgpr_workitem_id 1
		.amdhsa_next_free_vgpr 5
		.amdhsa_next_free_sgpr 16
		.amdhsa_accum_offset 8
		.amdhsa_reserve_vcc 1
		.amdhsa_reserve_flat_scratch 0
		.amdhsa_float_round_mode_32 0
		.amdhsa_float_round_mode_16_64 0
		.amdhsa_float_denorm_mode_32 3
		.amdhsa_float_denorm_mode_16_64 3
		.amdhsa_dx10_clamp 1
		.amdhsa_ieee_mode 1
		.amdhsa_fp16_overflow 0
		.amdhsa_tg_split 0
		.amdhsa_exception_fp_ieee_invalid_op 0
		.amdhsa_exception_fp_denorm_src 0
		.amdhsa_exception_fp_ieee_div_zero 0
		.amdhsa_exception_fp_ieee_overflow 0
		.amdhsa_exception_fp_ieee_underflow 0
		.amdhsa_exception_fp_ieee_inexact 0
		.amdhsa_exception_int_div_zero 0
	.end_amdhsa_kernel
	.section	.text._ZN9rocsolver6v33100L12restore_diagIfifPfEEvPT1_llT2_lT0_lS6_,"axG",@progbits,_ZN9rocsolver6v33100L12restore_diagIfifPfEEvPT1_llT2_lT0_lS6_,comdat
.Lfunc_end29:
	.size	_ZN9rocsolver6v33100L12restore_diagIfifPfEEvPT1_llT2_lT0_lS6_, .Lfunc_end29-_ZN9rocsolver6v33100L12restore_diagIfifPfEEvPT1_llT2_lT0_lS6_
                                        ; -- End function
	.section	.AMDGPU.csdata,"",@progbits
; Kernel info:
; codeLenInByte = 268
; NumSgprs: 20
; NumVgprs: 5
; NumAgprs: 0
; TotalNumVgprs: 5
; ScratchSize: 0
; MemoryBound: 0
; FloatMode: 240
; IeeeMode: 1
; LDSByteSize: 0 bytes/workgroup (compile time only)
; SGPRBlocks: 2
; VGPRBlocks: 0
; NumSGPRsForWavesPerEU: 20
; NumVGPRsForWavesPerEU: 5
; AccumOffset: 8
; Occupancy: 8
; WaveLimiterHint : 0
; COMPUTE_PGM_RSRC2:SCRATCH_EN: 0
; COMPUTE_PGM_RSRC2:USER_SGPR: 6
; COMPUTE_PGM_RSRC2:TRAP_HANDLER: 0
; COMPUTE_PGM_RSRC2:TGID_X_EN: 1
; COMPUTE_PGM_RSRC2:TGID_Y_EN: 1
; COMPUTE_PGM_RSRC2:TGID_Z_EN: 0
; COMPUTE_PGM_RSRC2:TIDIG_COMP_CNT: 1
; COMPUTE_PGM_RSRC3_GFX90A:ACCUM_OFFSET: 1
; COMPUTE_PGM_RSRC3_GFX90A:TG_SPLIT: 0
	.section	.text._ZN9rocsolver6v33100L14set_triangularIfPfTnNSt9enable_ifIXnt18rocblas_is_complexIT_EEiE4typeELi0EEEviiT0_iilPS4_lS8_il15rocblas_direct_15rocblas_storev_b,"axG",@progbits,_ZN9rocsolver6v33100L14set_triangularIfPfTnNSt9enable_ifIXnt18rocblas_is_complexIT_EEiE4typeELi0EEEviiT0_iilPS4_lS8_il15rocblas_direct_15rocblas_storev_b,comdat
	.globl	_ZN9rocsolver6v33100L14set_triangularIfPfTnNSt9enable_ifIXnt18rocblas_is_complexIT_EEiE4typeELi0EEEviiT0_iilPS4_lS8_il15rocblas_direct_15rocblas_storev_b ; -- Begin function _ZN9rocsolver6v33100L14set_triangularIfPfTnNSt9enable_ifIXnt18rocblas_is_complexIT_EEiE4typeELi0EEEviiT0_iilPS4_lS8_il15rocblas_direct_15rocblas_storev_b
	.p2align	8
	.type	_ZN9rocsolver6v33100L14set_triangularIfPfTnNSt9enable_ifIXnt18rocblas_is_complexIT_EEiE4typeELi0EEEviiT0_iilPS4_lS8_il15rocblas_direct_15rocblas_storev_b,@function
_ZN9rocsolver6v33100L14set_triangularIfPfTnNSt9enable_ifIXnt18rocblas_is_complexIT_EEiE4typeELi0EEEviiT0_iilPS4_lS8_il15rocblas_direct_15rocblas_storev_b: ; @_ZN9rocsolver6v33100L14set_triangularIfPfTnNSt9enable_ifIXnt18rocblas_is_complexIT_EEiE4typeELi0EEEviiT0_iilPS4_lS8_il15rocblas_direct_15rocblas_storev_b
; %bb.0:
	s_load_dword s0, s[4:5], 0x64
	s_load_dwordx2 s[20:21], s[4:5], 0x0
	v_and_b32_e32 v1, 0x3ff, v0
	v_bfe_u32 v0, v0, 10, 10
	s_waitcnt lgkmcnt(0)
	s_lshr_b32 s1, s0, 16
	s_and_b32 s0, s0, 0xffff
	s_mul_i32 s6, s6, s0
	s_mul_i32 s7, s7, s1
	v_add_u32_e32 v2, s6, v1
	v_add_u32_e32 v0, s7, v0
	v_max_u32_e32 v1, v2, v0
	v_cmp_gt_u32_e32 vcc, s21, v1
	s_and_saveexec_b64 s[0:1], vcc
	s_cbranch_execz .LBB30_36
; %bb.1:
	s_load_dwordx8 s[12:19], s[4:5], 0x18
	s_load_dword s22, s[4:5], 0x38
	s_load_dwordx2 s[0:1], s[4:5], 0x40
	v_cmp_ne_u32_e32 vcc, v0, v2
	s_waitcnt lgkmcnt(0)
	s_mul_i32 s3, s8, s17
	s_mul_hi_u32 s6, s8, s16
	s_mul_i32 s2, s8, s16
	s_add_i32 s3, s6, s3
	s_lshl_b64 s[2:3], s[2:3], 2
	s_add_u32 s16, s14, s2
	s_mul_i32 s1, s8, s1
	s_mul_hi_u32 s2, s8, s0
	s_addc_u32 s17, s15, s3
	s_add_i32 s1, s2, s1
	s_mul_i32 s0, s8, s0
	s_lshl_b64 s[0:1], s[0:1], 2
	s_add_u32 s14, s18, s0
	s_addc_u32 s15, s19, s1
	s_and_saveexec_b64 s[0:1], vcc
	s_xor_b64 s[10:11], exec, s[0:1]
	s_cbranch_execz .LBB30_34
; %bb.2:
	s_load_dwordx4 s[0:3], s[4:5], 0x8
	s_mul_i32 s9, s8, s13
	s_mul_hi_u32 s13, s8, s12
	s_add_i32 s9, s13, s9
	s_mul_i32 s8, s8, s12
	s_load_dwordx4 s[4:7], s[4:5], 0x48
	s_waitcnt lgkmcnt(0)
	s_ashr_i32 s19, s2, 31
	s_lshl_b64 s[8:9], s[8:9], 2
	s_mov_b32 s18, s2
	s_add_u32 s2, s0, s8
	s_addc_u32 s7, s1, s9
	s_lshl_b64 s[0:1], s[18:19], 2
	s_add_u32 s2, s2, s0
	s_addc_u32 s12, s7, s1
	s_bitcmp1_b32 s6, 0
	s_cselect_b64 s[0:1], -1, 0
	s_xor_b64 s[0:1], s[0:1], -1
	s_mov_b64 s[6:7], -1
	s_cmpk_lg_i32 s4, 0xab
	v_mov_b32_e32 v3, 0
	s_cbranch_scc0 .LBB30_18
; %bb.3:
	v_cmp_le_u32_e32 vcc, v0, v2
	s_and_saveexec_b64 s[6:7], vcc
	s_xor_b64 s[6:7], exec, s[6:7]
	s_cbranch_execz .LBB30_5
; %bb.4:
	v_mad_u64_u32 v[4:5], s[8:9], v2, s22, 0
	s_ashr_i32 s4, s22, 31
	v_mov_b32_e32 v6, v5
	v_mad_u64_u32 v[6:7], s[8:9], v2, s4, v[6:7]
	v_mov_b32_e32 v5, v6
	v_lshlrev_b64 v[4:5], 2, v[4:5]
	v_mov_b32_e32 v1, 0
	v_mov_b32_e32 v6, s15
	v_add_co_u32_e32 v7, vcc, s14, v4
	v_addc_co_u32_e32 v6, vcc, v6, v5, vcc
	v_lshlrev_b64 v[4:5], 2, v[0:1]
	v_add_co_u32_e32 v4, vcc, v7, v4
	v_addc_co_u32_e32 v5, vcc, v6, v5, vcc
	global_store_dword v[4:5], v1, off
.LBB30_5:
	s_andn2_saveexec_b64 s[6:7], s[6:7]
	s_cbranch_execz .LBB30_17
; %bb.6:
	v_lshlrev_b64 v[4:5], 2, v[2:3]
	v_mov_b32_e32 v1, s17
	v_add_co_u32_e32 v4, vcc, s16, v4
	v_addc_co_u32_e32 v5, vcc, v1, v5, vcc
	global_load_dword v6, v[4:5], off
	s_cmpk_lg_i32 s5, 0xb5
	s_mov_b64 s[8:9], -1
	s_cbranch_scc0 .LBB30_12
; %bb.7:
	v_mov_b32_e32 v1, 0
	s_andn2_b64 vcc, exec, s[0:1]
	v_lshlrev_b64 v[4:5], 2, v[0:1]
	s_cbranch_vccnz .LBB30_9
; %bb.8:
	s_sub_i32 s4, s20, s21
	v_add_u32_e32 v1, s4, v2
	v_mad_u64_u32 v[8:9], s[8:9], v1, s3, 0
	s_ashr_i32 s4, s3, 31
	v_mov_b32_e32 v10, v9
	v_mad_u64_u32 v[10:11], s[8:9], v1, s4, v[10:11]
	v_mov_b32_e32 v9, v10
	v_lshlrev_b64 v[8:9], 2, v[8:9]
	v_mov_b32_e32 v1, s12
	v_add_co_u32_e32 v7, vcc, s2, v8
	v_addc_co_u32_e32 v1, vcc, v1, v9, vcc
	v_add_co_u32_e32 v8, vcc, v7, v4
	v_addc_co_u32_e32 v9, vcc, v1, v5, vcc
	global_load_dword v1, v[8:9], off
	v_mad_u64_u32 v[8:9], s[8:9], v2, s22, 0
	s_ashr_i32 s4, s22, 31
	v_mov_b32_e32 v10, v9
	v_mad_u64_u32 v[10:11], s[8:9], v2, s4, v[10:11]
	v_mov_b32_e32 v9, v10
	v_lshlrev_b64 v[8:9], 2, v[8:9]
	v_mov_b32_e32 v7, s15
	v_add_co_u32_e32 v8, vcc, s14, v8
	v_addc_co_u32_e32 v7, vcc, v7, v9, vcc
	v_add_co_u32_e32 v8, vcc, v8, v4
	v_addc_co_u32_e32 v9, vcc, v7, v5, vcc
	s_mov_b64 s[8:9], 0
	s_waitcnt vmcnt(0)
	v_mul_f32_e64 v1, v1, -v6
	global_store_dword v[8:9], v1, off
.LBB30_9:
	s_andn2_b64 vcc, exec, s[8:9]
	s_cbranch_vccnz .LBB30_11
; %bb.10:
	v_mad_u64_u32 v[8:9], s[8:9], v2, s22, 0
	s_ashr_i32 s4, s22, 31
	v_mov_b32_e32 v10, v9
	v_mad_u64_u32 v[10:11], s[8:9], v2, s4, v[10:11]
	v_mov_b32_e32 v9, v10
	v_lshlrev_b64 v[8:9], 2, v[8:9]
	v_mov_b32_e32 v1, s15
	v_add_co_u32_e32 v7, vcc, s14, v8
	v_addc_co_u32_e32 v1, vcc, v1, v9, vcc
	s_sub_i32 s4, s20, s21
	v_add_co_u32_e32 v8, vcc, v7, v4
	v_add_u32_e32 v7, s4, v2
	v_mad_u64_u32 v[10:11], s[8:9], v7, s3, 0
	s_ashr_i32 s4, s3, 31
	v_mov_b32_e32 v12, v11
	v_mad_u64_u32 v[12:13], s[8:9], v7, s4, v[12:13]
	v_mov_b32_e32 v11, v12
	v_addc_co_u32_e32 v9, vcc, v1, v5, vcc
	v_lshlrev_b64 v[10:11], 2, v[10:11]
	v_mov_b32_e32 v7, s12
	v_add_co_u32_e32 v10, vcc, s2, v10
	v_addc_co_u32_e32 v7, vcc, v7, v11, vcc
	v_add_co_u32_e32 v4, vcc, v10, v4
	v_addc_co_u32_e32 v5, vcc, v7, v5, vcc
	global_load_dword v1, v[8:9], off
	s_nop 0
	global_load_dword v4, v[4:5], off
	s_waitcnt vmcnt(0)
	v_add_f32_e32 v1, v1, v4
	v_mul_f32_e64 v1, v1, -v6
	global_store_dword v[8:9], v1, off
.LBB30_11:
	s_mov_b64 s[8:9], 0
.LBB30_12:
	s_andn2_b64 vcc, exec, s[8:9]
	s_cbranch_vccnz .LBB30_17
; %bb.13:
	s_andn2_b64 vcc, exec, s[0:1]
	s_mov_b64 s[8:9], -1
	s_cbranch_vccnz .LBB30_15
; %bb.14:
	s_sub_i32 s4, s20, s21
	v_mad_u64_u32 v[8:9], s[8:9], v0, s3, 0
	v_add_u32_e32 v4, s4, v2
	s_ashr_i32 s4, s3, 31
	v_mov_b32_e32 v10, v9
	v_mad_u64_u32 v[10:11], s[8:9], v0, s4, v[10:11]
	v_mov_b32_e32 v9, v10
	v_lshlrev_b64 v[8:9], 2, v[8:9]
	v_mov_b32_e32 v5, 0
	v_mov_b32_e32 v1, s12
	v_add_co_u32_e32 v7, vcc, s2, v8
	v_addc_co_u32_e32 v1, vcc, v1, v9, vcc
	v_lshlrev_b64 v[8:9], 2, v[4:5]
	v_add_co_u32_e32 v8, vcc, v7, v8
	v_addc_co_u32_e32 v9, vcc, v1, v9, vcc
	global_load_dword v7, v[8:9], off
	v_mad_u64_u32 v[8:9], s[8:9], v2, s22, 0
	s_ashr_i32 s4, s22, 31
	v_mov_b32_e32 v4, v9
	v_mov_b32_e32 v1, v5
	v_mad_u64_u32 v[4:5], s[8:9], v2, s4, v[4:5]
	v_mov_b32_e32 v9, v4
	v_lshlrev_b64 v[4:5], 2, v[8:9]
	v_mov_b32_e32 v12, s15
	v_lshlrev_b64 v[10:11], 2, v[0:1]
	v_add_co_u32_e32 v1, vcc, s14, v4
	v_addc_co_u32_e32 v5, vcc, v12, v5, vcc
	v_add_co_u32_e32 v4, vcc, v1, v10
	v_addc_co_u32_e32 v5, vcc, v5, v11, vcc
	s_mov_b64 s[8:9], 0
	s_waitcnt vmcnt(0)
	v_mul_f32_e64 v1, v7, -v6
	global_store_dword v[4:5], v1, off
.LBB30_15:
	s_andn2_b64 vcc, exec, s[8:9]
	s_cbranch_vccnz .LBB30_17
; %bb.16:
	v_mad_u64_u32 v[4:5], s[8:9], v2, s22, 0
	s_ashr_i32 s4, s22, 31
	v_mov_b32_e32 v8, v5
	v_mad_u64_u32 v[8:9], s[8:9], v2, s4, v[8:9]
	v_mov_b32_e32 v5, v8
	v_lshlrev_b64 v[4:5], 2, v[4:5]
	v_mov_b32_e32 v1, 0
	v_mov_b32_e32 v7, s15
	v_add_co_u32_e32 v8, vcc, s14, v4
	v_addc_co_u32_e32 v7, vcc, v7, v5, vcc
	v_lshlrev_b64 v[4:5], 2, v[0:1]
	s_sub_i32 s4, s20, s21
	v_mad_u64_u32 v[10:11], s[8:9], v0, s3, 0
	v_add_co_u32_e32 v4, vcc, v8, v4
	v_add_u32_e32 v8, s4, v2
	s_ashr_i32 s4, s3, 31
	v_mov_b32_e32 v12, v11
	v_mad_u64_u32 v[12:13], s[8:9], v0, s4, v[12:13]
	v_mov_b32_e32 v11, v12
	v_addc_co_u32_e32 v5, vcc, v7, v5, vcc
	v_lshlrev_b64 v[10:11], 2, v[10:11]
	v_mov_b32_e32 v9, v1
	v_mov_b32_e32 v1, s12
	v_add_co_u32_e32 v10, vcc, s2, v10
	v_addc_co_u32_e32 v1, vcc, v1, v11, vcc
	v_lshlrev_b64 v[8:9], 2, v[8:9]
	v_add_co_u32_e32 v8, vcc, v10, v8
	v_addc_co_u32_e32 v9, vcc, v1, v9, vcc
	global_load_dword v7, v[4:5], off
	global_load_dword v1, v[8:9], off
	s_waitcnt vmcnt(0)
	v_add_f32_e32 v1, v7, v1
	v_mul_f32_e64 v1, v1, -v6
	global_store_dword v[4:5], v1, off
.LBB30_17:
	s_or_b64 exec, exec, s[6:7]
	s_mov_b64 s[6:7], 0
.LBB30_18:
	s_andn2_b64 vcc, exec, s[6:7]
	s_cbranch_vccnz .LBB30_34
; %bb.19:
	v_cmp_ge_u32_e32 vcc, v0, v2
	s_and_saveexec_b64 s[6:7], vcc
	s_xor_b64 s[6:7], exec, s[6:7]
	s_cbranch_execz .LBB30_21
; %bb.20:
	v_mad_u64_u32 v[4:5], s[8:9], v2, s22, 0
	s_ashr_i32 s4, s22, 31
	s_waitcnt vmcnt(0)
	v_mov_b32_e32 v6, v5
	v_mad_u64_u32 v[2:3], s[8:9], v2, s4, v[6:7]
	v_mov_b32_e32 v5, v2
	v_lshlrev_b64 v[2:3], 2, v[4:5]
	v_mov_b32_e32 v1, 0
	v_mov_b32_e32 v4, s15
	v_add_co_u32_e32 v5, vcc, s14, v2
	v_addc_co_u32_e32 v4, vcc, v4, v3, vcc
	v_lshlrev_b64 v[2:3], 2, v[0:1]
	v_add_co_u32_e32 v2, vcc, v5, v2
	v_addc_co_u32_e32 v3, vcc, v4, v3, vcc
	global_store_dword v[2:3], v1, off
                                        ; implicit-def: $vgpr2_vgpr3
                                        ; implicit-def: $vgpr0
.LBB30_21:
	s_andn2_saveexec_b64 s[6:7], s[6:7]
	s_cbranch_execz .LBB30_33
; %bb.22:
	v_lshlrev_b64 v[4:5], 2, v[2:3]
	v_mov_b32_e32 v1, s17
	s_waitcnt vmcnt(0)
	v_add_co_u32_e32 v6, vcc, s16, v4
	v_addc_co_u32_e32 v7, vcc, v1, v5, vcc
	global_load_dword v3, v[6:7], off
	v_cndmask_b32_e64 v6, 0, 1, s[0:1]
	s_cmpk_lg_i32 s5, 0xb5
	v_mov_b32_e32 v1, 0
	s_mov_b64 s[4:5], -1
	v_cmp_ne_u32_e64 s[0:1], 1, v6
	s_cbranch_scc0 .LBB30_28
; %bb.23:
	s_and_b64 vcc, exec, s[0:1]
	s_cbranch_vccnz .LBB30_25
; %bb.24:
	v_mad_u64_u32 v[6:7], s[4:5], v2, s3, 0
	s_ashr_i32 s8, s3, 31
	v_mov_b32_e32 v8, v7
	v_mad_u64_u32 v[8:9], s[4:5], v2, s8, v[8:9]
	v_mov_b32_e32 v7, v8
	v_lshlrev_b64 v[6:7], 2, v[6:7]
	v_mov_b32_e32 v8, s12
	v_add_co_u32_e32 v9, vcc, s2, v6
	v_addc_co_u32_e32 v10, vcc, v8, v7, vcc
	v_lshlrev_b64 v[6:7], 2, v[0:1]
	v_add_co_u32_e32 v8, vcc, v9, v6
	v_addc_co_u32_e32 v9, vcc, v10, v7, vcc
	global_load_dword v12, v[8:9], off
	v_mad_u64_u32 v[8:9], s[4:5], v2, s22, 0
	s_ashr_i32 s8, s22, 31
	v_mov_b32_e32 v10, v9
	v_mad_u64_u32 v[10:11], s[4:5], v2, s8, v[10:11]
	v_mov_b32_e32 v9, v10
	v_lshlrev_b64 v[8:9], 2, v[8:9]
	v_mov_b32_e32 v13, s15
	v_add_co_u32_e32 v8, vcc, s14, v8
	v_addc_co_u32_e32 v9, vcc, v13, v9, vcc
	v_add_co_u32_e32 v6, vcc, v8, v6
	v_addc_co_u32_e32 v7, vcc, v9, v7, vcc
	s_mov_b64 s[4:5], 0
	s_waitcnt vmcnt(0)
	v_mul_f32_e64 v8, v12, -v3
	global_store_dword v[6:7], v8, off
.LBB30_25:
	s_andn2_b64 vcc, exec, s[4:5]
	s_cbranch_vccnz .LBB30_27
; %bb.26:
	v_mad_u64_u32 v[6:7], s[4:5], v2, s22, 0
	s_ashr_i32 s8, s22, 31
	v_mov_b32_e32 v8, v7
	v_mad_u64_u32 v[8:9], s[4:5], v2, s8, v[8:9]
	v_mov_b32_e32 v7, v8
	v_lshlrev_b64 v[6:7], 2, v[6:7]
	v_mov_b32_e32 v8, s15
	v_add_co_u32_e32 v9, vcc, s14, v6
	v_addc_co_u32_e32 v10, vcc, v8, v7, vcc
	v_lshlrev_b64 v[6:7], 2, v[0:1]
	v_add_co_u32_e32 v8, vcc, v9, v6
	v_addc_co_u32_e32 v9, vcc, v10, v7, vcc
	v_mad_u64_u32 v[10:11], s[4:5], v2, s3, 0
	s_ashr_i32 s8, s3, 31
	v_mov_b32_e32 v12, v11
	v_mad_u64_u32 v[12:13], s[4:5], v2, s8, v[12:13]
	v_mov_b32_e32 v11, v12
	v_lshlrev_b64 v[10:11], 2, v[10:11]
	v_mov_b32_e32 v12, s12
	v_add_co_u32_e32 v10, vcc, s2, v10
	v_addc_co_u32_e32 v11, vcc, v12, v11, vcc
	v_add_co_u32_e32 v6, vcc, v10, v6
	v_addc_co_u32_e32 v7, vcc, v11, v7, vcc
	global_load_dword v14, v[8:9], off
	s_nop 0
	global_load_dword v6, v[6:7], off
	s_waitcnt vmcnt(0)
	v_add_f32_e32 v6, v14, v6
	v_mul_f32_e64 v6, v6, -v3
	global_store_dword v[8:9], v6, off
.LBB30_27:
	s_mov_b64 s[4:5], 0
.LBB30_28:
	s_andn2_b64 vcc, exec, s[4:5]
	s_cbranch_vccnz .LBB30_33
; %bb.29:
	s_mov_b64 s[4:5], -1
	s_and_b64 vcc, exec, s[0:1]
	v_lshlrev_b64 v[6:7], 2, v[0:1]
	s_cbranch_vccnz .LBB30_31
; %bb.30:
	v_mad_u64_u32 v[8:9], s[0:1], v0, s3, 0
	s_ashr_i32 s4, s3, 31
	v_mov_b32_e32 v10, v9
	v_mad_u64_u32 v[10:11], s[0:1], v0, s4, v[10:11]
	v_mov_b32_e32 v9, v10
	v_lshlrev_b64 v[8:9], 2, v[8:9]
	v_mov_b32_e32 v1, s12
	v_add_co_u32_e32 v8, vcc, s2, v8
	v_addc_co_u32_e32 v1, vcc, v1, v9, vcc
	v_add_co_u32_e32 v8, vcc, v8, v4
	v_addc_co_u32_e32 v9, vcc, v1, v5, vcc
	global_load_dword v1, v[8:9], off
	v_mad_u64_u32 v[8:9], s[0:1], v2, s22, 0
	s_ashr_i32 s4, s22, 31
	v_mov_b32_e32 v10, v9
	v_mad_u64_u32 v[10:11], s[0:1], v2, s4, v[10:11]
	v_mov_b32_e32 v9, v10
	v_lshlrev_b64 v[8:9], 2, v[8:9]
	v_mov_b32_e32 v12, s15
	v_add_co_u32_e32 v8, vcc, s14, v8
	v_addc_co_u32_e32 v9, vcc, v12, v9, vcc
	v_add_co_u32_e32 v8, vcc, v8, v6
	v_addc_co_u32_e32 v9, vcc, v9, v7, vcc
	s_mov_b64 s[4:5], 0
	s_waitcnt vmcnt(0)
	v_mul_f32_e64 v1, v1, -v3
	global_store_dword v[8:9], v1, off
.LBB30_31:
	s_andn2_b64 vcc, exec, s[4:5]
	s_cbranch_vccnz .LBB30_33
; %bb.32:
	v_mad_u64_u32 v[8:9], s[0:1], v2, s22, 0
	s_ashr_i32 s4, s22, 31
	v_mov_b32_e32 v10, v9
	v_mad_u64_u32 v[10:11], s[0:1], v2, s4, v[10:11]
	v_mov_b32_e32 v9, v10
	v_lshlrev_b64 v[8:9], 2, v[8:9]
	v_mov_b32_e32 v1, s15
	v_add_co_u32_e32 v2, vcc, s14, v8
	v_addc_co_u32_e32 v1, vcc, v1, v9, vcc
	v_mad_u64_u32 v[8:9], s[0:1], v0, s3, 0
	v_add_co_u32_e32 v6, vcc, v2, v6
	s_ashr_i32 s4, s3, 31
	v_mov_b32_e32 v2, v9
	v_addc_co_u32_e32 v7, vcc, v1, v7, vcc
	s_waitcnt vmcnt(0)
	v_mad_u64_u32 v[0:1], s[0:1], v0, s4, v[2:3]
	v_mov_b32_e32 v9, v0
	v_lshlrev_b64 v[0:1], 2, v[8:9]
	v_mov_b32_e32 v2, s12
	v_add_co_u32_e32 v0, vcc, s2, v0
	v_addc_co_u32_e32 v1, vcc, v2, v1, vcc
	v_add_co_u32_e32 v0, vcc, v0, v4
	v_addc_co_u32_e32 v1, vcc, v1, v5, vcc
	global_load_dword v10, v[6:7], off
	s_nop 0
	global_load_dword v0, v[0:1], off
	s_waitcnt vmcnt(0)
	v_add_f32_e32 v0, v10, v0
	v_mul_f32_e64 v0, v0, -v3
	global_store_dword v[6:7], v0, off
.LBB30_33:
	s_or_b64 exec, exec, s[6:7]
                                        ; implicit-def: $vgpr2
.LBB30_34:
	s_andn2_saveexec_b64 s[0:1], s[10:11]
	s_cbranch_execz .LBB30_36
; %bb.35:
	s_waitcnt vmcnt(0)
	v_mov_b32_e32 v3, 0
	v_lshlrev_b64 v[0:1], 2, v[2:3]
	v_mov_b32_e32 v3, s17
	v_add_co_u32_e32 v4, vcc, s16, v0
	v_addc_co_u32_e32 v5, vcc, v3, v1, vcc
	global_load_dword v7, v[4:5], off
	v_mad_u64_u32 v[4:5], s[0:1], v2, s22, 0
	s_ashr_i32 s2, s22, 31
	v_mov_b32_e32 v6, v5
	s_waitcnt vmcnt(0)
	v_mad_u64_u32 v[2:3], s[0:1], v2, s2, v[6:7]
	v_mov_b32_e32 v5, v2
	v_lshlrev_b64 v[2:3], 2, v[4:5]
	v_mov_b32_e32 v4, s15
	v_add_co_u32_e32 v2, vcc, s14, v2
	v_addc_co_u32_e32 v3, vcc, v4, v3, vcc
	v_add_co_u32_e32 v0, vcc, v2, v0
	v_addc_co_u32_e32 v1, vcc, v3, v1, vcc
	global_store_dword v[0:1], v7, off
.LBB30_36:
	s_endpgm
	.section	.rodata,"a",@progbits
	.p2align	6, 0x0
	.amdhsa_kernel _ZN9rocsolver6v33100L14set_triangularIfPfTnNSt9enable_ifIXnt18rocblas_is_complexIT_EEiE4typeELi0EEEviiT0_iilPS4_lS8_il15rocblas_direct_15rocblas_storev_b
		.amdhsa_group_segment_fixed_size 0
		.amdhsa_private_segment_fixed_size 0
		.amdhsa_kernarg_size 344
		.amdhsa_user_sgpr_count 6
		.amdhsa_user_sgpr_private_segment_buffer 1
		.amdhsa_user_sgpr_dispatch_ptr 0
		.amdhsa_user_sgpr_queue_ptr 0
		.amdhsa_user_sgpr_kernarg_segment_ptr 1
		.amdhsa_user_sgpr_dispatch_id 0
		.amdhsa_user_sgpr_flat_scratch_init 0
		.amdhsa_user_sgpr_kernarg_preload_length 0
		.amdhsa_user_sgpr_kernarg_preload_offset 0
		.amdhsa_user_sgpr_private_segment_size 0
		.amdhsa_uses_dynamic_stack 0
		.amdhsa_system_sgpr_private_segment_wavefront_offset 0
		.amdhsa_system_sgpr_workgroup_id_x 1
		.amdhsa_system_sgpr_workgroup_id_y 1
		.amdhsa_system_sgpr_workgroup_id_z 1
		.amdhsa_system_sgpr_workgroup_info 0
		.amdhsa_system_vgpr_workitem_id 1
		.amdhsa_next_free_vgpr 15
		.amdhsa_next_free_sgpr 23
		.amdhsa_accum_offset 16
		.amdhsa_reserve_vcc 1
		.amdhsa_reserve_flat_scratch 0
		.amdhsa_float_round_mode_32 0
		.amdhsa_float_round_mode_16_64 0
		.amdhsa_float_denorm_mode_32 3
		.amdhsa_float_denorm_mode_16_64 3
		.amdhsa_dx10_clamp 1
		.amdhsa_ieee_mode 1
		.amdhsa_fp16_overflow 0
		.amdhsa_tg_split 0
		.amdhsa_exception_fp_ieee_invalid_op 0
		.amdhsa_exception_fp_denorm_src 0
		.amdhsa_exception_fp_ieee_div_zero 0
		.amdhsa_exception_fp_ieee_overflow 0
		.amdhsa_exception_fp_ieee_underflow 0
		.amdhsa_exception_fp_ieee_inexact 0
		.amdhsa_exception_int_div_zero 0
	.end_amdhsa_kernel
	.section	.text._ZN9rocsolver6v33100L14set_triangularIfPfTnNSt9enable_ifIXnt18rocblas_is_complexIT_EEiE4typeELi0EEEviiT0_iilPS4_lS8_il15rocblas_direct_15rocblas_storev_b,"axG",@progbits,_ZN9rocsolver6v33100L14set_triangularIfPfTnNSt9enable_ifIXnt18rocblas_is_complexIT_EEiE4typeELi0EEEviiT0_iilPS4_lS8_il15rocblas_direct_15rocblas_storev_b,comdat
.Lfunc_end30:
	.size	_ZN9rocsolver6v33100L14set_triangularIfPfTnNSt9enable_ifIXnt18rocblas_is_complexIT_EEiE4typeELi0EEEviiT0_iilPS4_lS8_il15rocblas_direct_15rocblas_storev_b, .Lfunc_end30-_ZN9rocsolver6v33100L14set_triangularIfPfTnNSt9enable_ifIXnt18rocblas_is_complexIT_EEiE4typeELi0EEEviiT0_iilPS4_lS8_il15rocblas_direct_15rocblas_storev_b
                                        ; -- End function
	.section	.AMDGPU.csdata,"",@progbits
; Kernel info:
; codeLenInByte = 2132
; NumSgprs: 27
; NumVgprs: 15
; NumAgprs: 0
; TotalNumVgprs: 15
; ScratchSize: 0
; MemoryBound: 0
; FloatMode: 240
; IeeeMode: 1
; LDSByteSize: 0 bytes/workgroup (compile time only)
; SGPRBlocks: 3
; VGPRBlocks: 1
; NumSGPRsForWavesPerEU: 27
; NumVGPRsForWavesPerEU: 15
; AccumOffset: 16
; Occupancy: 8
; WaveLimiterHint : 0
; COMPUTE_PGM_RSRC2:SCRATCH_EN: 0
; COMPUTE_PGM_RSRC2:USER_SGPR: 6
; COMPUTE_PGM_RSRC2:TRAP_HANDLER: 0
; COMPUTE_PGM_RSRC2:TGID_X_EN: 1
; COMPUTE_PGM_RSRC2:TGID_Y_EN: 1
; COMPUTE_PGM_RSRC2:TGID_Z_EN: 1
; COMPUTE_PGM_RSRC2:TIDIG_COMP_CNT: 1
; COMPUTE_PGM_RSRC3_GFX90A:ACCUM_OFFSET: 3
; COMPUTE_PGM_RSRC3_GFX90A:TG_SPLIT: 0
	.section	.text._ZN9rocsolver6v33100L7set_tauIfEEviPT_l,"axG",@progbits,_ZN9rocsolver6v33100L7set_tauIfEEviPT_l,comdat
	.globl	_ZN9rocsolver6v33100L7set_tauIfEEviPT_l ; -- Begin function _ZN9rocsolver6v33100L7set_tauIfEEviPT_l
	.p2align	8
	.type	_ZN9rocsolver6v33100L7set_tauIfEEviPT_l,@function
_ZN9rocsolver6v33100L7set_tauIfEEviPT_l: ; @_ZN9rocsolver6v33100L7set_tauIfEEviPT_l
; %bb.0:
	s_load_dword s0, s[4:5], 0x24
	s_load_dword s1, s[4:5], 0x0
	s_waitcnt lgkmcnt(0)
	s_and_b32 s0, s0, 0xffff
	s_mul_i32 s6, s6, s0
	v_add_u32_e32 v0, s6, v0
	v_cmp_gt_u32_e32 vcc, s1, v0
	s_and_saveexec_b64 s[0:1], vcc
	s_cbranch_execz .LBB31_2
; %bb.1:
	s_load_dwordx4 s[0:3], s[4:5], 0x8
	v_mov_b32_e32 v1, 0
	v_lshlrev_b64 v[0:1], 2, v[0:1]
	s_waitcnt lgkmcnt(0)
	s_mul_i32 s3, s7, s3
	s_mul_hi_u32 s4, s7, s2
	s_mul_i32 s2, s7, s2
	s_add_i32 s3, s4, s3
	s_lshl_b64 s[2:3], s[2:3], 2
	s_add_u32 s0, s0, s2
	s_addc_u32 s1, s1, s3
	v_mov_b32_e32 v2, s1
	v_add_co_u32_e32 v0, vcc, s0, v0
	v_addc_co_u32_e32 v1, vcc, v2, v1, vcc
	global_load_dword v2, v[0:1], off
	s_waitcnt vmcnt(0)
	v_xor_b32_e32 v2, 0x80000000, v2
	global_store_dword v[0:1], v2, off
.LBB31_2:
	s_endpgm
	.section	.rodata,"a",@progbits
	.p2align	6, 0x0
	.amdhsa_kernel _ZN9rocsolver6v33100L7set_tauIfEEviPT_l
		.amdhsa_group_segment_fixed_size 0
		.amdhsa_private_segment_fixed_size 0
		.amdhsa_kernarg_size 280
		.amdhsa_user_sgpr_count 6
		.amdhsa_user_sgpr_private_segment_buffer 1
		.amdhsa_user_sgpr_dispatch_ptr 0
		.amdhsa_user_sgpr_queue_ptr 0
		.amdhsa_user_sgpr_kernarg_segment_ptr 1
		.amdhsa_user_sgpr_dispatch_id 0
		.amdhsa_user_sgpr_flat_scratch_init 0
		.amdhsa_user_sgpr_kernarg_preload_length 0
		.amdhsa_user_sgpr_kernarg_preload_offset 0
		.amdhsa_user_sgpr_private_segment_size 0
		.amdhsa_uses_dynamic_stack 0
		.amdhsa_system_sgpr_private_segment_wavefront_offset 0
		.amdhsa_system_sgpr_workgroup_id_x 1
		.amdhsa_system_sgpr_workgroup_id_y 1
		.amdhsa_system_sgpr_workgroup_id_z 0
		.amdhsa_system_sgpr_workgroup_info 0
		.amdhsa_system_vgpr_workitem_id 0
		.amdhsa_next_free_vgpr 3
		.amdhsa_next_free_sgpr 8
		.amdhsa_accum_offset 4
		.amdhsa_reserve_vcc 1
		.amdhsa_reserve_flat_scratch 0
		.amdhsa_float_round_mode_32 0
		.amdhsa_float_round_mode_16_64 0
		.amdhsa_float_denorm_mode_32 3
		.amdhsa_float_denorm_mode_16_64 3
		.amdhsa_dx10_clamp 1
		.amdhsa_ieee_mode 1
		.amdhsa_fp16_overflow 0
		.amdhsa_tg_split 0
		.amdhsa_exception_fp_ieee_invalid_op 0
		.amdhsa_exception_fp_denorm_src 0
		.amdhsa_exception_fp_ieee_div_zero 0
		.amdhsa_exception_fp_ieee_overflow 0
		.amdhsa_exception_fp_ieee_underflow 0
		.amdhsa_exception_fp_ieee_inexact 0
		.amdhsa_exception_int_div_zero 0
	.end_amdhsa_kernel
	.section	.text._ZN9rocsolver6v33100L7set_tauIfEEviPT_l,"axG",@progbits,_ZN9rocsolver6v33100L7set_tauIfEEviPT_l,comdat
.Lfunc_end31:
	.size	_ZN9rocsolver6v33100L7set_tauIfEEviPT_l, .Lfunc_end31-_ZN9rocsolver6v33100L7set_tauIfEEviPT_l
                                        ; -- End function
	.section	.AMDGPU.csdata,"",@progbits
; Kernel info:
; codeLenInByte = 144
; NumSgprs: 12
; NumVgprs: 3
; NumAgprs: 0
; TotalNumVgprs: 3
; ScratchSize: 0
; MemoryBound: 0
; FloatMode: 240
; IeeeMode: 1
; LDSByteSize: 0 bytes/workgroup (compile time only)
; SGPRBlocks: 1
; VGPRBlocks: 0
; NumSGPRsForWavesPerEU: 12
; NumVGPRsForWavesPerEU: 3
; AccumOffset: 4
; Occupancy: 8
; WaveLimiterHint : 0
; COMPUTE_PGM_RSRC2:SCRATCH_EN: 0
; COMPUTE_PGM_RSRC2:USER_SGPR: 6
; COMPUTE_PGM_RSRC2:TRAP_HANDLER: 0
; COMPUTE_PGM_RSRC2:TGID_X_EN: 1
; COMPUTE_PGM_RSRC2:TGID_Y_EN: 1
; COMPUTE_PGM_RSRC2:TGID_Z_EN: 0
; COMPUTE_PGM_RSRC2:TIDIG_COMP_CNT: 0
; COMPUTE_PGM_RSRC3_GFX90A:ACCUM_OFFSET: 0
; COMPUTE_PGM_RSRC3_GFX90A:TG_SPLIT: 0
	.section	.text._ZN9rocsolver6v33100L20larft_kernel_forwardIfPfEEv15rocblas_storev_iiT0_iilPT_lS6_il,"axG",@progbits,_ZN9rocsolver6v33100L20larft_kernel_forwardIfPfEEv15rocblas_storev_iiT0_iilPT_lS6_il,comdat
	.globl	_ZN9rocsolver6v33100L20larft_kernel_forwardIfPfEEv15rocblas_storev_iiT0_iilPT_lS6_il ; -- Begin function _ZN9rocsolver6v33100L20larft_kernel_forwardIfPfEEv15rocblas_storev_iiT0_iilPT_lS6_il
	.p2align	8
	.type	_ZN9rocsolver6v33100L20larft_kernel_forwardIfPfEEv15rocblas_storev_iiT0_iilPT_lS6_il,@function
_ZN9rocsolver6v33100L20larft_kernel_forwardIfPfEEv15rocblas_storev_iiT0_iilPT_lS6_il: ; @_ZN9rocsolver6v33100L20larft_kernel_forwardIfPfEEv15rocblas_storev_iiT0_iilPT_lS6_il
; %bb.0:
	s_load_dword s2, s[4:5], 0x5c
	s_load_dword s30, s[4:5], 0x40
	s_load_dwordx2 s[0:1], s[4:5], 0x48
	s_load_dwordx4 s[16:19], s[4:5], 0x0
	s_load_dwordx8 s[8:15], s[4:5], 0x20
	s_waitcnt lgkmcnt(0)
	s_and_b32 s19, s2, 0xffff
	s_ashr_i32 s6, s7, 31
	s_mul_i32 s1, s7, s1
	s_mul_hi_u32 s2, s7, s0
	s_add_i32 s1, s2, s1
	s_mul_i32 s2, s6, s0
	s_add_i32 s1, s1, s2
	s_mul_i32 s0, s7, s0
	s_lshl_b64 s[0:1], s[0:1], 2
	s_add_u32 s31, s14, s0
	s_addc_u32 s33, s15, s1
	s_lshl_b32 s34, s18, 2
	s_mov_b32 s36, 0
	s_add_i32 s35, s34, 0
	v_cmp_gt_i32_e64 s[0:1], s18, v0
	v_xad_u32 v1, v0, -1, s18
	v_lshlrev_b32_e32 v10, 1, v0
	v_sub_u32_e32 v11, s18, v0
	s_and_saveexec_b64 s[14:15], s[0:1]
	s_cbranch_execz .LBB32_12
; %bb.1:
	s_lshl_b32 s37, s19, 1
	s_cmp_lg_u32 s30, 1
	v_lshlrev_b32_e32 v3, 1, v0
	s_cselect_b64 s[2:3], -1, 0
	s_mov_b32 s38, s18
	v_sub_u32_e32 v12, s18, v0
	v_lshl_add_u32 v2, v0, 2, s35
	s_lshl_b32 s39, s19, 2
	s_mov_b64 s[20:21], 0
	s_xor_b64 s[22:23], s[2:3], -1
	v_mov_b32_e32 v13, v3
	v_mov_b32_e32 v4, v0
	s_branch .LBB32_3
.LBB32_2:                               ;   in Loop: Header=BB32_3 Depth=1
	s_or_b64 exec, exec, s[2:3]
	v_add_u32_e32 v4, s19, v4
	s_add_i32 s36, s36, 1
	v_cmp_le_i32_e32 vcc, s18, v4
	v_add_u32_e32 v13, s37, v13
	v_subrev_u32_e32 v12, s19, v12
	s_or_b64 s[20:21], vcc, s[20:21]
	v_add_u32_e32 v2, s39, v2
	s_andn2_b64 exec, exec, s[20:21]
	s_cbranch_execz .LBB32_12
.LBB32_3:                               ; =>This Loop Header: Depth=1
                                        ;     Child Loop BB32_6 Depth 2
                                        ;     Child Loop BB32_11 Depth 2
	s_mul_i32 s26, s36, s19
	v_add_u32_e32 v5, s26, v0
	v_sub_u32_e32 v14, s18, v5
	v_cmp_gt_u32_e32 vcc, 4, v14
	v_cmp_lt_u32_e64 s[2:3], 3, v14
	v_mov_b32_e32 v5, v4
	s_and_saveexec_b64 s[24:25], s[2:3]
	s_cbranch_execz .LBB32_9
; %bb.4:                                ;   in Loop: Header=BB32_3 Depth=1
	s_mul_i32 s2, s37, s36
	v_add_u32_e32 v5, s2, v3
	v_subrev_u32_e32 v6, s26, v1
	v_add_u32_e32 v6, v5, v6
	v_cmp_ge_i32_e64 s[2:3], v6, v5
	s_mov_b64 s[28:29], -1
	s_and_b64 s[2:3], s[22:23], s[2:3]
	v_mov_b32_e32 v5, v4
	s_and_saveexec_b64 s[26:27], s[2:3]
	s_cbranch_execz .LBB32_8
; %bb.5:                                ;   in Loop: Header=BB32_3 Depth=1
	v_add_u32_e32 v5, 1, v4
	v_and_b32_e32 v15, -2, v12
	v_lshl_add_u32 v16, v4, 2, s35
	s_mov_b64 s[28:29], 0
	v_mov_b32_e32 v6, v13
	v_pk_mov_b32 v[8:9], v[4:5], v[4:5] op_sel:[0,1]
.LBB32_6:                               ;   Parent Loop BB32_3 Depth=1
                                        ; =>  This Inner Loop Header: Depth=2
	v_ashrrev_i32_e32 v7, 31, v6
	v_lshlrev_b64 v[18:19], 2, v[6:7]
	v_mov_b32_e32 v5, s33
	v_add_co_u32_e64 v18, s[2:3], s31, v18
	v_addc_co_u32_e64 v19, s[2:3], v5, v19, s[2:3]
	global_load_dwordx2 v[18:19], v[18:19], off
	v_add_u32_e32 v15, -2, v15
	v_mul_lo_u32 v7, v8, s18
	v_cmp_eq_u32_e64 s[2:3], 0, v15
	v_mul_lo_u32 v5, v9, s38
	v_add_u32_e32 v9, 2, v9
	v_add_u32_e32 v8, 2, v8
	v_lshl_add_u32 v7, v7, 2, v16
	v_add_u32_e32 v6, 2, v6
	s_or_b64 s[28:29], s[2:3], s[28:29]
	v_lshl_add_u32 v5, v5, 2, v16
	s_waitcnt vmcnt(0)
	ds_write_b32 v7, v18
	ds_write_b32 v5, v19
	s_andn2_b64 exec, exec, s[28:29]
	s_cbranch_execnz .LBB32_6
; %bb.7:                                ;   in Loop: Header=BB32_3 Depth=1
	s_or_b64 exec, exec, s[28:29]
	v_and_b32_e32 v6, -2, v14
	v_cmp_ne_u32_e64 s[2:3], v14, v6
	v_add_u32_e32 v5, v4, v6
	s_orn2_b64 s[28:29], s[2:3], exec
.LBB32_8:                               ;   in Loop: Header=BB32_3 Depth=1
	s_or_b64 exec, exec, s[26:27]
	s_andn2_b64 s[2:3], vcc, exec
	s_and_b64 s[26:27], s[28:29], exec
	s_or_b64 vcc, s[2:3], s[26:27]
.LBB32_9:                               ;   in Loop: Header=BB32_3 Depth=1
	s_or_b64 exec, exec, s[24:25]
	s_and_saveexec_b64 s[2:3], vcc
	s_cbranch_execz .LBB32_2
; %bb.10:                               ;   in Loop: Header=BB32_3 Depth=1
	v_mad_u64_u32 v[6:7], s[24:25], s34, v5, v[2:3]
	v_mad_u64_u32 v[8:9], s[24:25], s30, v5, v[4:5]
	s_mov_b64 s[24:25], 0
.LBB32_11:                              ;   Parent Loop BB32_3 Depth=1
                                        ; =>  This Inner Loop Header: Depth=2
	v_ashrrev_i32_e32 v9, 31, v8
	v_lshlrev_b64 v[14:15], 2, v[8:9]
	v_mov_b32_e32 v7, s33
	v_add_co_u32_e32 v14, vcc, s31, v14
	v_addc_co_u32_e32 v15, vcc, v7, v15, vcc
	global_load_dword v7, v[14:15], off
	v_add_u32_e32 v5, 1, v5
	v_cmp_le_i32_e32 vcc, s18, v5
	v_add_u32_e32 v8, s30, v8
	s_or_b64 s[24:25], vcc, s[24:25]
	s_waitcnt vmcnt(0)
	ds_write_b32 v6, v7
	v_add_u32_e32 v6, s34, v6
	s_andn2_b64 exec, exec, s[24:25]
	s_cbranch_execnz .LBB32_11
	s_branch .LBB32_2
.LBB32_12:
	s_or_b64 exec, exec, s[14:15]
	s_cmp_lt_i32 s18, 2
	s_waitcnt lgkmcnt(0)
	s_barrier
	s_cbranch_scc1 .LBB32_38
; %bb.13:
	s_load_dwordx4 s[20:23], s[4:5], 0x10
	s_mul_i32 s2, s7, s13
	s_mul_hi_u32 s3, s7, s12
	s_add_i32 s4, s3, s2
	s_mul_i32 s5, s6, s12
	s_add_i32 s5, s4, s5
	s_mul_i32 s4, s7, s12
	s_waitcnt lgkmcnt(0)
	s_ashr_i32 s3, s22, 31
	s_lshl_b64 s[4:5], s[4:5], 2
	s_mov_b32 s2, s22
	s_add_u32 s22, s10, s4
	s_addc_u32 s28, s11, s5
	s_cmpk_lg_i32 s16, 0xb5
	s_mul_i32 s6, s8, s6
	s_mul_hi_u32 s10, s8, s7
	s_cselect_b64 s[4:5], -1, 0
	s_add_i32 s6, s10, s6
	s_mul_i32 s9, s9, s7
	s_add_i32 s9, s6, s9
	s_mul_i32 s8, s8, s7
	s_lshl_b64 s[12:13], s[8:9], 2
	s_add_u32 s16, s12, 4
	s_addc_u32 s29, s13, 0
	s_lshl_b64 s[2:3], s[2:3], 2
	s_add_u32 s36, s20, s2
	s_addc_u32 s37, s21, s3
	s_ashr_i32 s11, s23, 31
	s_mov_b32 s10, s23
	s_lshl_b32 s8, s23, 1
	s_lshl_b64 s[10:11], s[10:11], 2
	s_lshl_b32 s38, s19, 2
	s_add_u32 s2, s12, s2
	s_addc_u32 s3, s13, s3
	s_add_u32 s2, s2, s20
	v_lshlrev_b32_e32 v4, 2, v0
	s_addc_u32 s3, s3, s21
	s_add_u32 s40, s2, 8
	v_add_u32_e32 v5, 4, v4
	s_mov_b32 s7, 0
	v_mov_b32_e32 v3, s13
	v_add_co_u32_e32 v2, vcc, s12, v4
	s_addc_u32 s41, s3, 0
	v_mul_lo_u32 v5, s18, v5
	s_add_i32 s43, s34, 4
	s_mov_b32 s6, 1
	v_addc_co_u32_e32 v3, vcc, 0, v3, vcc
	s_mov_b32 s39, s7
	v_mul_lo_u32 v8, v0, s23
	s_mul_i32 s42, s23, s19
	v_add3_u32 v9, v5, v4, 0
	s_mul_i32 s43, s43, s19
	v_add_u32_e32 v12, 0, v4
	s_mov_b32 s12, s23
	s_branch .LBB32_15
.LBB32_14:                              ;   in Loop: Header=BB32_15 Depth=1
	s_or_b64 exec, exec, s[2:3]
	s_add_i32 s6, s6, 1
	s_add_u32 s16, s16, 4
	s_addc_u32 s29, s29, 0
	s_add_i32 s8, s8, s23
	s_add_u32 s40, s40, 4
	s_addc_u32 s41, s41, 0
	s_add_i32 s12, s12, s23
	s_cmp_eq_u32 s6, s18
	s_waitcnt lgkmcnt(0)
	s_barrier
	s_cbranch_scc1 .LBB32_38
.LBB32_15:                              ; =>This Loop Header: Depth=1
                                        ;     Child Loop BB32_20 Depth 2
                                        ;       Child Loop BB32_22 Depth 3
                                        ;     Child Loop BB32_29 Depth 2
                                        ;       Child Loop BB32_31 Depth 3
                                        ;     Child Loop BB32_35 Depth 2
                                        ;       Child Loop BB32_36 Depth 3
	s_mul_i32 s2, s6, s18
	s_not_b32 s45, s6
	s_lshl_b32 s2, s2, 2
	s_add_i32 s45, s45, s17
	s_add_i32 s44, s35, s2
	s_mov_b64 s[14:15], -1
	s_and_b64 vcc, exec, s[4:5]
	v_cmp_gt_u32_e64 s[2:3], s6, v0
	s_cbranch_vccz .LBB32_24
; %bb.16:                               ;   in Loop: Header=BB32_15 Depth=1
	s_and_saveexec_b64 s[14:15], s[2:3]
	s_cbranch_execz .LBB32_23
; %bb.17:                               ;   in Loop: Header=BB32_15 Depth=1
	s_ashr_i32 s9, s8, 31
	s_lshl_b64 s[2:3], s[8:9], 2
	s_add_u32 s2, s36, s2
	s_addc_u32 s3, s37, s3
	s_cmp_gt_i32 s45, 0
	s_cselect_b64 s[20:21], -1, 0
	s_lshl_b64 s[24:25], s[6:7], 2
	s_add_u32 s24, s22, s24
	s_addc_u32 s25, s28, s25
	s_load_dword s9, s[24:25], 0x0
	s_mov_b64 s[24:25], 0
	v_pk_mov_b32 v[4:5], v[2:3], v[2:3] op_sel:[0,1]
	v_mov_b32_e32 v6, v0
	s_branch .LBB32_20
.LBB32_18:                              ;   in Loop: Header=BB32_20 Depth=2
	v_mov_b32_e32 v7, 0
.LBB32_19:                              ;   in Loop: Header=BB32_20 Depth=2
	v_lshlrev_b32_e32 v13, 2, v6
	v_add_u32_e32 v14, s44, v13
	ds_read_b32 v14, v14
	v_add_u32_e32 v6, s19, v6
	v_cmp_le_u32_e32 vcc, s6, v6
	v_mov_b32_e32 v15, s39
	s_or_b64 s[24:25], vcc, s[24:25]
	v_add_co_u32_e32 v4, vcc, s38, v4
	v_add_u32_e32 v13, 0, v13
	s_waitcnt lgkmcnt(0)
	v_fmac_f32_e32 v14, s9, v7
	v_addc_co_u32_e32 v5, vcc, v5, v15, vcc
	ds_write_b32 v13, v14
	s_andn2_b64 exec, exec, s[24:25]
	s_cbranch_execz .LBB32_23
.LBB32_20:                              ;   Parent Loop BB32_15 Depth=1
                                        ; =>  This Loop Header: Depth=2
                                        ;       Child Loop BB32_22 Depth 3
	s_andn2_b64 vcc, exec, s[20:21]
	s_cbranch_vccnz .LBB32_18
; %bb.21:                               ;   in Loop: Header=BB32_20 Depth=2
	s_mov_b32 s13, 0
	v_mov_b32_e32 v7, 0
	s_mov_b64 s[26:27], s[2:3]
.LBB32_22:                              ;   Parent Loop BB32_15 Depth=1
                                        ;     Parent Loop BB32_20 Depth=2
                                        ; =>    This Inner Loop Header: Depth=3
	v_mov_b32_e32 v13, s27
	v_add_co_u32_e32 v14, vcc, s26, v4
	v_addc_co_u32_e32 v15, vcc, v13, v5, vcc
	global_load_dword v13, v[14:15], off
	s_add_u32 s46, s26, s16
	s_addc_u32 s47, s27, s29
	s_load_dword s46, s[46:47], 0x0
	s_add_i32 s13, s13, 1
	s_add_u32 s26, s26, s10
	s_addc_u32 s27, s27, s11
	s_cmp_ge_i32 s13, s45
	s_waitcnt vmcnt(0) lgkmcnt(0)
	v_fmac_f32_e32 v7, s46, v13
	s_cbranch_scc0 .LBB32_22
	s_branch .LBB32_19
.LBB32_23:                              ;   in Loop: Header=BB32_15 Depth=1
	s_or_b64 exec, exec, s[14:15]
	s_mov_b64 s[14:15], 0
.LBB32_24:                              ;   in Loop: Header=BB32_15 Depth=1
	s_andn2_b64 vcc, exec, s[14:15]
	s_cbranch_vccnz .LBB32_33
; %bb.25:                               ;   in Loop: Header=BB32_15 Depth=1
	v_cmp_gt_u32_e32 vcc, s6, v0
	s_and_saveexec_b64 s[2:3], vcc
	s_cbranch_execz .LBB32_32
; %bb.26:                               ;   in Loop: Header=BB32_15 Depth=1
	s_ashr_i32 s13, s12, 31
	s_lshl_b64 s[14:15], s[12:13], 2
	s_add_u32 s14, s40, s14
	s_addc_u32 s15, s41, s15
	s_cmp_gt_i32 s45, 0
	s_cselect_b64 s[20:21], -1, 0
	s_lshl_b64 s[24:25], s[6:7], 2
	s_add_u32 s24, s22, s24
	s_addc_u32 s25, s28, s25
	s_load_dword s9, s[24:25], 0x0
	s_mov_b64 s[24:25], 0
	v_mov_b32_e32 v4, v8
	v_mov_b32_e32 v13, v0
	s_branch .LBB32_29
.LBB32_27:                              ;   in Loop: Header=BB32_29 Depth=2
	v_mov_b32_e32 v5, 0
.LBB32_28:                              ;   in Loop: Header=BB32_29 Depth=2
	v_lshlrev_b32_e32 v6, 2, v13
	v_add_u32_e32 v7, s44, v6
	ds_read_b32 v7, v7
	v_add_u32_e32 v13, s19, v13
	v_cmp_le_u32_e32 vcc, s6, v13
	v_add_u32_e32 v6, 0, v6
	s_or_b64 s[24:25], vcc, s[24:25]
	s_waitcnt lgkmcnt(0)
	v_fmac_f32_e32 v7, s9, v5
	v_add_u32_e32 v4, s42, v4
	ds_write_b32 v6, v7
	s_andn2_b64 exec, exec, s[24:25]
	s_cbranch_execz .LBB32_32
.LBB32_29:                              ;   Parent Loop BB32_15 Depth=1
                                        ; =>  This Loop Header: Depth=2
                                        ;       Child Loop BB32_31 Depth 3
	s_andn2_b64 vcc, exec, s[20:21]
	s_cbranch_vccnz .LBB32_27
; %bb.30:                               ;   in Loop: Header=BB32_29 Depth=2
	v_ashrrev_i32_e32 v5, 31, v4
	v_lshlrev_b64 v[6:7], 2, v[4:5]
	v_mov_b32_e32 v5, s41
	v_add_co_u32_e32 v6, vcc, s40, v6
	v_addc_co_u32_e32 v7, vcc, v5, v7, vcc
	s_mov_b32 s13, 0
	v_mov_b32_e32 v5, 0
	s_mov_b64 s[26:27], s[14:15]
.LBB32_31:                              ;   Parent Loop BB32_15 Depth=1
                                        ;     Parent Loop BB32_29 Depth=2
                                        ; =>    This Inner Loop Header: Depth=3
	global_load_dword v14, v[6:7], off
	s_load_dword s46, s[26:27], 0x0
	s_add_i32 s13, s13, 1
	s_add_u32 s26, s26, 4
	v_add_co_u32_e32 v6, vcc, 4, v6
	s_addc_u32 s27, s27, 0
	v_addc_co_u32_e32 v7, vcc, 0, v7, vcc
	s_cmp_ge_i32 s13, s45
	s_waitcnt vmcnt(0) lgkmcnt(0)
	v_fmac_f32_e32 v5, s46, v14
	s_cbranch_scc0 .LBB32_31
	s_branch .LBB32_28
.LBB32_32:                              ;   in Loop: Header=BB32_15 Depth=1
	s_or_b64 exec, exec, s[2:3]
.LBB32_33:                              ;   in Loop: Header=BB32_15 Depth=1
	v_cmp_gt_u32_e32 vcc, s6, v0
	s_waitcnt lgkmcnt(0)
	s_barrier
	s_and_saveexec_b64 s[2:3], vcc
	s_cbranch_execz .LBB32_14
; %bb.34:                               ;   in Loop: Header=BB32_15 Depth=1
	s_mov_b64 s[14:15], 0
	v_mov_b32_e32 v4, v12
	v_mov_b32_e32 v5, v9
	;; [unrolled: 1-line block ×3, first 2 shown]
.LBB32_35:                              ;   Parent Loop BB32_15 Depth=1
                                        ; =>  This Loop Header: Depth=2
                                        ;       Child Loop BB32_36 Depth 3
	v_mov_b32_e32 v7, 0
	s_mov_b64 s[20:21], 0
	v_mov_b32_e32 v13, v4
	v_mov_b32_e32 v14, v5
	v_mov_b32_e32 v15, v6
.LBB32_36:                              ;   Parent Loop BB32_15 Depth=1
                                        ;     Parent Loop BB32_35 Depth=2
                                        ; =>    This Inner Loop Header: Depth=3
	ds_read_b32 v16, v14
	ds_read_b32 v17, v13
	v_add_u32_e32 v15, 1, v15
	v_cmp_le_u32_e32 vcc, s6, v15
	v_add_u32_e32 v14, s34, v14
	v_add_u32_e32 v13, 4, v13
	s_or_b64 s[20:21], vcc, s[20:21]
	s_waitcnt lgkmcnt(0)
	v_fmac_f32_e32 v7, v16, v17
	s_andn2_b64 exec, exec, s[20:21]
	s_cbranch_execnz .LBB32_36
; %bb.37:                               ;   in Loop: Header=BB32_35 Depth=2
	s_or_b64 exec, exec, s[20:21]
	v_lshl_add_u32 v13, v6, 2, s44
	v_add_u32_e32 v6, s19, v6
	v_cmp_le_u32_e32 vcc, s6, v6
	v_add_u32_e32 v5, s43, v5
	s_or_b64 s[14:15], vcc, s[14:15]
	v_add_u32_e32 v4, s38, v4
	ds_write_b32 v13, v7
	s_andn2_b64 exec, exec, s[14:15]
	s_cbranch_execnz .LBB32_35
	s_branch .LBB32_14
.LBB32_38:
	s_and_saveexec_b64 s[2:3], s[0:1]
	s_cbranch_execz .LBB32_50
; %bb.39:
	s_lshl_b32 s14, s19, 1
	s_cmp_lg_u32 s30, 1
	s_cselect_b64 s[0:1], -1, 0
	s_mov_b32 s15, s18
	s_mov_b32 s16, 0
	v_lshl_add_u32 v2, v0, 2, s35
	s_lshl_b32 s17, s19, 2
	s_mov_b64 s[4:5], 0
	s_xor_b64 s[6:7], s[0:1], -1
	v_mov_b32_e32 v3, v10
	v_mov_b32_e32 v4, v0
	s_branch .LBB32_41
.LBB32_40:                              ;   in Loop: Header=BB32_41 Depth=1
	s_or_b64 exec, exec, s[2:3]
	v_add_u32_e32 v4, s19, v4
	s_add_i32 s16, s16, 1
	v_cmp_le_i32_e32 vcc, s18, v4
	v_add_u32_e32 v3, s14, v3
	v_subrev_u32_e32 v11, s19, v11
	s_or_b64 s[4:5], vcc, s[4:5]
	v_add_u32_e32 v2, s17, v2
	s_andn2_b64 exec, exec, s[4:5]
	s_cbranch_execz .LBB32_50
.LBB32_41:                              ; =>This Loop Header: Depth=1
                                        ;     Child Loop BB32_44 Depth 2
                                        ;     Child Loop BB32_49 Depth 2
	s_mul_i32 s2, s16, s19
	v_add_u32_e32 v5, s2, v0
	v_sub_u32_e32 v12, s18, v5
	v_cmp_gt_u32_e32 vcc, 4, v12
	v_cmp_lt_u32_e64 s[0:1], 3, v12
	v_mov_b32_e32 v5, v4
	s_and_saveexec_b64 s[8:9], s[0:1]
	s_cbranch_execz .LBB32_47
; %bb.42:                               ;   in Loop: Header=BB32_41 Depth=1
	s_mul_i32 s0, s14, s16
	v_add_u32_e32 v5, s0, v10
	v_subrev_u32_e32 v6, s2, v1
	v_add_u32_e32 v6, v5, v6
	v_cmp_ge_i32_e64 s[0:1], v6, v5
	s_mov_b64 s[2:3], -1
	s_and_b64 s[0:1], s[6:7], s[0:1]
	v_mov_b32_e32 v5, v4
	s_and_saveexec_b64 s[10:11], s[0:1]
	s_cbranch_execz .LBB32_46
; %bb.43:                               ;   in Loop: Header=BB32_41 Depth=1
	v_add_u32_e32 v5, 1, v4
	v_and_b32_e32 v13, -2, v11
	v_lshl_add_u32 v14, v4, 2, s35
	s_mov_b64 s[12:13], 0
	v_mov_b32_e32 v6, v3
	v_pk_mov_b32 v[8:9], v[4:5], v[4:5] op_sel:[0,1]
.LBB32_44:                              ;   Parent Loop BB32_41 Depth=1
                                        ; =>  This Inner Loop Header: Depth=2
	v_mul_lo_u32 v15, v8, s18
	v_mul_lo_u32 v5, v9, s15
	v_lshl_add_u32 v15, v15, 2, v14
	v_lshl_add_u32 v5, v5, 2, v14
	ds_read_b32 v18, v15
	ds_read_b32 v19, v5
	v_ashrrev_i32_e32 v7, 31, v6
	v_add_u32_e32 v13, -2, v13
	v_lshlrev_b64 v[16:17], 2, v[6:7]
	v_mov_b32_e32 v20, s33
	v_cmp_eq_u32_e64 s[0:1], 0, v13
	v_add_co_u32_e64 v16, s[2:3], s31, v16
	v_add_u32_e32 v9, 2, v9
	v_add_u32_e32 v8, 2, v8
	;; [unrolled: 1-line block ×3, first 2 shown]
	v_addc_co_u32_e64 v17, s[2:3], v20, v17, s[2:3]
	s_or_b64 s[12:13], s[0:1], s[12:13]
	s_waitcnt lgkmcnt(0)
	global_store_dwordx2 v[16:17], v[18:19], off
	s_andn2_b64 exec, exec, s[12:13]
	s_cbranch_execnz .LBB32_44
; %bb.45:                               ;   in Loop: Header=BB32_41 Depth=1
	s_or_b64 exec, exec, s[12:13]
	v_and_b32_e32 v6, -2, v12
	v_cmp_ne_u32_e64 s[0:1], v12, v6
	v_add_u32_e32 v5, v4, v6
	s_orn2_b64 s[2:3], s[0:1], exec
.LBB32_46:                              ;   in Loop: Header=BB32_41 Depth=1
	s_or_b64 exec, exec, s[10:11]
	s_andn2_b64 s[0:1], vcc, exec
	s_and_b64 s[2:3], s[2:3], exec
	s_or_b64 vcc, s[0:1], s[2:3]
.LBB32_47:                              ;   in Loop: Header=BB32_41 Depth=1
	s_or_b64 exec, exec, s[8:9]
	s_and_saveexec_b64 s[2:3], vcc
	s_cbranch_execz .LBB32_40
; %bb.48:                               ;   in Loop: Header=BB32_41 Depth=1
	v_mad_u64_u32 v[6:7], s[0:1], s30, v5, v[4:5]
	v_mad_u64_u32 v[8:9], s[0:1], s34, v5, v[2:3]
	s_mov_b64 s[8:9], 0
.LBB32_49:                              ;   Parent Loop BB32_41 Depth=1
                                        ; =>  This Inner Loop Header: Depth=2
	ds_read_b32 v9, v8
	v_ashrrev_i32_e32 v7, 31, v6
	v_add_u32_e32 v5, 1, v5
	v_lshlrev_b64 v[12:13], 2, v[6:7]
	v_mov_b32_e32 v14, s33
	v_cmp_le_i32_e32 vcc, s18, v5
	v_add_co_u32_e64 v12, s[0:1], s31, v12
	v_add_u32_e32 v8, s34, v8
	v_add_u32_e32 v6, s30, v6
	v_addc_co_u32_e64 v13, s[0:1], v14, v13, s[0:1]
	s_or_b64 s[8:9], vcc, s[8:9]
	s_waitcnt lgkmcnt(0)
	global_store_dword v[12:13], v9, off
	s_andn2_b64 exec, exec, s[8:9]
	s_cbranch_execnz .LBB32_49
	s_branch .LBB32_40
.LBB32_50:
	s_endpgm
	.section	.rodata,"a",@progbits
	.p2align	6, 0x0
	.amdhsa_kernel _ZN9rocsolver6v33100L20larft_kernel_forwardIfPfEEv15rocblas_storev_iiT0_iilPT_lS6_il
		.amdhsa_group_segment_fixed_size 0
		.amdhsa_private_segment_fixed_size 0
		.amdhsa_kernarg_size 336
		.amdhsa_user_sgpr_count 6
		.amdhsa_user_sgpr_private_segment_buffer 1
		.amdhsa_user_sgpr_dispatch_ptr 0
		.amdhsa_user_sgpr_queue_ptr 0
		.amdhsa_user_sgpr_kernarg_segment_ptr 1
		.amdhsa_user_sgpr_dispatch_id 0
		.amdhsa_user_sgpr_flat_scratch_init 0
		.amdhsa_user_sgpr_kernarg_preload_length 0
		.amdhsa_user_sgpr_kernarg_preload_offset 0
		.amdhsa_user_sgpr_private_segment_size 0
		.amdhsa_uses_dynamic_stack 0
		.amdhsa_system_sgpr_private_segment_wavefront_offset 0
		.amdhsa_system_sgpr_workgroup_id_x 1
		.amdhsa_system_sgpr_workgroup_id_y 1
		.amdhsa_system_sgpr_workgroup_id_z 0
		.amdhsa_system_sgpr_workgroup_info 0
		.amdhsa_system_vgpr_workitem_id 0
		.amdhsa_next_free_vgpr 21
		.amdhsa_next_free_sgpr 48
		.amdhsa_accum_offset 24
		.amdhsa_reserve_vcc 1
		.amdhsa_reserve_flat_scratch 0
		.amdhsa_float_round_mode_32 0
		.amdhsa_float_round_mode_16_64 0
		.amdhsa_float_denorm_mode_32 3
		.amdhsa_float_denorm_mode_16_64 3
		.amdhsa_dx10_clamp 1
		.amdhsa_ieee_mode 1
		.amdhsa_fp16_overflow 0
		.amdhsa_tg_split 0
		.amdhsa_exception_fp_ieee_invalid_op 0
		.amdhsa_exception_fp_denorm_src 0
		.amdhsa_exception_fp_ieee_div_zero 0
		.amdhsa_exception_fp_ieee_overflow 0
		.amdhsa_exception_fp_ieee_underflow 0
		.amdhsa_exception_fp_ieee_inexact 0
		.amdhsa_exception_int_div_zero 0
	.end_amdhsa_kernel
	.section	.text._ZN9rocsolver6v33100L20larft_kernel_forwardIfPfEEv15rocblas_storev_iiT0_iilPT_lS6_il,"axG",@progbits,_ZN9rocsolver6v33100L20larft_kernel_forwardIfPfEEv15rocblas_storev_iiT0_iilPT_lS6_il,comdat
.Lfunc_end32:
	.size	_ZN9rocsolver6v33100L20larft_kernel_forwardIfPfEEv15rocblas_storev_iiT0_iilPT_lS6_il, .Lfunc_end32-_ZN9rocsolver6v33100L20larft_kernel_forwardIfPfEEv15rocblas_storev_iiT0_iilPT_lS6_il
                                        ; -- End function
	.section	.AMDGPU.csdata,"",@progbits
; Kernel info:
; codeLenInByte = 2112
; NumSgprs: 52
; NumVgprs: 21
; NumAgprs: 0
; TotalNumVgprs: 21
; ScratchSize: 0
; MemoryBound: 0
; FloatMode: 240
; IeeeMode: 1
; LDSByteSize: 0 bytes/workgroup (compile time only)
; SGPRBlocks: 6
; VGPRBlocks: 2
; NumSGPRsForWavesPerEU: 52
; NumVGPRsForWavesPerEU: 21
; AccumOffset: 24
; Occupancy: 8
; WaveLimiterHint : 0
; COMPUTE_PGM_RSRC2:SCRATCH_EN: 0
; COMPUTE_PGM_RSRC2:USER_SGPR: 6
; COMPUTE_PGM_RSRC2:TRAP_HANDLER: 0
; COMPUTE_PGM_RSRC2:TGID_X_EN: 1
; COMPUTE_PGM_RSRC2:TGID_Y_EN: 1
; COMPUTE_PGM_RSRC2:TGID_Z_EN: 0
; COMPUTE_PGM_RSRC2:TIDIG_COMP_CNT: 0
; COMPUTE_PGM_RSRC3_GFX90A:ACCUM_OFFSET: 5
; COMPUTE_PGM_RSRC3_GFX90A:TG_SPLIT: 0
	.section	.text._ZN9rocsolver6v33100L21larft_kernel_backwardIfPfEEv15rocblas_storev_iiT0_iilPT_lS6_il,"axG",@progbits,_ZN9rocsolver6v33100L21larft_kernel_backwardIfPfEEv15rocblas_storev_iiT0_iilPT_lS6_il,comdat
	.globl	_ZN9rocsolver6v33100L21larft_kernel_backwardIfPfEEv15rocblas_storev_iiT0_iilPT_lS6_il ; -- Begin function _ZN9rocsolver6v33100L21larft_kernel_backwardIfPfEEv15rocblas_storev_iiT0_iilPT_lS6_il
	.p2align	8
	.type	_ZN9rocsolver6v33100L21larft_kernel_backwardIfPfEEv15rocblas_storev_iiT0_iilPT_lS6_il,@function
_ZN9rocsolver6v33100L21larft_kernel_backwardIfPfEEv15rocblas_storev_iiT0_iilPT_lS6_il: ; @_ZN9rocsolver6v33100L21larft_kernel_backwardIfPfEEv15rocblas_storev_iiT0_iilPT_lS6_il
; %bb.0:
	s_load_dword s2, s[4:5], 0x5c
	s_load_dword s33, s[4:5], 0x40
	s_load_dwordx2 s[0:1], s[4:5], 0x48
	s_load_dwordx4 s[16:19], s[4:5], 0x0
	s_load_dwordx8 s[8:15], s[4:5], 0x20
	s_waitcnt lgkmcnt(0)
	s_and_b32 s19, s2, 0xffff
	s_ashr_i32 s6, s7, 31
	s_mul_i32 s1, s7, s1
	s_mul_hi_u32 s2, s7, s0
	s_add_i32 s1, s2, s1
	s_mul_i32 s2, s6, s0
	s_add_i32 s1, s1, s2
	s_mul_i32 s0, s7, s0
	s_lshl_b64 s[0:1], s[0:1], 2
	s_add_u32 s34, s14, s0
	s_addc_u32 s35, s15, s1
	v_cmp_gt_i32_e64 s[0:1], s18, v0
	v_add_u32_e32 v1, 1, v0
	s_and_saveexec_b64 s[14:15], s[0:1]
	s_cbranch_execz .LBB33_12
; %bb.1:
	s_cmp_lg_u32 s33, 1
	s_cselect_b64 s[20:21], -1, 0
	s_cmp_lg_u32 s18, 1
	s_cselect_b64 s[22:23], -1, 0
	s_lshl_b32 s36, s18, 2
	s_add_i32 s2, s36, 0
	v_add_u32_e32 v3, 1, v0
	v_lshl_add_u32 v6, v0, 2, s2
	s_lshl_b32 s37, s19, 2
	s_mov_b64 s[24:25], 0
	v_mov_b32_e32 v2, v0
	s_branch .LBB33_3
.LBB33_2:                               ;   in Loop: Header=BB33_3 Depth=1
	s_or_b64 exec, exec, s[2:3]
	v_add_u32_e32 v2, s19, v2
	v_cmp_le_i32_e32 vcc, s18, v2
	v_add_u32_e32 v3, s19, v3
	s_or_b64 s[24:25], vcc, s[24:25]
	v_add_u32_e32 v6, s37, v6
	s_andn2_b64 exec, exec, s[24:25]
	s_cbranch_execz .LBB33_12
.LBB33_3:                               ; =>This Loop Header: Depth=1
                                        ;     Child Loop BB33_6 Depth 2
                                        ;     Child Loop BB33_11 Depth 2
	v_cmp_gt_u32_e32 vcc, 6, v3
	v_cmp_lt_u32_e64 s[2:3], 5, v3
	v_mov_b32_e32 v7, 0
	s_and_saveexec_b64 s[26:27], s[2:3]
	s_cbranch_execz .LBB33_9
; %bb.4:                                ;   in Loop: Header=BB33_3 Depth=1
	v_lshlrev_b32_e32 v4, 1, v2
	v_cmp_lt_i32_e64 s[2:3], v4, v2
	s_or_b64 s[2:3], s[20:21], s[2:3]
	s_or_b64 s[28:29], s[2:3], s[22:23]
	s_mov_b64 s[2:3], -1
	s_xor_b64 s[30:31], s[28:29], -1
	v_mov_b32_e32 v7, 0
	s_and_saveexec_b64 s[28:29], s[30:31]
	s_cbranch_execz .LBB33_8
; %bb.5:                                ;   in Loop: Header=BB33_3 Depth=1
	v_and_b32_e32 v7, -4, v3
	s_mov_b32 s38, 0
	s_mov_b64 s[30:31], 0
	v_mov_b32_e32 v4, v6
.LBB33_6:                               ;   Parent Loop BB33_3 Depth=1
                                        ; =>  This Inner Loop Header: Depth=2
	v_add_u32_e32 v8, s38, v2
	v_ashrrev_i32_e32 v9, 31, v8
	v_lshlrev_b64 v[8:9], 2, v[8:9]
	v_mov_b32_e32 v5, s35
	v_add_co_u32_e64 v8, s[2:3], s34, v8
	v_addc_co_u32_e64 v9, s[2:3], v5, v9, s[2:3]
	global_load_dwordx4 v[8:11], v[8:9], off
	s_add_i32 s38, s38, 4
	v_cmp_eq_u32_e64 s[2:3], s38, v7
	s_or_b64 s[30:31], s[2:3], s[30:31]
	s_waitcnt vmcnt(0)
	ds_write2_b32 v4, v8, v9 offset1:1
	ds_write2_b32 v4, v10, v11 offset0:2 offset1:3
	v_add_u32_e32 v4, 16, v4
	s_andn2_b64 exec, exec, s[30:31]
	s_cbranch_execnz .LBB33_6
; %bb.7:                                ;   in Loop: Header=BB33_3 Depth=1
	s_or_b64 exec, exec, s[30:31]
	v_cmp_ne_u32_e64 s[2:3], v3, v7
	s_orn2_b64 s[2:3], s[2:3], exec
.LBB33_8:                               ;   in Loop: Header=BB33_3 Depth=1
	s_or_b64 exec, exec, s[28:29]
	s_andn2_b64 s[28:29], vcc, exec
	s_and_b64 s[2:3], s[2:3], exec
	s_or_b64 vcc, s[28:29], s[2:3]
.LBB33_9:                               ;   in Loop: Header=BB33_3 Depth=1
	s_or_b64 exec, exec, s[26:27]
	s_and_saveexec_b64 s[2:3], vcc
	s_cbranch_execz .LBB33_2
; %bb.10:                               ;   in Loop: Header=BB33_3 Depth=1
	v_mad_u64_u32 v[4:5], s[26:27], s33, v7, v[2:3]
	v_mul_lo_u32 v8, s36, v7
	s_mov_b64 s[26:27], 0
.LBB33_11:                              ;   Parent Loop BB33_3 Depth=1
                                        ; =>  This Inner Loop Header: Depth=2
	v_ashrrev_i32_e32 v5, 31, v4
	v_lshlrev_b64 v[10:11], 2, v[4:5]
	v_mov_b32_e32 v9, s35
	v_add_co_u32_e32 v10, vcc, s34, v10
	v_addc_co_u32_e32 v11, vcc, v9, v11, vcc
	global_load_dword v5, v[10:11], off
	v_add_u32_e32 v7, 1, v7
	v_cmp_eq_u32_e32 vcc, v3, v7
	v_add_u32_e32 v9, v6, v8
	v_add_u32_e32 v8, s36, v8
	;; [unrolled: 1-line block ×3, first 2 shown]
	s_or_b64 s[26:27], vcc, s[26:27]
	s_waitcnt vmcnt(0)
	ds_write_b32 v9, v5
	s_andn2_b64 exec, exec, s[26:27]
	s_cbranch_execnz .LBB33_11
	s_branch .LBB33_2
.LBB33_12:
	s_or_b64 exec, exec, s[14:15]
	s_cmp_lt_i32 s18, 2
	s_waitcnt lgkmcnt(0)
	s_barrier
	s_cbranch_scc1 .LBB33_38
; %bb.13:
	s_load_dwordx4 s[20:23], s[4:5], 0x10
	s_mul_i32 s2, s7, s13
	s_mul_hi_u32 s3, s7, s12
	s_add_i32 s4, s3, s2
	s_mul_i32 s5, s6, s12
	s_add_i32 s5, s4, s5
	s_mul_i32 s4, s7, s12
	s_waitcnt lgkmcnt(0)
	s_ashr_i32 s3, s22, 31
	s_lshl_b64 s[4:5], s[4:5], 2
	s_mov_b32 s2, s22
	s_add_u32 s22, s10, s4
	s_addc_u32 s26, s11, s5
	s_lshl_b32 s27, s18, 2
	s_add_i32 s28, s27, 0
	s_add_i32 s4, s18, -2
	s_sub_i32 s29, s17, s18
	s_cmpk_lg_i32 s16, 0xb5
	s_mul_i32 s6, s8, s6
	s_mul_hi_u32 s12, s8, s7
	s_cselect_b64 s[10:11], -1, 0
	s_add_i32 s6, s12, s6
	s_mul_i32 s9, s9, s7
	s_add_i32 s9, s6, s9
	s_mul_i32 s8, s8, s7
	s_lshl_b64 s[6:7], s[8:9], 2
	s_lshl_b64 s[2:3], s[2:3], 2
	s_mov_b32 s5, 0
	s_add_u32 s8, s6, s2
	s_addc_u32 s9, s7, s3
	s_lshl_b64 s[2:3], s[4:5], 2
	s_add_u32 s6, s8, s2
	s_addc_u32 s7, s9, s3
	s_add_u32 s30, s20, s6
	s_addc_u32 s31, s21, s7
	s_ashr_i32 s7, s23, 31
	s_mov_b32 s6, s23
	s_lshl_b64 s[6:7], s[6:7], 2
	s_add_u32 s36, s20, s8
	s_addc_u32 s37, s21, s9
	v_lshlrev_b32_e32 v4, 2, v0
	s_add_u32 s2, s36, s2
	s_addc_u32 s3, s37, s3
	v_add_co_u32_e32 v3, vcc, s2, v4
	s_add_i32 s2, s18, -1
	v_mov_b32_e32 v2, s3
	s_mul_i32 s8, s23, s2
	s_add_i32 s2, s27, 4
	v_addc_co_u32_e32 v5, vcc, 0, v2, vcc
	s_mul_i32 s2, s18, s2
	v_add_co_u32_e32 v2, vcc, 4, v3
	s_add_i32 s2, s2, 0
	v_addc_co_u32_e32 v3, vcc, 0, v5, vcc
	s_lshl_b32 s38, s19, 2
	s_mov_b32 s39, s5
	v_mul_lo_u32 v8, v0, s23
	s_mul_i32 s40, s23, s19
	s_mul_i32 s12, s23, s4
	v_add3_u32 v9, s2, v4, -4
	s_xor_b32 s41, s27, -4
	s_branch .LBB33_15
.LBB33_14:                              ;   in Loop: Header=BB33_15 Depth=1
	s_or_b64 exec, exec, s[2:3]
	s_add_i32 s2, s4, -1
	s_add_u32 s30, s30, -4
	s_addc_u32 s31, s31, -1
	v_add_co_u32_e32 v2, vcc, -4, v2
	s_sub_i32 s8, s8, s23
	s_sub_i32 s12, s12, s23
	v_addc_co_u32_e32 v3, vcc, -1, v3, vcc
	v_add_u32_e32 v9, s41, v9
	s_cmp_lt_i32 s4, 1
	s_mov_b32 s4, s2
	s_waitcnt lgkmcnt(0)
	s_barrier
	s_cbranch_scc1 .LBB33_38
.LBB33_15:                              ; =>This Loop Header: Depth=1
                                        ;     Child Loop BB33_20 Depth 2
                                        ;       Child Loop BB33_22 Depth 3
                                        ;     Child Loop BB33_29 Depth 2
                                        ;       Child Loop BB33_31 Depth 3
	;; [unrolled: 2-line block ×3, first 2 shown]
	s_lshl_b32 s2, s4, 2
	s_not_b32 s42, s4
	s_add_i32 s43, s28, s2
	s_mul_i32 s2, s4, s18
	s_add_i32 s42, s42, s18
	s_lshl_b32 s2, s2, 2
	s_add_i32 s44, s4, s29
	s_add_i32 s43, s43, s2
	s_mov_b64 s[14:15], -1
	s_and_b64 vcc, exec, s[10:11]
	v_cmp_gt_i32_e64 s[2:3], s42, v0
	s_cbranch_vccz .LBB33_24
; %bb.16:                               ;   in Loop: Header=BB33_15 Depth=1
	s_and_saveexec_b64 s[14:15], s[2:3]
	s_cbranch_execz .LBB33_23
; %bb.17:                               ;   in Loop: Header=BB33_15 Depth=1
	s_cmp_gt_i32 s44, 0
	s_cselect_b64 s[2:3], -1, 0
	s_lshl_b64 s[16:17], s[4:5], 2
	s_add_u32 s16, s22, s16
	s_addc_u32 s17, s26, s17
	s_load_dword s9, s[16:17], 0x0
	v_cndmask_b32_e64 v4, 0, 1, s[2:3]
	s_add_i32 s13, s43, 4
	s_mov_b64 s[16:17], 0
	v_cmp_ne_u32_e64 s[2:3], 1, v4
	v_pk_mov_b32 v[4:5], v[2:3], v[2:3] op_sel:[0,1]
	v_mov_b32_e32 v6, v0
	s_branch .LBB33_20
.LBB33_18:                              ;   in Loop: Header=BB33_20 Depth=2
	v_mov_b32_e32 v7, 0
.LBB33_19:                              ;   in Loop: Header=BB33_20 Depth=2
	v_lshlrev_b32_e32 v10, 2, v6
	v_add_u32_e32 v11, s13, v10
	ds_read_b32 v11, v11
	v_add_u32_e32 v6, s19, v6
	v_cmp_le_i32_e32 vcc, s42, v6
	v_mov_b32_e32 v12, s39
	s_or_b64 s[16:17], vcc, s[16:17]
	v_add_co_u32_e32 v4, vcc, s38, v4
	v_add_u32_e32 v10, 0, v10
	s_waitcnt lgkmcnt(0)
	v_fmac_f32_e32 v11, s9, v7
	v_addc_co_u32_e32 v5, vcc, v5, v12, vcc
	ds_write_b32 v10, v11
	s_andn2_b64 exec, exec, s[16:17]
	s_cbranch_execz .LBB33_23
.LBB33_20:                              ;   Parent Loop BB33_15 Depth=1
                                        ; =>  This Loop Header: Depth=2
                                        ;       Child Loop BB33_22 Depth 3
	s_and_b64 vcc, exec, s[2:3]
	s_cbranch_vccnz .LBB33_18
; %bb.21:                               ;   in Loop: Header=BB33_20 Depth=2
	s_mov_b32 s24, 0
	s_mov_b64 s[20:21], 0
	v_mov_b32_e32 v7, 0
.LBB33_22:                              ;   Parent Loop BB33_15 Depth=1
                                        ;     Parent Loop BB33_20 Depth=2
                                        ; =>    This Inner Loop Header: Depth=3
	v_mov_b32_e32 v11, s21
	v_add_co_u32_e32 v10, vcc, s20, v4
	v_addc_co_u32_e32 v11, vcc, v5, v11, vcc
	global_load_dword v10, v[10:11], off
	s_add_u32 s46, s30, s20
	s_addc_u32 s47, s31, s21
	s_load_dword s25, s[46:47], 0x0
	s_add_i32 s24, s24, 1
	s_add_u32 s20, s20, s6
	s_addc_u32 s21, s21, s7
	s_cmp_ge_i32 s24, s44
	s_waitcnt vmcnt(0) lgkmcnt(0)
	v_fmac_f32_e32 v7, s25, v10
	s_cbranch_scc0 .LBB33_22
	s_branch .LBB33_19
.LBB33_23:                              ;   in Loop: Header=BB33_15 Depth=1
	s_or_b64 exec, exec, s[14:15]
	s_mov_b64 s[14:15], 0
.LBB33_24:                              ;   in Loop: Header=BB33_15 Depth=1
	s_andn2_b64 vcc, exec, s[14:15]
	s_cbranch_vccnz .LBB33_33
; %bb.25:                               ;   in Loop: Header=BB33_15 Depth=1
	v_cmp_gt_i32_e32 vcc, s42, v0
	s_and_saveexec_b64 s[2:3], vcc
	s_cbranch_execz .LBB33_32
; %bb.26:                               ;   in Loop: Header=BB33_15 Depth=1
	s_ashr_i32 s9, s8, 31
	s_ashr_i32 s13, s12, 31
	s_lshl_b64 s[20:21], s[8:9], 2
	s_lshl_b64 s[14:15], s[12:13], 2
	s_add_u32 s14, s36, s14
	s_addc_u32 s15, s37, s15
	s_cmp_gt_i32 s44, 0
	s_cselect_b64 s[16:17], -1, 0
	s_lshl_b64 s[24:25], s[4:5], 2
	s_add_u32 s24, s22, s24
	s_addc_u32 s25, s26, s25
	s_load_dword s9, s[24:25], 0x0
	s_add_i32 s13, s43, 4
	s_add_u32 s45, s36, s20
	s_addc_u32 s46, s37, s21
	s_mov_b64 s[20:21], 0
	v_mov_b32_e32 v4, v8
	v_mov_b32_e32 v10, v0
	s_branch .LBB33_29
.LBB33_27:                              ;   in Loop: Header=BB33_29 Depth=2
	v_mov_b32_e32 v5, 0
.LBB33_28:                              ;   in Loop: Header=BB33_29 Depth=2
	v_lshlrev_b32_e32 v6, 2, v10
	v_add_u32_e32 v7, s13, v6
	ds_read_b32 v7, v7
	v_add_u32_e32 v10, s19, v10
	v_cmp_le_i32_e32 vcc, s42, v10
	v_add_u32_e32 v6, 0, v6
	s_or_b64 s[20:21], vcc, s[20:21]
	s_waitcnt lgkmcnt(0)
	v_fmac_f32_e32 v7, s9, v5
	v_add_u32_e32 v4, s40, v4
	ds_write_b32 v6, v7
	s_andn2_b64 exec, exec, s[20:21]
	s_cbranch_execz .LBB33_32
.LBB33_29:                              ;   Parent Loop BB33_15 Depth=1
                                        ; =>  This Loop Header: Depth=2
                                        ;       Child Loop BB33_31 Depth 3
	s_andn2_b64 vcc, exec, s[16:17]
	s_cbranch_vccnz .LBB33_27
; %bb.30:                               ;   in Loop: Header=BB33_29 Depth=2
	v_ashrrev_i32_e32 v5, 31, v4
	v_lshlrev_b64 v[6:7], 2, v[4:5]
	v_mov_b32_e32 v5, s46
	v_add_co_u32_e32 v6, vcc, s45, v6
	v_addc_co_u32_e32 v7, vcc, v5, v7, vcc
	s_mov_b32 s47, 0
	v_mov_b32_e32 v5, 0
	s_mov_b64 s[24:25], s[14:15]
.LBB33_31:                              ;   Parent Loop BB33_15 Depth=1
                                        ;     Parent Loop BB33_29 Depth=2
                                        ; =>    This Inner Loop Header: Depth=3
	global_load_dword v11, v[6:7], off
	s_load_dword s48, s[24:25], 0x0
	s_add_i32 s47, s47, 1
	s_add_u32 s24, s24, 4
	v_add_co_u32_e32 v6, vcc, 4, v6
	s_addc_u32 s25, s25, 0
	v_addc_co_u32_e32 v7, vcc, 0, v7, vcc
	s_cmp_ge_i32 s47, s44
	s_waitcnt vmcnt(0) lgkmcnt(0)
	v_fmac_f32_e32 v5, s48, v11
	s_cbranch_scc0 .LBB33_31
	s_branch .LBB33_28
.LBB33_32:                              ;   in Loop: Header=BB33_15 Depth=1
	s_or_b64 exec, exec, s[2:3]
.LBB33_33:                              ;   in Loop: Header=BB33_15 Depth=1
	v_cmp_gt_i32_e32 vcc, s42, v0
	s_waitcnt lgkmcnt(0)
	s_barrier
	s_and_saveexec_b64 s[2:3], vcc
	s_cbranch_execz .LBB33_14
; %bb.34:                               ;   in Loop: Header=BB33_15 Depth=1
	s_add_i32 s43, s43, 4
	s_mov_b64 s[14:15], 0
	v_mov_b32_e32 v4, v9
	v_mov_b32_e32 v5, v0
.LBB33_35:                              ;   Parent Loop BB33_15 Depth=1
                                        ; =>  This Loop Header: Depth=2
                                        ;       Child Loop BB33_36 Depth 3
	s_mov_b32 s9, -1
	s_mov_b32 s13, 0
	v_mov_b32_e32 v6, 0
	s_mov_b64 s[16:17], 0
	v_mov_b32_e32 v7, v4
.LBB33_36:                              ;   Parent Loop BB33_15 Depth=1
                                        ;     Parent Loop BB33_35 Depth=2
                                        ; =>    This Inner Loop Header: Depth=3
	v_mov_b32_e32 v11, s13
	ds_read_b32 v10, v7
	ds_read_b32 v11, v11
	s_add_i32 s9, s9, 1
	s_add_i32 s13, s13, 4
	v_cmp_eq_u32_e32 vcc, s9, v5
	v_add_u32_e32 v7, s27, v7
	s_or_b64 s[16:17], vcc, s[16:17]
	s_waitcnt lgkmcnt(0)
	v_fmac_f32_e32 v6, v10, v11
	s_andn2_b64 exec, exec, s[16:17]
	s_cbranch_execnz .LBB33_36
; %bb.37:                               ;   in Loop: Header=BB33_35 Depth=2
	s_or_b64 exec, exec, s[16:17]
	v_lshl_add_u32 v7, v5, 2, s43
	v_add_u32_e32 v5, s19, v5
	v_cmp_le_i32_e32 vcc, s42, v5
	s_or_b64 s[14:15], vcc, s[14:15]
	v_add_u32_e32 v4, s38, v4
	ds_write_b32 v7, v6
	s_andn2_b64 exec, exec, s[14:15]
	s_cbranch_execnz .LBB33_35
	s_branch .LBB33_14
.LBB33_38:
	s_and_saveexec_b64 s[2:3], s[0:1]
	s_cbranch_execz .LBB33_50
; %bb.39:
	s_cmp_lg_u32 s18, 1
	s_cselect_b64 s[0:1], -1, 0
	s_cmp_lg_u32 s33, 1
	s_cselect_b64 s[2:3], -1, 0
	s_lshl_b32 s12, s18, 2
	s_or_b64 s[0:1], s[0:1], s[2:3]
	s_add_i32 s2, s12, 0
	v_lshl_add_u32 v4, v0, 2, s2
	s_lshl_b32 s13, s19, 2
	s_mov_b64 s[2:3], 0
	s_xor_b64 s[4:5], s[0:1], -1
	s_branch .LBB33_41
.LBB33_40:                              ;   in Loop: Header=BB33_41 Depth=1
	s_or_b64 exec, exec, s[6:7]
	v_add_u32_e32 v0, s19, v0
	v_cmp_le_i32_e32 vcc, s18, v0
	v_add_u32_e32 v1, s19, v1
	s_or_b64 s[2:3], vcc, s[2:3]
	v_add_u32_e32 v4, s13, v4
	s_andn2_b64 exec, exec, s[2:3]
	s_cbranch_execz .LBB33_50
.LBB33_41:                              ; =>This Loop Header: Depth=1
                                        ;     Child Loop BB33_44 Depth 2
                                        ;     Child Loop BB33_49 Depth 2
	v_cmp_gt_u32_e32 vcc, 6, v1
	v_cmp_lt_u32_e64 s[0:1], 5, v1
	v_mov_b32_e32 v5, 0
	s_and_saveexec_b64 s[6:7], s[0:1]
	s_cbranch_execz .LBB33_47
; %bb.42:                               ;   in Loop: Header=BB33_41 Depth=1
	v_lshlrev_b32_e32 v2, 1, v0
	v_cmp_ge_i32_e64 s[0:1], v2, v0
	s_mov_b64 s[10:11], -1
	s_and_b64 s[0:1], s[4:5], s[0:1]
	v_mov_b32_e32 v5, 0
	s_and_saveexec_b64 s[8:9], s[0:1]
	s_cbranch_execz .LBB33_46
; %bb.43:                               ;   in Loop: Header=BB33_41 Depth=1
	v_and_b32_e32 v5, -4, v1
	s_mov_b32 s14, 0
	s_mov_b64 s[10:11], 0
	v_mov_b32_e32 v2, v4
.LBB33_44:                              ;   Parent Loop BB33_41 Depth=1
                                        ; =>  This Inner Loop Header: Depth=2
	ds_read2_b32 v[6:7], v2 offset1:1
	ds_read2_b32 v[8:9], v2 offset0:2 offset1:3
	v_add_u32_e32 v10, s14, v0
	s_add_i32 s14, s14, 4
	v_ashrrev_i32_e32 v11, 31, v10
	v_cmp_eq_u32_e64 s[0:1], s14, v5
	v_lshlrev_b64 v[10:11], 2, v[10:11]
	v_mov_b32_e32 v3, s35
	s_or_b64 s[10:11], s[0:1], s[10:11]
	v_add_co_u32_e64 v10, s[0:1], s34, v10
	v_add_u32_e32 v2, 16, v2
	v_addc_co_u32_e64 v11, s[0:1], v3, v11, s[0:1]
	s_waitcnt lgkmcnt(0)
	global_store_dwordx4 v[10:11], v[6:9], off
	s_andn2_b64 exec, exec, s[10:11]
	s_cbranch_execnz .LBB33_44
; %bb.45:                               ;   in Loop: Header=BB33_41 Depth=1
	s_or_b64 exec, exec, s[10:11]
	v_cmp_ne_u32_e64 s[0:1], v1, v5
	s_orn2_b64 s[10:11], s[0:1], exec
.LBB33_46:                              ;   in Loop: Header=BB33_41 Depth=1
	s_or_b64 exec, exec, s[8:9]
	s_andn2_b64 s[0:1], vcc, exec
	s_and_b64 s[8:9], s[10:11], exec
	s_or_b64 vcc, s[0:1], s[8:9]
.LBB33_47:                              ;   in Loop: Header=BB33_41 Depth=1
	s_or_b64 exec, exec, s[6:7]
	s_and_saveexec_b64 s[6:7], vcc
	s_cbranch_execz .LBB33_40
; %bb.48:                               ;   in Loop: Header=BB33_41 Depth=1
	v_mad_u64_u32 v[2:3], s[0:1], s33, v5, v[0:1]
	v_mul_lo_u32 v6, s12, v5
	s_mov_b64 s[8:9], 0
.LBB33_49:                              ;   Parent Loop BB33_41 Depth=1
                                        ; =>  This Inner Loop Header: Depth=2
	v_add_u32_e32 v7, v4, v6
	ds_read_b32 v7, v7
	v_ashrrev_i32_e32 v3, 31, v2
	v_add_u32_e32 v5, 1, v5
	v_lshlrev_b64 v[8:9], 2, v[2:3]
	v_mov_b32_e32 v10, s35
	v_cmp_eq_u32_e32 vcc, v1, v5
	v_add_co_u32_e64 v8, s[0:1], s34, v8
	v_add_u32_e32 v6, s12, v6
	v_add_u32_e32 v2, s33, v2
	v_addc_co_u32_e64 v9, s[0:1], v10, v9, s[0:1]
	s_or_b64 s[8:9], vcc, s[8:9]
	s_waitcnt lgkmcnt(0)
	global_store_dword v[8:9], v7, off
	s_andn2_b64 exec, exec, s[8:9]
	s_cbranch_execnz .LBB33_49
	s_branch .LBB33_40
.LBB33_50:
	s_endpgm
	.section	.rodata,"a",@progbits
	.p2align	6, 0x0
	.amdhsa_kernel _ZN9rocsolver6v33100L21larft_kernel_backwardIfPfEEv15rocblas_storev_iiT0_iilPT_lS6_il
		.amdhsa_group_segment_fixed_size 0
		.amdhsa_private_segment_fixed_size 0
		.amdhsa_kernarg_size 336
		.amdhsa_user_sgpr_count 6
		.amdhsa_user_sgpr_private_segment_buffer 1
		.amdhsa_user_sgpr_dispatch_ptr 0
		.amdhsa_user_sgpr_queue_ptr 0
		.amdhsa_user_sgpr_kernarg_segment_ptr 1
		.amdhsa_user_sgpr_dispatch_id 0
		.amdhsa_user_sgpr_flat_scratch_init 0
		.amdhsa_user_sgpr_kernarg_preload_length 0
		.amdhsa_user_sgpr_kernarg_preload_offset 0
		.amdhsa_user_sgpr_private_segment_size 0
		.amdhsa_uses_dynamic_stack 0
		.amdhsa_system_sgpr_private_segment_wavefront_offset 0
		.amdhsa_system_sgpr_workgroup_id_x 1
		.amdhsa_system_sgpr_workgroup_id_y 1
		.amdhsa_system_sgpr_workgroup_id_z 0
		.amdhsa_system_sgpr_workgroup_info 0
		.amdhsa_system_vgpr_workitem_id 0
		.amdhsa_next_free_vgpr 13
		.amdhsa_next_free_sgpr 49
		.amdhsa_accum_offset 16
		.amdhsa_reserve_vcc 1
		.amdhsa_reserve_flat_scratch 0
		.amdhsa_float_round_mode_32 0
		.amdhsa_float_round_mode_16_64 0
		.amdhsa_float_denorm_mode_32 3
		.amdhsa_float_denorm_mode_16_64 3
		.amdhsa_dx10_clamp 1
		.amdhsa_ieee_mode 1
		.amdhsa_fp16_overflow 0
		.amdhsa_tg_split 0
		.amdhsa_exception_fp_ieee_invalid_op 0
		.amdhsa_exception_fp_denorm_src 0
		.amdhsa_exception_fp_ieee_div_zero 0
		.amdhsa_exception_fp_ieee_overflow 0
		.amdhsa_exception_fp_ieee_underflow 0
		.amdhsa_exception_fp_ieee_inexact 0
		.amdhsa_exception_int_div_zero 0
	.end_amdhsa_kernel
	.section	.text._ZN9rocsolver6v33100L21larft_kernel_backwardIfPfEEv15rocblas_storev_iiT0_iilPT_lS6_il,"axG",@progbits,_ZN9rocsolver6v33100L21larft_kernel_backwardIfPfEEv15rocblas_storev_iiT0_iilPT_lS6_il,comdat
.Lfunc_end33:
	.size	_ZN9rocsolver6v33100L21larft_kernel_backwardIfPfEEv15rocblas_storev_iiT0_iilPT_lS6_il, .Lfunc_end33-_ZN9rocsolver6v33100L21larft_kernel_backwardIfPfEEv15rocblas_storev_iiT0_iilPT_lS6_il
                                        ; -- End function
	.section	.AMDGPU.csdata,"",@progbits
; Kernel info:
; codeLenInByte = 1980
; NumSgprs: 53
; NumVgprs: 13
; NumAgprs: 0
; TotalNumVgprs: 13
; ScratchSize: 0
; MemoryBound: 0
; FloatMode: 240
; IeeeMode: 1
; LDSByteSize: 0 bytes/workgroup (compile time only)
; SGPRBlocks: 6
; VGPRBlocks: 1
; NumSGPRsForWavesPerEU: 53
; NumVGPRsForWavesPerEU: 13
; AccumOffset: 16
; Occupancy: 8
; WaveLimiterHint : 0
; COMPUTE_PGM_RSRC2:SCRATCH_EN: 0
; COMPUTE_PGM_RSRC2:USER_SGPR: 6
; COMPUTE_PGM_RSRC2:TRAP_HANDLER: 0
; COMPUTE_PGM_RSRC2:TGID_X_EN: 1
; COMPUTE_PGM_RSRC2:TGID_Y_EN: 1
; COMPUTE_PGM_RSRC2:TGID_Z_EN: 0
; COMPUTE_PGM_RSRC2:TIDIG_COMP_CNT: 0
; COMPUTE_PGM_RSRC3_GFX90A:ACCUM_OFFSET: 3
; COMPUTE_PGM_RSRC3_GFX90A:TG_SPLIT: 0
	.section	.text._ZN9rocsolver6v33100L9copymatA1IfPfEEviiT0_iilPT_,"axG",@progbits,_ZN9rocsolver6v33100L9copymatA1IfPfEEviiT0_iilPT_,comdat
	.globl	_ZN9rocsolver6v33100L9copymatA1IfPfEEviiT0_iilPT_ ; -- Begin function _ZN9rocsolver6v33100L9copymatA1IfPfEEviiT0_iilPT_
	.p2align	8
	.type	_ZN9rocsolver6v33100L9copymatA1IfPfEEviiT0_iilPT_,@function
_ZN9rocsolver6v33100L9copymatA1IfPfEEviiT0_iilPT_: ; @_ZN9rocsolver6v33100L9copymatA1IfPfEEviiT0_iilPT_
; %bb.0:
	s_load_dword s0, s[4:5], 0x34
	s_load_dwordx2 s[2:3], s[4:5], 0x0
	v_and_b32_e32 v1, 0x3ff, v0
	v_bfe_u32 v0, v0, 10, 10
	s_waitcnt lgkmcnt(0)
	s_lshr_b32 s1, s0, 16
	s_and_b32 s0, s0, 0xffff
	s_mul_i32 s6, s6, s0
	s_mul_i32 s7, s7, s1
	v_add_u32_e32 v1, s6, v1
	v_add_u32_e32 v0, s7, v0
	v_cmp_gt_u32_e32 vcc, s2, v0
	v_cmp_gt_u32_e64 s[0:1], s3, v1
	s_and_b64 s[0:1], s[0:1], vcc
	s_and_saveexec_b64 s[6:7], s[0:1]
	s_cbranch_execz .LBB34_2
; %bb.1:
	s_ashr_i32 s0, s2, 31
	s_load_dwordx8 s[12:19], s[4:5], 0x8
	s_mul_hi_u32 s4, s2, s8
	s_mul_i32 s0, s0, s8
	s_ashr_i32 s1, s3, 31
	s_add_i32 s0, s4, s0
	s_mul_i32 s4, s2, s8
	s_mul_i32 s1, s4, s1
	s_mul_hi_u32 s5, s4, s3
	s_add_i32 s1, s5, s1
	s_mul_i32 s0, s0, s3
	s_add_i32 s1, s1, s0
	s_mul_i32 s0, s4, s3
	s_lshl_b64 s[0:1], s[0:1], 2
	s_waitcnt lgkmcnt(0)
	s_add_u32 s3, s18, s0
	s_mul_i32 s4, s8, s17
	s_mul_hi_u32 s5, s8, s16
	s_addc_u32 s6, s19, s1
	s_add_i32 s5, s5, s4
	s_mul_i32 s4, s8, s16
	s_ashr_i32 s1, s14, 31
	s_lshl_b64 s[4:5], s[4:5], 2
	s_mov_b32 s0, s14
	s_add_u32 s4, s12, s4
	s_addc_u32 s5, s13, s5
	s_lshl_b64 s[0:1], s[0:1], 2
	s_add_u32 s4, s4, s0
	s_addc_u32 s5, s5, s1
	v_mad_u64_u32 v[2:3], s[0:1], v1, s15, v[0:1]
	v_mov_b32_e32 v3, 0
	v_lshlrev_b64 v[4:5], 2, v[2:3]
	v_mov_b32_e32 v2, s5
	v_add_co_u32_e32 v4, vcc, s4, v4
	v_addc_co_u32_e32 v5, vcc, v2, v5, vcc
	global_load_dword v2, v[4:5], off
	v_mad_u64_u32 v[0:1], s[0:1], v1, s2, v[0:1]
	v_mov_b32_e32 v1, v3
	v_lshlrev_b64 v[0:1], 2, v[0:1]
	v_mov_b32_e32 v3, s6
	v_add_co_u32_e32 v0, vcc, s3, v0
	v_addc_co_u32_e32 v1, vcc, v3, v1, vcc
	s_waitcnt vmcnt(0)
	global_store_dword v[0:1], v2, off
.LBB34_2:
	s_endpgm
	.section	.rodata,"a",@progbits
	.p2align	6, 0x0
	.amdhsa_kernel _ZN9rocsolver6v33100L9copymatA1IfPfEEviiT0_iilPT_
		.amdhsa_group_segment_fixed_size 0
		.amdhsa_private_segment_fixed_size 0
		.amdhsa_kernarg_size 296
		.amdhsa_user_sgpr_count 6
		.amdhsa_user_sgpr_private_segment_buffer 1
		.amdhsa_user_sgpr_dispatch_ptr 0
		.amdhsa_user_sgpr_queue_ptr 0
		.amdhsa_user_sgpr_kernarg_segment_ptr 1
		.amdhsa_user_sgpr_dispatch_id 0
		.amdhsa_user_sgpr_flat_scratch_init 0
		.amdhsa_user_sgpr_kernarg_preload_length 0
		.amdhsa_user_sgpr_kernarg_preload_offset 0
		.amdhsa_user_sgpr_private_segment_size 0
		.amdhsa_uses_dynamic_stack 0
		.amdhsa_system_sgpr_private_segment_wavefront_offset 0
		.amdhsa_system_sgpr_workgroup_id_x 1
		.amdhsa_system_sgpr_workgroup_id_y 1
		.amdhsa_system_sgpr_workgroup_id_z 1
		.amdhsa_system_sgpr_workgroup_info 0
		.amdhsa_system_vgpr_workitem_id 1
		.amdhsa_next_free_vgpr 6
		.amdhsa_next_free_sgpr 20
		.amdhsa_accum_offset 8
		.amdhsa_reserve_vcc 1
		.amdhsa_reserve_flat_scratch 0
		.amdhsa_float_round_mode_32 0
		.amdhsa_float_round_mode_16_64 0
		.amdhsa_float_denorm_mode_32 3
		.amdhsa_float_denorm_mode_16_64 3
		.amdhsa_dx10_clamp 1
		.amdhsa_ieee_mode 1
		.amdhsa_fp16_overflow 0
		.amdhsa_tg_split 0
		.amdhsa_exception_fp_ieee_invalid_op 0
		.amdhsa_exception_fp_denorm_src 0
		.amdhsa_exception_fp_ieee_div_zero 0
		.amdhsa_exception_fp_ieee_overflow 0
		.amdhsa_exception_fp_ieee_underflow 0
		.amdhsa_exception_fp_ieee_inexact 0
		.amdhsa_exception_int_div_zero 0
	.end_amdhsa_kernel
	.section	.text._ZN9rocsolver6v33100L9copymatA1IfPfEEviiT0_iilPT_,"axG",@progbits,_ZN9rocsolver6v33100L9copymatA1IfPfEEviiT0_iilPT_,comdat
.Lfunc_end34:
	.size	_ZN9rocsolver6v33100L9copymatA1IfPfEEviiT0_iilPT_, .Lfunc_end34-_ZN9rocsolver6v33100L9copymatA1IfPfEEviiT0_iilPT_
                                        ; -- End function
	.section	.AMDGPU.csdata,"",@progbits
; Kernel info:
; codeLenInByte = 296
; NumSgprs: 24
; NumVgprs: 6
; NumAgprs: 0
; TotalNumVgprs: 6
; ScratchSize: 0
; MemoryBound: 0
; FloatMode: 240
; IeeeMode: 1
; LDSByteSize: 0 bytes/workgroup (compile time only)
; SGPRBlocks: 2
; VGPRBlocks: 0
; NumSGPRsForWavesPerEU: 24
; NumVGPRsForWavesPerEU: 6
; AccumOffset: 8
; Occupancy: 8
; WaveLimiterHint : 0
; COMPUTE_PGM_RSRC2:SCRATCH_EN: 0
; COMPUTE_PGM_RSRC2:USER_SGPR: 6
; COMPUTE_PGM_RSRC2:TRAP_HANDLER: 0
; COMPUTE_PGM_RSRC2:TGID_X_EN: 1
; COMPUTE_PGM_RSRC2:TGID_Y_EN: 1
; COMPUTE_PGM_RSRC2:TGID_Z_EN: 1
; COMPUTE_PGM_RSRC2:TIDIG_COMP_CNT: 1
; COMPUTE_PGM_RSRC3_GFX90A:ACCUM_OFFSET: 1
; COMPUTE_PGM_RSRC3_GFX90A:TG_SPLIT: 0
	.section	.text._ZN9rocsolver6v33100L8addmatA1IfPfEEviiT0_iilPT_,"axG",@progbits,_ZN9rocsolver6v33100L8addmatA1IfPfEEviiT0_iilPT_,comdat
	.globl	_ZN9rocsolver6v33100L8addmatA1IfPfEEviiT0_iilPT_ ; -- Begin function _ZN9rocsolver6v33100L8addmatA1IfPfEEviiT0_iilPT_
	.p2align	8
	.type	_ZN9rocsolver6v33100L8addmatA1IfPfEEviiT0_iilPT_,@function
_ZN9rocsolver6v33100L8addmatA1IfPfEEviiT0_iilPT_: ; @_ZN9rocsolver6v33100L8addmatA1IfPfEEviiT0_iilPT_
; %bb.0:
	s_load_dword s0, s[4:5], 0x34
	s_load_dwordx2 s[10:11], s[4:5], 0x0
	v_and_b32_e32 v1, 0x3ff, v0
	v_bfe_u32 v0, v0, 10, 10
	s_waitcnt lgkmcnt(0)
	s_lshr_b32 s1, s0, 16
	s_and_b32 s0, s0, 0xffff
	s_mul_i32 s6, s6, s0
	s_mul_i32 s7, s7, s1
	v_add_u32_e32 v1, s6, v1
	v_add_u32_e32 v0, s7, v0
	v_cmp_gt_u32_e32 vcc, s10, v0
	v_cmp_gt_u32_e64 s[0:1], s11, v1
	s_and_b64 s[0:1], s[0:1], vcc
	s_and_saveexec_b64 s[2:3], s[0:1]
	s_cbranch_execz .LBB35_2
; %bb.1:
	s_ashr_i32 s9, s10, 31
	s_load_dwordx8 s[0:7], s[4:5], 0x8
	s_ashr_i32 s12, s11, 31
	s_mul_hi_u32 s13, s10, s8
	s_mul_i32 s9, s9, s8
	s_mul_i32 s14, s10, s8
	s_add_i32 s9, s13, s9
	s_mul_i32 s12, s14, s12
	s_mul_hi_u32 s13, s14, s11
	s_add_i32 s12, s13, s12
	s_mul_i32 s9, s9, s11
	s_add_i32 s13, s12, s9
	s_mul_i32 s12, s14, s11
	s_lshl_b64 s[12:13], s[12:13], 2
	s_waitcnt lgkmcnt(0)
	s_add_u32 s9, s6, s12
	s_addc_u32 s11, s7, s13
	s_ashr_i32 s7, s2, 31
	s_mov_b32 s6, s2
	s_mul_i32 s2, s8, s5
	s_mul_hi_u32 s5, s8, s4
	s_add_i32 s5, s5, s2
	s_mul_i32 s4, s8, s4
	s_lshl_b64 s[4:5], s[4:5], 2
	s_add_u32 s2, s0, s4
	s_addc_u32 s4, s1, s5
	s_lshl_b64 s[0:1], s[6:7], 2
	s_add_u32 s2, s2, s0
	s_addc_u32 s4, s4, s1
	v_mad_u64_u32 v[2:3], s[0:1], v1, s10, v[0:1]
	v_mov_b32_e32 v3, 0
	v_lshlrev_b64 v[4:5], 2, v[2:3]
	v_mad_u64_u32 v[0:1], s[0:1], v1, s3, v[0:1]
	v_mov_b32_e32 v2, s11
	v_add_co_u32_e32 v4, vcc, s9, v4
	v_mov_b32_e32 v1, v3
	v_addc_co_u32_e32 v5, vcc, v2, v5, vcc
	v_lshlrev_b64 v[0:1], 2, v[0:1]
	v_mov_b32_e32 v3, s4
	v_add_co_u32_e32 v0, vcc, s2, v0
	v_addc_co_u32_e32 v1, vcc, v3, v1, vcc
	global_load_dword v2, v[4:5], off
	global_load_dword v3, v[0:1], off
	s_waitcnt vmcnt(0)
	v_sub_f32_e32 v2, v3, v2
	global_store_dword v[0:1], v2, off
.LBB35_2:
	s_endpgm
	.section	.rodata,"a",@progbits
	.p2align	6, 0x0
	.amdhsa_kernel _ZN9rocsolver6v33100L8addmatA1IfPfEEviiT0_iilPT_
		.amdhsa_group_segment_fixed_size 0
		.amdhsa_private_segment_fixed_size 0
		.amdhsa_kernarg_size 296
		.amdhsa_user_sgpr_count 6
		.amdhsa_user_sgpr_private_segment_buffer 1
		.amdhsa_user_sgpr_dispatch_ptr 0
		.amdhsa_user_sgpr_queue_ptr 0
		.amdhsa_user_sgpr_kernarg_segment_ptr 1
		.amdhsa_user_sgpr_dispatch_id 0
		.amdhsa_user_sgpr_flat_scratch_init 0
		.amdhsa_user_sgpr_kernarg_preload_length 0
		.amdhsa_user_sgpr_kernarg_preload_offset 0
		.amdhsa_user_sgpr_private_segment_size 0
		.amdhsa_uses_dynamic_stack 0
		.amdhsa_system_sgpr_private_segment_wavefront_offset 0
		.amdhsa_system_sgpr_workgroup_id_x 1
		.amdhsa_system_sgpr_workgroup_id_y 1
		.amdhsa_system_sgpr_workgroup_id_z 1
		.amdhsa_system_sgpr_workgroup_info 0
		.amdhsa_system_vgpr_workitem_id 1
		.amdhsa_next_free_vgpr 6
		.amdhsa_next_free_sgpr 15
		.amdhsa_accum_offset 8
		.amdhsa_reserve_vcc 1
		.amdhsa_reserve_flat_scratch 0
		.amdhsa_float_round_mode_32 0
		.amdhsa_float_round_mode_16_64 0
		.amdhsa_float_denorm_mode_32 3
		.amdhsa_float_denorm_mode_16_64 3
		.amdhsa_dx10_clamp 1
		.amdhsa_ieee_mode 1
		.amdhsa_fp16_overflow 0
		.amdhsa_tg_split 0
		.amdhsa_exception_fp_ieee_invalid_op 0
		.amdhsa_exception_fp_denorm_src 0
		.amdhsa_exception_fp_ieee_div_zero 0
		.amdhsa_exception_fp_ieee_overflow 0
		.amdhsa_exception_fp_ieee_underflow 0
		.amdhsa_exception_fp_ieee_inexact 0
		.amdhsa_exception_int_div_zero 0
	.end_amdhsa_kernel
	.section	.text._ZN9rocsolver6v33100L8addmatA1IfPfEEviiT0_iilPT_,"axG",@progbits,_ZN9rocsolver6v33100L8addmatA1IfPfEEviiT0_iilPT_,comdat
.Lfunc_end35:
	.size	_ZN9rocsolver6v33100L8addmatA1IfPfEEviiT0_iilPT_, .Lfunc_end35-_ZN9rocsolver6v33100L8addmatA1IfPfEEviiT0_iilPT_
                                        ; -- End function
	.section	.AMDGPU.csdata,"",@progbits
; Kernel info:
; codeLenInByte = 308
; NumSgprs: 19
; NumVgprs: 6
; NumAgprs: 0
; TotalNumVgprs: 6
; ScratchSize: 0
; MemoryBound: 0
; FloatMode: 240
; IeeeMode: 1
; LDSByteSize: 0 bytes/workgroup (compile time only)
; SGPRBlocks: 2
; VGPRBlocks: 0
; NumSGPRsForWavesPerEU: 19
; NumVGPRsForWavesPerEU: 6
; AccumOffset: 8
; Occupancy: 8
; WaveLimiterHint : 0
; COMPUTE_PGM_RSRC2:SCRATCH_EN: 0
; COMPUTE_PGM_RSRC2:USER_SGPR: 6
; COMPUTE_PGM_RSRC2:TRAP_HANDLER: 0
; COMPUTE_PGM_RSRC2:TGID_X_EN: 1
; COMPUTE_PGM_RSRC2:TGID_Y_EN: 1
; COMPUTE_PGM_RSRC2:TGID_Z_EN: 1
; COMPUTE_PGM_RSRC2:TIDIG_COMP_CNT: 1
; COMPUTE_PGM_RSRC3_GFX90A:ACCUM_OFFSET: 1
; COMPUTE_PGM_RSRC3_GFX90A:TG_SPLIT: 0
	.section	.text._ZN9rocsolver6v33100L15gesvdj_finalizeIffEEviPT0_lPT_ilS5_il,"axG",@progbits,_ZN9rocsolver6v33100L15gesvdj_finalizeIffEEviPT0_lPT_ilS5_il,comdat
	.globl	_ZN9rocsolver6v33100L15gesvdj_finalizeIffEEviPT0_lPT_ilS5_il ; -- Begin function _ZN9rocsolver6v33100L15gesvdj_finalizeIffEEviPT0_lPT_ilS5_il
	.p2align	8
	.type	_ZN9rocsolver6v33100L15gesvdj_finalizeIffEEviPT0_lPT_ilS5_il,@function
_ZN9rocsolver6v33100L15gesvdj_finalizeIffEEviPT0_lPT_ilS5_il: ; @_ZN9rocsolver6v33100L15gesvdj_finalizeIffEEviPT0_lPT_ilS5_il
; %bb.0:
	s_load_dword s0, s[4:5], 0x54
	s_load_dword s8, s[4:5], 0x0
	s_mov_b32 s2, 0
	s_waitcnt lgkmcnt(0)
	s_and_b32 s0, s0, 0xffff
	s_mul_i32 s6, s6, s0
	v_add_u32_e32 v0, s6, v0
	v_max_i32_e32 v1, 0, v0
	v_cmp_gt_i32_e32 vcc, s8, v1
	s_and_saveexec_b64 s[0:1], vcc
	s_cbranch_execz .LBB36_7
; %bb.1:
	s_load_dwordx4 s[12:15], s[4:5], 0x8
	s_load_dwordx2 s[0:1], s[4:5], 0x18
	s_load_dword s3, s[4:5], 0x20
	s_load_dwordx4 s[16:19], s[4:5], 0x28
	s_load_dword s9, s[4:5], 0x38
	s_load_dwordx2 s[20:21], s[4:5], 0x40
	s_ashr_i32 s6, s7, 31
	s_waitcnt lgkmcnt(0)
	s_mul_i32 s4, s7, s15
	s_mul_hi_u32 s5, s7, s14
	s_add_i32 s4, s5, s4
	s_mul_i32 s5, s6, s14
	s_add_i32 s5, s4, s5
	s_mul_i32 s4, s7, s14
	s_lshl_b64 s[4:5], s[4:5], 2
	s_add_u32 s4, s12, s4
	s_mul_i32 s10, s7, s17
	s_mul_hi_u32 s11, s7, s16
	s_addc_u32 s5, s13, s5
	s_add_i32 s10, s11, s10
	s_mul_i32 s11, s6, s16
	s_add_i32 s11, s10, s11
	s_mul_i32 s10, s7, s16
	s_lshl_b64 s[10:11], s[10:11], 2
	s_add_u32 s10, s0, s10
	s_addc_u32 s11, s1, s11
	s_mul_i32 s0, s7, s21
	s_mul_hi_u32 s1, s7, s20
	s_add_i32 s0, s1, s0
	s_mul_i32 s6, s6, s20
	s_add_i32 s1, s0, s6
	s_mul_i32 s0, s7, s20
	s_lshl_b64 s[0:1], s[0:1], 2
	s_add_u32 s12, s18, s0
	s_addc_u32 s13, s19, s1
	s_add_i32 s14, s3, 1
	v_cmp_eq_u32_e64 s[0:1], 0, v0
	v_mov_b32_e32 v2, 0
	s_branch .LBB36_3
.LBB36_2:                               ;   in Loop: Header=BB36_3 Depth=1
	s_add_i32 s8, s8, -1
	s_add_i32 s2, s2, s14
	s_add_u32 s4, s4, 4
	s_addc_u32 s5, s5, 0
	s_cmp_lg_u32 s8, 0
	v_add_u32_e32 v0, s9, v0
	s_cbranch_scc0 .LBB36_7
.LBB36_3:                               ; =>This Inner Loop Header: Depth=1
	s_ashr_i32 s3, s2, 31
	s_lshl_b64 s[6:7], s[2:3], 2
	s_add_u32 s6, s10, s6
	s_addc_u32 s7, s11, s7
	global_load_dword v1, v2, s[6:7]
	s_and_saveexec_b64 s[6:7], s[0:1]
	s_cbranch_execz .LBB36_5
; %bb.4:                                ;   in Loop: Header=BB36_3 Depth=1
	s_waitcnt vmcnt(0)
	v_and_b32_e32 v3, 0x7fffffff, v1
	global_store_dword v2, v3, s[4:5]
.LBB36_5:                               ;   in Loop: Header=BB36_3 Depth=1
	s_or_b64 exec, exec, s[6:7]
	s_waitcnt vmcnt(0)
	v_cmp_ngt_f32_e32 vcc, 0, v1
	s_cbranch_vccnz .LBB36_2
; %bb.6:                                ;   in Loop: Header=BB36_3 Depth=1
	v_ashrrev_i32_e32 v1, 31, v0
	v_lshlrev_b64 v[4:5], 2, v[0:1]
	v_mov_b32_e32 v1, s13
	v_add_co_u32_e32 v4, vcc, s12, v4
	v_addc_co_u32_e32 v5, vcc, v1, v5, vcc
	global_load_dword v1, v[4:5], off
	s_waitcnt vmcnt(0)
	v_xor_b32_e32 v1, 0x80000000, v1
	global_store_dword v[4:5], v1, off
	s_branch .LBB36_2
.LBB36_7:
	s_endpgm
	.section	.rodata,"a",@progbits
	.p2align	6, 0x0
	.amdhsa_kernel _ZN9rocsolver6v33100L15gesvdj_finalizeIffEEviPT0_lPT_ilS5_il
		.amdhsa_group_segment_fixed_size 0
		.amdhsa_private_segment_fixed_size 0
		.amdhsa_kernarg_size 328
		.amdhsa_user_sgpr_count 6
		.amdhsa_user_sgpr_private_segment_buffer 1
		.amdhsa_user_sgpr_dispatch_ptr 0
		.amdhsa_user_sgpr_queue_ptr 0
		.amdhsa_user_sgpr_kernarg_segment_ptr 1
		.amdhsa_user_sgpr_dispatch_id 0
		.amdhsa_user_sgpr_flat_scratch_init 0
		.amdhsa_user_sgpr_kernarg_preload_length 0
		.amdhsa_user_sgpr_kernarg_preload_offset 0
		.amdhsa_user_sgpr_private_segment_size 0
		.amdhsa_uses_dynamic_stack 0
		.amdhsa_system_sgpr_private_segment_wavefront_offset 0
		.amdhsa_system_sgpr_workgroup_id_x 1
		.amdhsa_system_sgpr_workgroup_id_y 1
		.amdhsa_system_sgpr_workgroup_id_z 0
		.amdhsa_system_sgpr_workgroup_info 0
		.amdhsa_system_vgpr_workitem_id 0
		.amdhsa_next_free_vgpr 6
		.amdhsa_next_free_sgpr 22
		.amdhsa_accum_offset 8
		.amdhsa_reserve_vcc 1
		.amdhsa_reserve_flat_scratch 0
		.amdhsa_float_round_mode_32 0
		.amdhsa_float_round_mode_16_64 0
		.amdhsa_float_denorm_mode_32 3
		.amdhsa_float_denorm_mode_16_64 3
		.amdhsa_dx10_clamp 1
		.amdhsa_ieee_mode 1
		.amdhsa_fp16_overflow 0
		.amdhsa_tg_split 0
		.amdhsa_exception_fp_ieee_invalid_op 0
		.amdhsa_exception_fp_denorm_src 0
		.amdhsa_exception_fp_ieee_div_zero 0
		.amdhsa_exception_fp_ieee_overflow 0
		.amdhsa_exception_fp_ieee_underflow 0
		.amdhsa_exception_fp_ieee_inexact 0
		.amdhsa_exception_int_div_zero 0
	.end_amdhsa_kernel
	.section	.text._ZN9rocsolver6v33100L15gesvdj_finalizeIffEEviPT0_lPT_ilS5_il,"axG",@progbits,_ZN9rocsolver6v33100L15gesvdj_finalizeIffEEviPT0_lPT_ilS5_il,comdat
.Lfunc_end36:
	.size	_ZN9rocsolver6v33100L15gesvdj_finalizeIffEEviPT0_lPT_ilS5_il, .Lfunc_end36-_ZN9rocsolver6v33100L15gesvdj_finalizeIffEEviPT0_lPT_ilS5_il
                                        ; -- End function
	.section	.AMDGPU.csdata,"",@progbits
; Kernel info:
; codeLenInByte = 396
; NumSgprs: 26
; NumVgprs: 6
; NumAgprs: 0
; TotalNumVgprs: 6
; ScratchSize: 0
; MemoryBound: 0
; FloatMode: 240
; IeeeMode: 1
; LDSByteSize: 0 bytes/workgroup (compile time only)
; SGPRBlocks: 3
; VGPRBlocks: 0
; NumSGPRsForWavesPerEU: 26
; NumVGPRsForWavesPerEU: 6
; AccumOffset: 8
; Occupancy: 8
; WaveLimiterHint : 0
; COMPUTE_PGM_RSRC2:SCRATCH_EN: 0
; COMPUTE_PGM_RSRC2:USER_SGPR: 6
; COMPUTE_PGM_RSRC2:TRAP_HANDLER: 0
; COMPUTE_PGM_RSRC2:TGID_X_EN: 1
; COMPUTE_PGM_RSRC2:TGID_Y_EN: 1
; COMPUTE_PGM_RSRC2:TGID_Z_EN: 0
; COMPUTE_PGM_RSRC2:TIDIG_COMP_CNT: 0
; COMPUTE_PGM_RSRC3_GFX90A:ACCUM_OFFSET: 1
; COMPUTE_PGM_RSRC3_GFX90A:TG_SPLIT: 0
	.section	.text._ZN9rocsolver6v33100L16org2r_init_identIfPfEEviiiT0_iil,"axG",@progbits,_ZN9rocsolver6v33100L16org2r_init_identIfPfEEviiiT0_iil,comdat
	.globl	_ZN9rocsolver6v33100L16org2r_init_identIfPfEEviiiT0_iil ; -- Begin function _ZN9rocsolver6v33100L16org2r_init_identIfPfEEviiiT0_iil
	.p2align	8
	.type	_ZN9rocsolver6v33100L16org2r_init_identIfPfEEviiiT0_iil,@function
_ZN9rocsolver6v33100L16org2r_init_identIfPfEEviiiT0_iil: ; @_ZN9rocsolver6v33100L16org2r_init_identIfPfEEviiiT0_iil
; %bb.0:
	s_load_dword s9, s[4:5], 0x34
	s_load_dwordx4 s[0:3], s[4:5], 0x0
	v_bfe_u32 v1, v0, 10, 10
	v_and_b32_e32 v0, 0x3ff, v0
	s_waitcnt lgkmcnt(0)
	s_lshr_b32 s3, s9, 16
	s_and_b32 s9, s9, 0xffff
	s_mul_i32 s7, s7, s3
	s_mul_i32 s6, s6, s9
	v_add_u32_e32 v2, s7, v1
	v_add_u32_e32 v4, s6, v0
	v_cmp_gt_u32_e32 vcc, s0, v4
	v_cmp_gt_u32_e64 s[0:1], s1, v2
	s_and_b64 s[0:1], vcc, s[0:1]
	s_and_saveexec_b64 s[6:7], s[0:1]
	s_cbranch_execz .LBB37_5
; %bb.1:
	s_load_dwordx2 s[0:1], s[4:5], 0x18
	v_cmp_ne_u32_e32 vcc, v4, v2
	s_mov_b64 s[10:11], 0
                                        ; implicit-def: $vgpr3
                                        ; implicit-def: $vgpr0
	s_and_saveexec_b64 s[6:7], vcc
	s_xor_b64 s[6:7], exec, s[6:7]
	s_cbranch_execnz .LBB37_6
; %bb.2:
	s_andn2_saveexec_b64 s[2:3], s[6:7]
	s_cbranch_execnz .LBB37_13
.LBB37_3:
	s_or_b64 exec, exec, s[2:3]
	s_and_b64 exec, exec, s[10:11]
	s_cbranch_execz .LBB37_5
.LBB37_4:
	s_load_dwordx2 s[2:3], s[4:5], 0x20
	s_load_dwordx2 s[6:7], s[4:5], 0x10
	s_waitcnt lgkmcnt(0)
	s_ashr_i32 s1, s0, 31
	v_mov_b32_e32 v1, 0
	v_lshlrev_b64 v[0:1], 2, v[0:1]
	s_mul_i32 s3, s8, s3
	s_mul_hi_u32 s4, s8, s2
	s_mul_i32 s2, s8, s2
	s_add_i32 s3, s4, s3
	s_lshl_b64 s[2:3], s[2:3], 2
	s_add_u32 s2, s6, s2
	s_addc_u32 s3, s7, s3
	s_lshl_b64 s[0:1], s[0:1], 2
	s_add_u32 s0, s2, s0
	s_addc_u32 s1, s3, s1
	v_mov_b32_e32 v2, s1
	v_add_co_u32_e32 v0, vcc, s0, v0
	v_addc_co_u32_e32 v1, vcc, v2, v1, vcc
	global_store_dword v[0:1], v3, off
.LBB37_5:
	s_endpgm
.LBB37_6:
	v_cmp_le_u32_e32 vcc, v2, v4
                                        ; implicit-def: $sgpr9
                                        ; implicit-def: $vgpr0
	s_and_saveexec_b64 s[12:13], vcc
	s_xor_b64 s[12:13], exec, s[12:13]
	s_cbranch_execz .LBB37_10
; %bb.7:
	v_cmp_le_u32_e32 vcc, s2, v2
	s_mov_b64 s[2:3], 0
                                        ; implicit-def: $sgpr9
                                        ; implicit-def: $vgpr0
	s_and_saveexec_b64 s[10:11], vcc
	s_xor_b64 s[10:11], exec, s[10:11]
	s_cbranch_execz .LBB37_9
; %bb.8:
	s_mov_b64 s[2:3], exec
	s_waitcnt lgkmcnt(0)
	v_mad_u64_u32 v[0:1], s[14:15], v2, s1, v[4:5]
	s_mov_b32 s9, 0
.LBB37_9:
	s_or_b64 exec, exec, s[10:11]
	s_and_b64 s[10:11], s[2:3], exec
                                        ; implicit-def: $vgpr4
                                        ; implicit-def: $vgpr2
.LBB37_10:
	s_or_saveexec_b64 s[2:3], s[12:13]
	v_mov_b32_e32 v3, s9
	s_xor_b64 exec, exec, s[2:3]
	s_cbranch_execz .LBB37_12
; %bb.11:
	s_waitcnt lgkmcnt(0)
	v_mad_u64_u32 v[0:1], s[12:13], v2, s1, v[4:5]
	v_mov_b32_e32 v3, 0
	s_or_b64 s[10:11], s[10:11], exec
.LBB37_12:
	s_or_b64 exec, exec, s[2:3]
	s_and_b64 s[10:11], s[10:11], exec
                                        ; implicit-def: $vgpr2
	s_andn2_saveexec_b64 s[2:3], s[6:7]
	s_cbranch_execz .LBB37_3
.LBB37_13:
	s_waitcnt lgkmcnt(0)
	v_mad_u64_u32 v[0:1], s[6:7], v2, s1, v[2:3]
	v_mov_b32_e32 v3, 1.0
	s_or_b64 s[10:11], s[10:11], exec
	s_or_b64 exec, exec, s[2:3]
	s_and_b64 exec, exec, s[10:11]
	s_cbranch_execnz .LBB37_4
	s_branch .LBB37_5
	.section	.rodata,"a",@progbits
	.p2align	6, 0x0
	.amdhsa_kernel _ZN9rocsolver6v33100L16org2r_init_identIfPfEEviiiT0_iil
		.amdhsa_group_segment_fixed_size 0
		.amdhsa_private_segment_fixed_size 0
		.amdhsa_kernarg_size 296
		.amdhsa_user_sgpr_count 6
		.amdhsa_user_sgpr_private_segment_buffer 1
		.amdhsa_user_sgpr_dispatch_ptr 0
		.amdhsa_user_sgpr_queue_ptr 0
		.amdhsa_user_sgpr_kernarg_segment_ptr 1
		.amdhsa_user_sgpr_dispatch_id 0
		.amdhsa_user_sgpr_flat_scratch_init 0
		.amdhsa_user_sgpr_kernarg_preload_length 0
		.amdhsa_user_sgpr_kernarg_preload_offset 0
		.amdhsa_user_sgpr_private_segment_size 0
		.amdhsa_uses_dynamic_stack 0
		.amdhsa_system_sgpr_private_segment_wavefront_offset 0
		.amdhsa_system_sgpr_workgroup_id_x 1
		.amdhsa_system_sgpr_workgroup_id_y 1
		.amdhsa_system_sgpr_workgroup_id_z 1
		.amdhsa_system_sgpr_workgroup_info 0
		.amdhsa_system_vgpr_workitem_id 1
		.amdhsa_next_free_vgpr 6
		.amdhsa_next_free_sgpr 16
		.amdhsa_accum_offset 8
		.amdhsa_reserve_vcc 1
		.amdhsa_reserve_flat_scratch 0
		.amdhsa_float_round_mode_32 0
		.amdhsa_float_round_mode_16_64 0
		.amdhsa_float_denorm_mode_32 3
		.amdhsa_float_denorm_mode_16_64 3
		.amdhsa_dx10_clamp 1
		.amdhsa_ieee_mode 1
		.amdhsa_fp16_overflow 0
		.amdhsa_tg_split 0
		.amdhsa_exception_fp_ieee_invalid_op 0
		.amdhsa_exception_fp_denorm_src 0
		.amdhsa_exception_fp_ieee_div_zero 0
		.amdhsa_exception_fp_ieee_overflow 0
		.amdhsa_exception_fp_ieee_underflow 0
		.amdhsa_exception_fp_ieee_inexact 0
		.amdhsa_exception_int_div_zero 0
	.end_amdhsa_kernel
	.section	.text._ZN9rocsolver6v33100L16org2r_init_identIfPfEEviiiT0_iil,"axG",@progbits,_ZN9rocsolver6v33100L16org2r_init_identIfPfEEviiiT0_iil,comdat
.Lfunc_end37:
	.size	_ZN9rocsolver6v33100L16org2r_init_identIfPfEEviiiT0_iil, .Lfunc_end37-_ZN9rocsolver6v33100L16org2r_init_identIfPfEEviiiT0_iil
                                        ; -- End function
	.section	.AMDGPU.csdata,"",@progbits
; Kernel info:
; codeLenInByte = 388
; NumSgprs: 20
; NumVgprs: 6
; NumAgprs: 0
; TotalNumVgprs: 6
; ScratchSize: 0
; MemoryBound: 0
; FloatMode: 240
; IeeeMode: 1
; LDSByteSize: 0 bytes/workgroup (compile time only)
; SGPRBlocks: 2
; VGPRBlocks: 0
; NumSGPRsForWavesPerEU: 20
; NumVGPRsForWavesPerEU: 6
; AccumOffset: 8
; Occupancy: 8
; WaveLimiterHint : 0
; COMPUTE_PGM_RSRC2:SCRATCH_EN: 0
; COMPUTE_PGM_RSRC2:USER_SGPR: 6
; COMPUTE_PGM_RSRC2:TRAP_HANDLER: 0
; COMPUTE_PGM_RSRC2:TGID_X_EN: 1
; COMPUTE_PGM_RSRC2:TGID_Y_EN: 1
; COMPUTE_PGM_RSRC2:TGID_Z_EN: 1
; COMPUTE_PGM_RSRC2:TIDIG_COMP_CNT: 1
; COMPUTE_PGM_RSRC3_GFX90A:ACCUM_OFFSET: 1
; COMPUTE_PGM_RSRC3_GFX90A:TG_SPLIT: 0
	.section	.text._ZN9rocsolver6v33100L12subtract_tauIfPfEEviiT0_iilPT_l,"axG",@progbits,_ZN9rocsolver6v33100L12subtract_tauIfPfEEviiT0_iilPT_l,comdat
	.globl	_ZN9rocsolver6v33100L12subtract_tauIfPfEEviiT0_iilPT_l ; -- Begin function _ZN9rocsolver6v33100L12subtract_tauIfPfEEviiT0_iilPT_l
	.p2align	8
	.type	_ZN9rocsolver6v33100L12subtract_tauIfPfEEviiT0_iilPT_l,@function
_ZN9rocsolver6v33100L12subtract_tauIfPfEEviiT0_iilPT_l: ; @_ZN9rocsolver6v33100L12subtract_tauIfPfEEviiT0_iilPT_l
; %bb.0:
	s_load_dwordx2 s[12:13], s[4:5], 0x10
	s_load_dwordx4 s[0:3], s[4:5], 0x18
	s_load_dwordx4 s[8:11], s[4:5], 0x0
	s_load_dwordx2 s[14:15], s[4:5], 0x28
	v_mov_b32_e32 v0, 0
	s_waitcnt lgkmcnt(0)
	s_ashr_i32 s5, s12, 31
	s_mul_i32 s1, s6, s1
	s_mul_hi_u32 s7, s6, s0
	s_add_i32 s1, s7, s1
	s_mul_i32 s0, s6, s0
	s_lshl_b64 s[0:1], s[0:1], 2
	s_mov_b32 s4, s12
	s_add_u32 s7, s10, s0
	s_addc_u32 s10, s11, s1
	s_lshl_b64 s[0:1], s[4:5], 2
	s_add_u32 s4, s7, s0
	s_addc_u32 s5, s10, s1
	s_mul_i32 s0, s6, s15
	s_mul_hi_u32 s1, s6, s14
	s_add_i32 s1, s1, s0
	s_mul_i32 s0, s6, s14
	s_lshl_b64 s[0:1], s[0:1], 2
	s_add_u32 s0, s2, s0
	s_addc_u32 s1, s3, s1
	s_load_dword s2, s[0:1], 0x0
	s_waitcnt lgkmcnt(0)
	s_xor_b32 s3, s2, 0x80000000
	v_mov_b32_e32 v1, s3
	global_store_dword v0, v1, s[0:1]
	s_mul_i32 s0, s13, s9
	s_add_i32 s0, s0, s8
	s_ashr_i32 s1, s0, 31
	s_lshl_b64 s[0:1], s[0:1], 2
	s_add_u32 s0, s4, s0
	v_sub_f32_e64 v1, 1.0, s2
	s_addc_u32 s1, s5, s1
	global_store_dword v0, v1, s[0:1]
	s_endpgm
	.section	.rodata,"a",@progbits
	.p2align	6, 0x0
	.amdhsa_kernel _ZN9rocsolver6v33100L12subtract_tauIfPfEEviiT0_iilPT_l
		.amdhsa_group_segment_fixed_size 0
		.amdhsa_private_segment_fixed_size 0
		.amdhsa_kernarg_size 48
		.amdhsa_user_sgpr_count 6
		.amdhsa_user_sgpr_private_segment_buffer 1
		.amdhsa_user_sgpr_dispatch_ptr 0
		.amdhsa_user_sgpr_queue_ptr 0
		.amdhsa_user_sgpr_kernarg_segment_ptr 1
		.amdhsa_user_sgpr_dispatch_id 0
		.amdhsa_user_sgpr_flat_scratch_init 0
		.amdhsa_user_sgpr_kernarg_preload_length 0
		.amdhsa_user_sgpr_kernarg_preload_offset 0
		.amdhsa_user_sgpr_private_segment_size 0
		.amdhsa_uses_dynamic_stack 0
		.amdhsa_system_sgpr_private_segment_wavefront_offset 0
		.amdhsa_system_sgpr_workgroup_id_x 1
		.amdhsa_system_sgpr_workgroup_id_y 0
		.amdhsa_system_sgpr_workgroup_id_z 0
		.amdhsa_system_sgpr_workgroup_info 0
		.amdhsa_system_vgpr_workitem_id 0
		.amdhsa_next_free_vgpr 2
		.amdhsa_next_free_sgpr 16
		.amdhsa_accum_offset 4
		.amdhsa_reserve_vcc 0
		.amdhsa_reserve_flat_scratch 0
		.amdhsa_float_round_mode_32 0
		.amdhsa_float_round_mode_16_64 0
		.amdhsa_float_denorm_mode_32 3
		.amdhsa_float_denorm_mode_16_64 3
		.amdhsa_dx10_clamp 1
		.amdhsa_ieee_mode 1
		.amdhsa_fp16_overflow 0
		.amdhsa_tg_split 0
		.amdhsa_exception_fp_ieee_invalid_op 0
		.amdhsa_exception_fp_denorm_src 0
		.amdhsa_exception_fp_ieee_div_zero 0
		.amdhsa_exception_fp_ieee_overflow 0
		.amdhsa_exception_fp_ieee_underflow 0
		.amdhsa_exception_fp_ieee_inexact 0
		.amdhsa_exception_int_div_zero 0
	.end_amdhsa_kernel
	.section	.text._ZN9rocsolver6v33100L12subtract_tauIfPfEEviiT0_iilPT_l,"axG",@progbits,_ZN9rocsolver6v33100L12subtract_tauIfPfEEviiT0_iilPT_l,comdat
.Lfunc_end38:
	.size	_ZN9rocsolver6v33100L12subtract_tauIfPfEEviiT0_iilPT_l, .Lfunc_end38-_ZN9rocsolver6v33100L12subtract_tauIfPfEEviiT0_iilPT_l
                                        ; -- End function
	.section	.AMDGPU.csdata,"",@progbits
; Kernel info:
; codeLenInByte = 192
; NumSgprs: 20
; NumVgprs: 2
; NumAgprs: 0
; TotalNumVgprs: 2
; ScratchSize: 0
; MemoryBound: 0
; FloatMode: 240
; IeeeMode: 1
; LDSByteSize: 0 bytes/workgroup (compile time only)
; SGPRBlocks: 2
; VGPRBlocks: 0
; NumSGPRsForWavesPerEU: 20
; NumVGPRsForWavesPerEU: 2
; AccumOffset: 4
; Occupancy: 8
; WaveLimiterHint : 0
; COMPUTE_PGM_RSRC2:SCRATCH_EN: 0
; COMPUTE_PGM_RSRC2:USER_SGPR: 6
; COMPUTE_PGM_RSRC2:TRAP_HANDLER: 0
; COMPUTE_PGM_RSRC2:TGID_X_EN: 1
; COMPUTE_PGM_RSRC2:TGID_Y_EN: 0
; COMPUTE_PGM_RSRC2:TGID_Z_EN: 0
; COMPUTE_PGM_RSRC2:TIDIG_COMP_CNT: 0
; COMPUTE_PGM_RSRC3_GFX90A:ACCUM_OFFSET: 0
; COMPUTE_PGM_RSRC3_GFX90A:TG_SPLIT: 0
	.section	.text._ZN9rocsolver6v33100L6restauIfEEviPT_l,"axG",@progbits,_ZN9rocsolver6v33100L6restauIfEEviPT_l,comdat
	.globl	_ZN9rocsolver6v33100L6restauIfEEviPT_l ; -- Begin function _ZN9rocsolver6v33100L6restauIfEEviPT_l
	.p2align	8
	.type	_ZN9rocsolver6v33100L6restauIfEEviPT_l,@function
_ZN9rocsolver6v33100L6restauIfEEviPT_l: ; @_ZN9rocsolver6v33100L6restauIfEEviPT_l
; %bb.0:
	s_load_dword s0, s[4:5], 0x24
	s_load_dword s1, s[4:5], 0x0
	s_waitcnt lgkmcnt(0)
	s_and_b32 s0, s0, 0xffff
	s_mul_i32 s6, s6, s0
	v_add_u32_e32 v0, s6, v0
	v_cmp_gt_u32_e32 vcc, s1, v0
	s_and_saveexec_b64 s[0:1], vcc
	s_cbranch_execz .LBB39_2
; %bb.1:
	s_load_dwordx4 s[0:3], s[4:5], 0x8
	v_mov_b32_e32 v1, 0
	v_lshlrev_b64 v[0:1], 2, v[0:1]
	s_waitcnt lgkmcnt(0)
	s_mul_i32 s3, s7, s3
	s_mul_hi_u32 s4, s7, s2
	s_mul_i32 s2, s7, s2
	s_add_i32 s3, s4, s3
	s_lshl_b64 s[2:3], s[2:3], 2
	s_add_u32 s0, s0, s2
	s_addc_u32 s1, s1, s3
	v_mov_b32_e32 v2, s1
	v_add_co_u32_e32 v0, vcc, s0, v0
	v_addc_co_u32_e32 v1, vcc, v2, v1, vcc
	global_load_dword v2, v[0:1], off
	s_waitcnt vmcnt(0)
	v_xor_b32_e32 v2, 0x80000000, v2
	global_store_dword v[0:1], v2, off
.LBB39_2:
	s_endpgm
	.section	.rodata,"a",@progbits
	.p2align	6, 0x0
	.amdhsa_kernel _ZN9rocsolver6v33100L6restauIfEEviPT_l
		.amdhsa_group_segment_fixed_size 0
		.amdhsa_private_segment_fixed_size 0
		.amdhsa_kernarg_size 280
		.amdhsa_user_sgpr_count 6
		.amdhsa_user_sgpr_private_segment_buffer 1
		.amdhsa_user_sgpr_dispatch_ptr 0
		.amdhsa_user_sgpr_queue_ptr 0
		.amdhsa_user_sgpr_kernarg_segment_ptr 1
		.amdhsa_user_sgpr_dispatch_id 0
		.amdhsa_user_sgpr_flat_scratch_init 0
		.amdhsa_user_sgpr_kernarg_preload_length 0
		.amdhsa_user_sgpr_kernarg_preload_offset 0
		.amdhsa_user_sgpr_private_segment_size 0
		.amdhsa_uses_dynamic_stack 0
		.amdhsa_system_sgpr_private_segment_wavefront_offset 0
		.amdhsa_system_sgpr_workgroup_id_x 1
		.amdhsa_system_sgpr_workgroup_id_y 1
		.amdhsa_system_sgpr_workgroup_id_z 0
		.amdhsa_system_sgpr_workgroup_info 0
		.amdhsa_system_vgpr_workitem_id 0
		.amdhsa_next_free_vgpr 3
		.amdhsa_next_free_sgpr 8
		.amdhsa_accum_offset 4
		.amdhsa_reserve_vcc 1
		.amdhsa_reserve_flat_scratch 0
		.amdhsa_float_round_mode_32 0
		.amdhsa_float_round_mode_16_64 0
		.amdhsa_float_denorm_mode_32 3
		.amdhsa_float_denorm_mode_16_64 3
		.amdhsa_dx10_clamp 1
		.amdhsa_ieee_mode 1
		.amdhsa_fp16_overflow 0
		.amdhsa_tg_split 0
		.amdhsa_exception_fp_ieee_invalid_op 0
		.amdhsa_exception_fp_denorm_src 0
		.amdhsa_exception_fp_ieee_div_zero 0
		.amdhsa_exception_fp_ieee_overflow 0
		.amdhsa_exception_fp_ieee_underflow 0
		.amdhsa_exception_fp_ieee_inexact 0
		.amdhsa_exception_int_div_zero 0
	.end_amdhsa_kernel
	.section	.text._ZN9rocsolver6v33100L6restauIfEEviPT_l,"axG",@progbits,_ZN9rocsolver6v33100L6restauIfEEviPT_l,comdat
.Lfunc_end39:
	.size	_ZN9rocsolver6v33100L6restauIfEEviPT_l, .Lfunc_end39-_ZN9rocsolver6v33100L6restauIfEEviPT_l
                                        ; -- End function
	.section	.AMDGPU.csdata,"",@progbits
; Kernel info:
; codeLenInByte = 144
; NumSgprs: 12
; NumVgprs: 3
; NumAgprs: 0
; TotalNumVgprs: 3
; ScratchSize: 0
; MemoryBound: 0
; FloatMode: 240
; IeeeMode: 1
; LDSByteSize: 0 bytes/workgroup (compile time only)
; SGPRBlocks: 1
; VGPRBlocks: 0
; NumSGPRsForWavesPerEU: 12
; NumVGPRsForWavesPerEU: 3
; AccumOffset: 4
; Occupancy: 8
; WaveLimiterHint : 0
; COMPUTE_PGM_RSRC2:SCRATCH_EN: 0
; COMPUTE_PGM_RSRC2:USER_SGPR: 6
; COMPUTE_PGM_RSRC2:TRAP_HANDLER: 0
; COMPUTE_PGM_RSRC2:TGID_X_EN: 1
; COMPUTE_PGM_RSRC2:TGID_Y_EN: 1
; COMPUTE_PGM_RSRC2:TGID_Z_EN: 0
; COMPUTE_PGM_RSRC2:TIDIG_COMP_CNT: 0
; COMPUTE_PGM_RSRC3_GFX90A:ACCUM_OFFSET: 0
; COMPUTE_PGM_RSRC3_GFX90A:TG_SPLIT: 0
	.section	.text._ZN9rocsolver6v33100L8set_zeroIfPfEEviiT0_iil13rocblas_fill_,"axG",@progbits,_ZN9rocsolver6v33100L8set_zeroIfPfEEviiT0_iil13rocblas_fill_,comdat
	.globl	_ZN9rocsolver6v33100L8set_zeroIfPfEEviiT0_iil13rocblas_fill_ ; -- Begin function _ZN9rocsolver6v33100L8set_zeroIfPfEEviiT0_iil13rocblas_fill_
	.p2align	8
	.type	_ZN9rocsolver6v33100L8set_zeroIfPfEEviiT0_iil13rocblas_fill_,@function
_ZN9rocsolver6v33100L8set_zeroIfPfEEviiT0_iil13rocblas_fill_: ; @_ZN9rocsolver6v33100L8set_zeroIfPfEEviiT0_iil13rocblas_fill_
; %bb.0:
	s_load_dword s2, s[4:5], 0x34
	s_load_dwordx2 s[0:1], s[4:5], 0x0
	v_and_b32_e32 v1, 0x3ff, v0
	v_bfe_u32 v0, v0, 10, 10
	s_waitcnt lgkmcnt(0)
	s_lshr_b32 s3, s2, 16
	s_and_b32 s2, s2, 0xffff
	s_mul_i32 s6, s6, s2
	s_mul_i32 s7, s7, s3
	v_add_u32_e32 v2, s6, v1
	v_add_u32_e32 v0, s7, v0
	v_cmp_gt_u32_e32 vcc, s0, v2
	v_cmp_gt_u32_e64 s[0:1], s1, v0
	s_and_b64 s[0:1], vcc, s[0:1]
	s_and_saveexec_b64 s[2:3], s[0:1]
	s_cbranch_execz .LBB40_12
; %bb.1:
	s_load_dword s6, s[4:5], 0x20
	s_waitcnt lgkmcnt(0)
	s_cmpk_lt_i32 s6, 0x7a
	s_cbranch_scc1 .LBB40_4
; %bb.2:
	s_cmpk_gt_i32 s6, 0x7a
	s_cbranch_scc0 .LBB40_5
; %bb.3:
	s_cmpk_eq_i32 s6, 0x7b
	s_cselect_b64 s[0:1], -1, 0
	s_cbranch_execz .LBB40_6
	s_branch .LBB40_7
.LBB40_4:
	s_mov_b64 s[0:1], 0
	s_cbranch_execnz .LBB40_8
	s_branch .LBB40_10
.LBB40_5:
	s_mov_b64 s[0:1], 0
.LBB40_6:
	v_cmp_gt_u32_e32 vcc, v0, v2
	s_andn2_b64 s[0:1], s[0:1], exec
	s_and_b64 s[2:3], vcc, exec
	s_or_b64 s[0:1], s[0:1], s[2:3]
.LBB40_7:
	s_branch .LBB40_10
.LBB40_8:
	s_cmpk_eq_i32 s6, 0x79
	s_cbranch_scc0 .LBB40_10
; %bb.9:
	v_cmp_gt_u32_e32 vcc, v2, v0
	s_andn2_b64 s[0:1], s[0:1], exec
	s_and_b64 s[2:3], vcc, exec
	s_or_b64 s[0:1], s[0:1], s[2:3]
.LBB40_10:
	s_and_b64 exec, exec, s[0:1]
	s_cbranch_execz .LBB40_12
; %bb.11:
	s_load_dwordx4 s[0:3], s[4:5], 0x8
	s_load_dwordx2 s[6:7], s[4:5], 0x18
	s_waitcnt lgkmcnt(0)
	s_ashr_i32 s5, s2, 31
	s_mov_b32 s4, s2
	s_mul_i32 s2, s8, s7
	s_mul_hi_u32 s7, s8, s6
	s_add_i32 s7, s7, s2
	s_mul_i32 s6, s8, s6
	s_lshl_b64 s[6:7], s[6:7], 2
	s_add_u32 s2, s0, s6
	s_addc_u32 s6, s1, s7
	s_lshl_b64 s[0:1], s[4:5], 2
	s_add_u32 s2, s2, s0
	s_addc_u32 s4, s6, s1
	v_mad_u64_u32 v[0:1], s[0:1], v0, s3, v[2:3]
	v_mov_b32_e32 v1, 0
	v_lshlrev_b64 v[2:3], 2, v[0:1]
	v_mov_b32_e32 v0, s4
	v_add_co_u32_e32 v2, vcc, s2, v2
	v_addc_co_u32_e32 v3, vcc, v0, v3, vcc
	global_store_dword v[2:3], v1, off
.LBB40_12:
	s_endpgm
	.section	.rodata,"a",@progbits
	.p2align	6, 0x0
	.amdhsa_kernel _ZN9rocsolver6v33100L8set_zeroIfPfEEviiT0_iil13rocblas_fill_
		.amdhsa_group_segment_fixed_size 0
		.amdhsa_private_segment_fixed_size 0
		.amdhsa_kernarg_size 296
		.amdhsa_user_sgpr_count 6
		.amdhsa_user_sgpr_private_segment_buffer 1
		.amdhsa_user_sgpr_dispatch_ptr 0
		.amdhsa_user_sgpr_queue_ptr 0
		.amdhsa_user_sgpr_kernarg_segment_ptr 1
		.amdhsa_user_sgpr_dispatch_id 0
		.amdhsa_user_sgpr_flat_scratch_init 0
		.amdhsa_user_sgpr_kernarg_preload_length 0
		.amdhsa_user_sgpr_kernarg_preload_offset 0
		.amdhsa_user_sgpr_private_segment_size 0
		.amdhsa_uses_dynamic_stack 0
		.amdhsa_system_sgpr_private_segment_wavefront_offset 0
		.amdhsa_system_sgpr_workgroup_id_x 1
		.amdhsa_system_sgpr_workgroup_id_y 1
		.amdhsa_system_sgpr_workgroup_id_z 1
		.amdhsa_system_sgpr_workgroup_info 0
		.amdhsa_system_vgpr_workitem_id 1
		.amdhsa_next_free_vgpr 4
		.amdhsa_next_free_sgpr 9
		.amdhsa_accum_offset 4
		.amdhsa_reserve_vcc 1
		.amdhsa_reserve_flat_scratch 0
		.amdhsa_float_round_mode_32 0
		.amdhsa_float_round_mode_16_64 0
		.amdhsa_float_denorm_mode_32 3
		.amdhsa_float_denorm_mode_16_64 3
		.amdhsa_dx10_clamp 1
		.amdhsa_ieee_mode 1
		.amdhsa_fp16_overflow 0
		.amdhsa_tg_split 0
		.amdhsa_exception_fp_ieee_invalid_op 0
		.amdhsa_exception_fp_denorm_src 0
		.amdhsa_exception_fp_ieee_div_zero 0
		.amdhsa_exception_fp_ieee_overflow 0
		.amdhsa_exception_fp_ieee_underflow 0
		.amdhsa_exception_fp_ieee_inexact 0
		.amdhsa_exception_int_div_zero 0
	.end_amdhsa_kernel
	.section	.text._ZN9rocsolver6v33100L8set_zeroIfPfEEviiT0_iil13rocblas_fill_,"axG",@progbits,_ZN9rocsolver6v33100L8set_zeroIfPfEEviiT0_iil13rocblas_fill_,comdat
.Lfunc_end40:
	.size	_ZN9rocsolver6v33100L8set_zeroIfPfEEviiT0_iil13rocblas_fill_, .Lfunc_end40-_ZN9rocsolver6v33100L8set_zeroIfPfEEviiT0_iil13rocblas_fill_
                                        ; -- End function
	.section	.AMDGPU.csdata,"",@progbits
; Kernel info:
; codeLenInByte = 312
; NumSgprs: 13
; NumVgprs: 4
; NumAgprs: 0
; TotalNumVgprs: 4
; ScratchSize: 0
; MemoryBound: 0
; FloatMode: 240
; IeeeMode: 1
; LDSByteSize: 0 bytes/workgroup (compile time only)
; SGPRBlocks: 1
; VGPRBlocks: 0
; NumSGPRsForWavesPerEU: 13
; NumVGPRsForWavesPerEU: 4
; AccumOffset: 4
; Occupancy: 8
; WaveLimiterHint : 0
; COMPUTE_PGM_RSRC2:SCRATCH_EN: 0
; COMPUTE_PGM_RSRC2:USER_SGPR: 6
; COMPUTE_PGM_RSRC2:TRAP_HANDLER: 0
; COMPUTE_PGM_RSRC2:TGID_X_EN: 1
; COMPUTE_PGM_RSRC2:TGID_Y_EN: 1
; COMPUTE_PGM_RSRC2:TGID_Z_EN: 1
; COMPUTE_PGM_RSRC2:TIDIG_COMP_CNT: 1
; COMPUTE_PGM_RSRC3_GFX90A:ACCUM_OFFSET: 0
; COMPUTE_PGM_RSRC3_GFX90A:TG_SPLIT: 0
	.section	.text._ZN9rocsolver6v33100L6iota_nIdEEvPT_jS2_,"axG",@progbits,_ZN9rocsolver6v33100L6iota_nIdEEvPT_jS2_,comdat
	.globl	_ZN9rocsolver6v33100L6iota_nIdEEvPT_jS2_ ; -- Begin function _ZN9rocsolver6v33100L6iota_nIdEEvPT_jS2_
	.p2align	8
	.type	_ZN9rocsolver6v33100L6iota_nIdEEvPT_jS2_,@function
_ZN9rocsolver6v33100L6iota_nIdEEvPT_jS2_: ; @_ZN9rocsolver6v33100L6iota_nIdEEvPT_jS2_
; %bb.0:
	s_load_dword s0, s[4:5], 0x8
	s_waitcnt lgkmcnt(0)
	v_cmp_gt_u32_e32 vcc, s0, v0
	s_and_saveexec_b64 s[0:1], vcc
	s_cbranch_execz .LBB41_2
; %bb.1:
	s_load_dwordx2 s[0:1], s[4:5], 0x10
	s_load_dwordx2 s[2:3], s[4:5], 0x0
	v_lshlrev_b32_e32 v2, 3, v0
	v_cvt_f64_u32_e32 v[0:1], v0
	s_waitcnt lgkmcnt(0)
	v_add_f64 v[0:1], v[0:1], s[0:1]
	global_store_dwordx2 v2, v[0:1], s[2:3]
.LBB41_2:
	s_endpgm
	.section	.rodata,"a",@progbits
	.p2align	6, 0x0
	.amdhsa_kernel _ZN9rocsolver6v33100L6iota_nIdEEvPT_jS2_
		.amdhsa_group_segment_fixed_size 0
		.amdhsa_private_segment_fixed_size 0
		.amdhsa_kernarg_size 24
		.amdhsa_user_sgpr_count 6
		.amdhsa_user_sgpr_private_segment_buffer 1
		.amdhsa_user_sgpr_dispatch_ptr 0
		.amdhsa_user_sgpr_queue_ptr 0
		.amdhsa_user_sgpr_kernarg_segment_ptr 1
		.amdhsa_user_sgpr_dispatch_id 0
		.amdhsa_user_sgpr_flat_scratch_init 0
		.amdhsa_user_sgpr_kernarg_preload_length 0
		.amdhsa_user_sgpr_kernarg_preload_offset 0
		.amdhsa_user_sgpr_private_segment_size 0
		.amdhsa_uses_dynamic_stack 0
		.amdhsa_system_sgpr_private_segment_wavefront_offset 0
		.amdhsa_system_sgpr_workgroup_id_x 1
		.amdhsa_system_sgpr_workgroup_id_y 0
		.amdhsa_system_sgpr_workgroup_id_z 0
		.amdhsa_system_sgpr_workgroup_info 0
		.amdhsa_system_vgpr_workitem_id 0
		.amdhsa_next_free_vgpr 3
		.amdhsa_next_free_sgpr 6
		.amdhsa_accum_offset 4
		.amdhsa_reserve_vcc 1
		.amdhsa_reserve_flat_scratch 0
		.amdhsa_float_round_mode_32 0
		.amdhsa_float_round_mode_16_64 0
		.amdhsa_float_denorm_mode_32 3
		.amdhsa_float_denorm_mode_16_64 3
		.amdhsa_dx10_clamp 1
		.amdhsa_ieee_mode 1
		.amdhsa_fp16_overflow 0
		.amdhsa_tg_split 0
		.amdhsa_exception_fp_ieee_invalid_op 0
		.amdhsa_exception_fp_denorm_src 0
		.amdhsa_exception_fp_ieee_div_zero 0
		.amdhsa_exception_fp_ieee_overflow 0
		.amdhsa_exception_fp_ieee_underflow 0
		.amdhsa_exception_fp_ieee_inexact 0
		.amdhsa_exception_int_div_zero 0
	.end_amdhsa_kernel
	.section	.text._ZN9rocsolver6v33100L6iota_nIdEEvPT_jS2_,"axG",@progbits,_ZN9rocsolver6v33100L6iota_nIdEEvPT_jS2_,comdat
.Lfunc_end41:
	.size	_ZN9rocsolver6v33100L6iota_nIdEEvPT_jS2_, .Lfunc_end41-_ZN9rocsolver6v33100L6iota_nIdEEvPT_jS2_
                                        ; -- End function
	.section	.AMDGPU.csdata,"",@progbits
; Kernel info:
; codeLenInByte = 72
; NumSgprs: 10
; NumVgprs: 3
; NumAgprs: 0
; TotalNumVgprs: 3
; ScratchSize: 0
; MemoryBound: 0
; FloatMode: 240
; IeeeMode: 1
; LDSByteSize: 0 bytes/workgroup (compile time only)
; SGPRBlocks: 1
; VGPRBlocks: 0
; NumSGPRsForWavesPerEU: 10
; NumVGPRsForWavesPerEU: 3
; AccumOffset: 4
; Occupancy: 8
; WaveLimiterHint : 0
; COMPUTE_PGM_RSRC2:SCRATCH_EN: 0
; COMPUTE_PGM_RSRC2:USER_SGPR: 6
; COMPUTE_PGM_RSRC2:TRAP_HANDLER: 0
; COMPUTE_PGM_RSRC2:TGID_X_EN: 1
; COMPUTE_PGM_RSRC2:TGID_Y_EN: 0
; COMPUTE_PGM_RSRC2:TGID_Z_EN: 0
; COMPUTE_PGM_RSRC2:TIDIG_COMP_CNT: 0
; COMPUTE_PGM_RSRC3_GFX90A:ACCUM_OFFSET: 0
; COMPUTE_PGM_RSRC3_GFX90A:TG_SPLIT: 0
	.section	.text._ZN9rocsolver6v33100L10reset_infoIdiiEEvPT_T0_T1_S4_,"axG",@progbits,_ZN9rocsolver6v33100L10reset_infoIdiiEEvPT_T0_T1_S4_,comdat
	.globl	_ZN9rocsolver6v33100L10reset_infoIdiiEEvPT_T0_T1_S4_ ; -- Begin function _ZN9rocsolver6v33100L10reset_infoIdiiEEvPT_T0_T1_S4_
	.p2align	8
	.type	_ZN9rocsolver6v33100L10reset_infoIdiiEEvPT_T0_T1_S4_,@function
_ZN9rocsolver6v33100L10reset_infoIdiiEEvPT_T0_T1_S4_: ; @_ZN9rocsolver6v33100L10reset_infoIdiiEEvPT_T0_T1_S4_
; %bb.0:
	s_load_dword s7, s[4:5], 0x24
	s_load_dwordx4 s[0:3], s[4:5], 0x8
	s_waitcnt lgkmcnt(0)
	s_and_b32 s3, s7, 0xffff
	s_mul_i32 s6, s6, s3
	v_add_u32_e32 v0, s6, v0
	v_cmp_gt_i32_e32 vcc, s0, v0
	s_and_saveexec_b64 s[6:7], vcc
	s_cbranch_execz .LBB42_2
; %bb.1:
	s_load_dwordx2 s[4:5], s[4:5], 0x0
	v_mul_lo_u32 v1, v0, s2
	v_cvt_f64_i32_e32 v[4:5], v1
	v_ashrrev_i32_e32 v1, 31, v0
	v_cvt_f64_i32_e32 v[2:3], s1
	v_lshlrev_b64 v[0:1], 3, v[0:1]
	v_add_f64 v[2:3], v[2:3], v[4:5]
	s_waitcnt lgkmcnt(0)
	v_mov_b32_e32 v4, s5
	v_add_co_u32_e32 v0, vcc, s4, v0
	v_addc_co_u32_e32 v1, vcc, v4, v1, vcc
	global_store_dwordx2 v[0:1], v[2:3], off
.LBB42_2:
	s_endpgm
	.section	.rodata,"a",@progbits
	.p2align	6, 0x0
	.amdhsa_kernel _ZN9rocsolver6v33100L10reset_infoIdiiEEvPT_T0_T1_S4_
		.amdhsa_group_segment_fixed_size 0
		.amdhsa_private_segment_fixed_size 0
		.amdhsa_kernarg_size 280
		.amdhsa_user_sgpr_count 6
		.amdhsa_user_sgpr_private_segment_buffer 1
		.amdhsa_user_sgpr_dispatch_ptr 0
		.amdhsa_user_sgpr_queue_ptr 0
		.amdhsa_user_sgpr_kernarg_segment_ptr 1
		.amdhsa_user_sgpr_dispatch_id 0
		.amdhsa_user_sgpr_flat_scratch_init 0
		.amdhsa_user_sgpr_kernarg_preload_length 0
		.amdhsa_user_sgpr_kernarg_preload_offset 0
		.amdhsa_user_sgpr_private_segment_size 0
		.amdhsa_uses_dynamic_stack 0
		.amdhsa_system_sgpr_private_segment_wavefront_offset 0
		.amdhsa_system_sgpr_workgroup_id_x 1
		.amdhsa_system_sgpr_workgroup_id_y 0
		.amdhsa_system_sgpr_workgroup_id_z 0
		.amdhsa_system_sgpr_workgroup_info 0
		.amdhsa_system_vgpr_workitem_id 0
		.amdhsa_next_free_vgpr 6
		.amdhsa_next_free_sgpr 8
		.amdhsa_accum_offset 8
		.amdhsa_reserve_vcc 1
		.amdhsa_reserve_flat_scratch 0
		.amdhsa_float_round_mode_32 0
		.amdhsa_float_round_mode_16_64 0
		.amdhsa_float_denorm_mode_32 3
		.amdhsa_float_denorm_mode_16_64 3
		.amdhsa_dx10_clamp 1
		.amdhsa_ieee_mode 1
		.amdhsa_fp16_overflow 0
		.amdhsa_tg_split 0
		.amdhsa_exception_fp_ieee_invalid_op 0
		.amdhsa_exception_fp_denorm_src 0
		.amdhsa_exception_fp_ieee_div_zero 0
		.amdhsa_exception_fp_ieee_overflow 0
		.amdhsa_exception_fp_ieee_underflow 0
		.amdhsa_exception_fp_ieee_inexact 0
		.amdhsa_exception_int_div_zero 0
	.end_amdhsa_kernel
	.section	.text._ZN9rocsolver6v33100L10reset_infoIdiiEEvPT_T0_T1_S4_,"axG",@progbits,_ZN9rocsolver6v33100L10reset_infoIdiiEEvPT_T0_T1_S4_,comdat
.Lfunc_end42:
	.size	_ZN9rocsolver6v33100L10reset_infoIdiiEEvPT_T0_T1_S4_, .Lfunc_end42-_ZN9rocsolver6v33100L10reset_infoIdiiEEvPT_T0_T1_S4_
                                        ; -- End function
	.section	.AMDGPU.csdata,"",@progbits
; Kernel info:
; codeLenInByte = 120
; NumSgprs: 12
; NumVgprs: 6
; NumAgprs: 0
; TotalNumVgprs: 6
; ScratchSize: 0
; MemoryBound: 0
; FloatMode: 240
; IeeeMode: 1
; LDSByteSize: 0 bytes/workgroup (compile time only)
; SGPRBlocks: 1
; VGPRBlocks: 0
; NumSGPRsForWavesPerEU: 12
; NumVGPRsForWavesPerEU: 6
; AccumOffset: 8
; Occupancy: 8
; WaveLimiterHint : 0
; COMPUTE_PGM_RSRC2:SCRATCH_EN: 0
; COMPUTE_PGM_RSRC2:USER_SGPR: 6
; COMPUTE_PGM_RSRC2:TRAP_HANDLER: 0
; COMPUTE_PGM_RSRC2:TGID_X_EN: 1
; COMPUTE_PGM_RSRC2:TGID_Y_EN: 0
; COMPUTE_PGM_RSRC2:TGID_Z_EN: 0
; COMPUTE_PGM_RSRC2:TIDIG_COMP_CNT: 0
; COMPUTE_PGM_RSRC3_GFX90A:ACCUM_OFFSET: 1
; COMPUTE_PGM_RSRC3_GFX90A:TG_SPLIT: 0
	.section	.text._ZN9rocsolver6v33100L16syev_scalar_caseIdPdTnNSt9enable_ifIXnt18rocblas_is_complexIT_EEiE4typeELi0EEEv14rocblas_evect_T0_lPS4_li,"axG",@progbits,_ZN9rocsolver6v33100L16syev_scalar_caseIdPdTnNSt9enable_ifIXnt18rocblas_is_complexIT_EEiE4typeELi0EEEv14rocblas_evect_T0_lPS4_li,comdat
	.globl	_ZN9rocsolver6v33100L16syev_scalar_caseIdPdTnNSt9enable_ifIXnt18rocblas_is_complexIT_EEiE4typeELi0EEEv14rocblas_evect_T0_lPS4_li ; -- Begin function _ZN9rocsolver6v33100L16syev_scalar_caseIdPdTnNSt9enable_ifIXnt18rocblas_is_complexIT_EEiE4typeELi0EEEv14rocblas_evect_T0_lPS4_li
	.p2align	8
	.type	_ZN9rocsolver6v33100L16syev_scalar_caseIdPdTnNSt9enable_ifIXnt18rocblas_is_complexIT_EEiE4typeELi0EEEv14rocblas_evect_T0_lPS4_li,@function
_ZN9rocsolver6v33100L16syev_scalar_caseIdPdTnNSt9enable_ifIXnt18rocblas_is_complexIT_EEiE4typeELi0EEEv14rocblas_evect_T0_lPS4_li: ; @_ZN9rocsolver6v33100L16syev_scalar_caseIdPdTnNSt9enable_ifIXnt18rocblas_is_complexIT_EEiE4typeELi0EEEv14rocblas_evect_T0_lPS4_li
; %bb.0:
	s_load_dword s0, s[4:5], 0x3c
	s_load_dword s1, s[4:5], 0x28
	s_waitcnt lgkmcnt(0)
	s_and_b32 s0, s0, 0xffff
	s_mul_i32 s6, s6, s0
	v_add_u32_e32 v2, s6, v0
	v_cmp_gt_i32_e32 vcc, s1, v2
	s_and_saveexec_b64 s[0:1], vcc
	s_cbranch_execz .LBB43_3
; %bb.1:
	s_load_dwordx8 s[8:15], s[4:5], 0x8
	v_ashrrev_i32_e32 v3, 31, v2
	s_load_dword s2, s[4:5], 0x0
	s_waitcnt lgkmcnt(0)
	v_mul_lo_u32 v4, v2, s11
	v_mul_lo_u32 v5, v3, s10
	v_mad_u64_u32 v[0:1], s[0:1], v2, s10, 0
	v_add3_u32 v1, v1, v4, v5
	v_lshlrev_b64 v[0:1], 3, v[0:1]
	v_mov_b32_e32 v4, s9
	v_add_co_u32_e32 v0, vcc, s8, v0
	v_addc_co_u32_e32 v1, vcc, v4, v1, vcc
	global_load_dwordx2 v[4:5], v[0:1], off
	v_mul_lo_u32 v6, v2, s15
	v_mul_lo_u32 v7, v3, s14
	v_mad_u64_u32 v[2:3], s[0:1], v2, s14, 0
	v_add3_u32 v3, v3, v6, v7
	v_lshlrev_b64 v[2:3], 3, v[2:3]
	v_mov_b32_e32 v6, s13
	v_add_co_u32_e32 v2, vcc, s12, v2
	v_addc_co_u32_e32 v3, vcc, v6, v3, vcc
	s_cmpk_lg_i32 s2, 0xd3
	s_waitcnt vmcnt(0)
	global_store_dwordx2 v[2:3], v[4:5], off
	s_cbranch_scc1 .LBB43_3
; %bb.2:
	v_mov_b32_e32 v2, 0
	v_mov_b32_e32 v3, 0x3ff00000
	global_store_dwordx2 v[0:1], v[2:3], off
.LBB43_3:
	s_endpgm
	.section	.rodata,"a",@progbits
	.p2align	6, 0x0
	.amdhsa_kernel _ZN9rocsolver6v33100L16syev_scalar_caseIdPdTnNSt9enable_ifIXnt18rocblas_is_complexIT_EEiE4typeELi0EEEv14rocblas_evect_T0_lPS4_li
		.amdhsa_group_segment_fixed_size 0
		.amdhsa_private_segment_fixed_size 0
		.amdhsa_kernarg_size 304
		.amdhsa_user_sgpr_count 6
		.amdhsa_user_sgpr_private_segment_buffer 1
		.amdhsa_user_sgpr_dispatch_ptr 0
		.amdhsa_user_sgpr_queue_ptr 0
		.amdhsa_user_sgpr_kernarg_segment_ptr 1
		.amdhsa_user_sgpr_dispatch_id 0
		.amdhsa_user_sgpr_flat_scratch_init 0
		.amdhsa_user_sgpr_kernarg_preload_length 0
		.amdhsa_user_sgpr_kernarg_preload_offset 0
		.amdhsa_user_sgpr_private_segment_size 0
		.amdhsa_uses_dynamic_stack 0
		.amdhsa_system_sgpr_private_segment_wavefront_offset 0
		.amdhsa_system_sgpr_workgroup_id_x 1
		.amdhsa_system_sgpr_workgroup_id_y 0
		.amdhsa_system_sgpr_workgroup_id_z 0
		.amdhsa_system_sgpr_workgroup_info 0
		.amdhsa_system_vgpr_workitem_id 0
		.amdhsa_next_free_vgpr 8
		.amdhsa_next_free_sgpr 16
		.amdhsa_accum_offset 8
		.amdhsa_reserve_vcc 1
		.amdhsa_reserve_flat_scratch 0
		.amdhsa_float_round_mode_32 0
		.amdhsa_float_round_mode_16_64 0
		.amdhsa_float_denorm_mode_32 3
		.amdhsa_float_denorm_mode_16_64 3
		.amdhsa_dx10_clamp 1
		.amdhsa_ieee_mode 1
		.amdhsa_fp16_overflow 0
		.amdhsa_tg_split 0
		.amdhsa_exception_fp_ieee_invalid_op 0
		.amdhsa_exception_fp_denorm_src 0
		.amdhsa_exception_fp_ieee_div_zero 0
		.amdhsa_exception_fp_ieee_overflow 0
		.amdhsa_exception_fp_ieee_underflow 0
		.amdhsa_exception_fp_ieee_inexact 0
		.amdhsa_exception_int_div_zero 0
	.end_amdhsa_kernel
	.section	.text._ZN9rocsolver6v33100L16syev_scalar_caseIdPdTnNSt9enable_ifIXnt18rocblas_is_complexIT_EEiE4typeELi0EEEv14rocblas_evect_T0_lPS4_li,"axG",@progbits,_ZN9rocsolver6v33100L16syev_scalar_caseIdPdTnNSt9enable_ifIXnt18rocblas_is_complexIT_EEiE4typeELi0EEEv14rocblas_evect_T0_lPS4_li,comdat
.Lfunc_end43:
	.size	_ZN9rocsolver6v33100L16syev_scalar_caseIdPdTnNSt9enable_ifIXnt18rocblas_is_complexIT_EEiE4typeELi0EEEv14rocblas_evect_T0_lPS4_li, .Lfunc_end43-_ZN9rocsolver6v33100L16syev_scalar_caseIdPdTnNSt9enable_ifIXnt18rocblas_is_complexIT_EEiE4typeELi0EEEv14rocblas_evect_T0_lPS4_li
                                        ; -- End function
	.section	.AMDGPU.csdata,"",@progbits
; Kernel info:
; codeLenInByte = 228
; NumSgprs: 20
; NumVgprs: 8
; NumAgprs: 0
; TotalNumVgprs: 8
; ScratchSize: 0
; MemoryBound: 0
; FloatMode: 240
; IeeeMode: 1
; LDSByteSize: 0 bytes/workgroup (compile time only)
; SGPRBlocks: 2
; VGPRBlocks: 0
; NumSGPRsForWavesPerEU: 20
; NumVGPRsForWavesPerEU: 8
; AccumOffset: 8
; Occupancy: 8
; WaveLimiterHint : 0
; COMPUTE_PGM_RSRC2:SCRATCH_EN: 0
; COMPUTE_PGM_RSRC2:USER_SGPR: 6
; COMPUTE_PGM_RSRC2:TRAP_HANDLER: 0
; COMPUTE_PGM_RSRC2:TGID_X_EN: 1
; COMPUTE_PGM_RSRC2:TGID_Y_EN: 0
; COMPUTE_PGM_RSRC2:TGID_Z_EN: 0
; COMPUTE_PGM_RSRC2:TIDIG_COMP_CNT: 0
; COMPUTE_PGM_RSRC3_GFX90A:ACCUM_OFFSET: 1
; COMPUTE_PGM_RSRC3_GFX90A:TG_SPLIT: 0
	.section	.text._ZN9rocsolver6v33100L18syevj_small_kernelIddPdEEv14rocblas_esort_14rocblas_evect_13rocblas_fill_iT1_iilT0_S7_PS7_iPiS8_lS9_PT_,"axG",@progbits,_ZN9rocsolver6v33100L18syevj_small_kernelIddPdEEv14rocblas_esort_14rocblas_evect_13rocblas_fill_iT1_iilT0_S7_PS7_iPiS8_lS9_PT_,comdat
	.globl	_ZN9rocsolver6v33100L18syevj_small_kernelIddPdEEv14rocblas_esort_14rocblas_evect_13rocblas_fill_iT1_iilT0_S7_PS7_iPiS8_lS9_PT_ ; -- Begin function _ZN9rocsolver6v33100L18syevj_small_kernelIddPdEEv14rocblas_esort_14rocblas_evect_13rocblas_fill_iT1_iilT0_S7_PS7_iPiS8_lS9_PT_
	.p2align	8
	.type	_ZN9rocsolver6v33100L18syevj_small_kernelIddPdEEv14rocblas_esort_14rocblas_evect_13rocblas_fill_iT1_iilT0_S7_PS7_iPiS8_lS9_PT_,@function
_ZN9rocsolver6v33100L18syevj_small_kernelIddPdEEv14rocblas_esort_14rocblas_evect_13rocblas_fill_iT1_iilT0_S7_PS7_iPiS8_lS9_PT_: ; @_ZN9rocsolver6v33100L18syevj_small_kernelIddPdEEv14rocblas_esort_14rocblas_evect_13rocblas_fill_iT1_iilT0_S7_PS7_iPiS8_lS9_PT_
; %bb.0:
	s_load_dwordx8 s[16:23], s[4:5], 0x0
	s_load_dwordx8 s[8:15], s[4:5], 0x20
	s_load_dwordx2 s[60:61], s[4:5], 0x68
	s_ashr_i32 s43, s7, 31
	s_mov_b32 s42, s7
	s_waitcnt lgkmcnt(0)
	s_lshr_b32 s0, s19, 31
	s_add_i32 s0, s19, s0
	s_and_b32 s0, s0, -2
	s_sub_i32 s64, s19, s0
	s_add_i32 s64, s64, s19
	s_mul_i32 s2, s7, s9
	s_mul_hi_u32 s3, s7, s8
	s_lshr_b32 s0, s64, 31
	s_add_i32 s2, s3, s2
	s_mul_i32 s3, s43, s8
	s_add_i32 s0, s64, s0
	s_add_i32 s3, s2, s3
	s_mul_i32 s2, s7, s8
	s_ashr_i32 s36, s0, 1
	s_ashr_i32 s1, s22, 31
	s_lshl_b64 s[6:7], s[2:3], 3
	s_mov_b32 s0, s22
	s_add_u32 s2, s20, s6
	s_addc_u32 s3, s21, s7
	s_lshl_b64 s[54:55], s[0:1], 3
	s_mul_i32 s0, s42, s19
	s_add_u32 s34, s2, s54
	s_mul_i32 s0, s0, s19
	s_addc_u32 s35, s3, s55
	s_ashr_i32 s1, s0, 31
	s_lshl_b64 s[8:9], s[0:1], 3
	s_add_u32 s40, s60, s8
	s_addc_u32 s41, s61, s9
	s_min_i32 s33, s36, 0x100
	s_abs_i32 s0, s33
	v_cvt_f32_u32_e32 v1, s0
	s_sub_i32 s1, 0, s0
	s_ashr_i32 s65, s33, 31
	s_load_dwordx8 s[24:31], s[4:5], 0x48
	v_rcp_iflag_f32_e32 v1, v1
	v_mul_f32_e32 v1, 0x4f7ffffe, v1
	v_cvt_u32_f32_e32 v1, v1
	v_readfirstlane_b32 s2, v1
	s_mul_i32 s1, s1, s2
	s_mul_hi_u32 s1, s2, s1
	s_add_i32 s2, s2, s1
	s_lshr_b32 s1, s2, 22
	s_mul_i32 s3, s1, s0
	v_mul_hi_u32 v1, v0, s2
	s_sub_i32 s3, 0x400, s3
	v_mul_lo_u32 v2, v1, s0
	s_add_i32 s22, s1, 1
	s_sub_i32 s37, s3, s0
	v_sub_u32_e32 v2, v0, v2
	s_cmp_ge_u32 s3, s0
	v_add_u32_e32 v3, 1, v1
	v_cmp_le_u32_e32 vcc, s0, v2
	s_cselect_b32 s1, s22, s1
	v_cndmask_b32_e32 v1, v1, v3, vcc
	v_subrev_u32_e32 v3, s0, v2
	s_cselect_b32 s3, s37, s3
	s_add_i32 s22, s1, 1
	v_cndmask_b32_e32 v2, v2, v3, vcc
	s_cmp_ge_u32 s3, s0
	v_add_u32_e32 v3, 1, v1
	v_cmp_le_u32_e32 vcc, s0, v2
	s_cselect_b32 s1, s22, s1
	v_cndmask_b32_e32 v1, v1, v3, vcc
	s_xor_b32 s1, s1, s65
	v_xor_b32_e32 v29, s65, v1
	s_sub_i32 s38, s1, s65
	v_subrev_u32_e32 v2, s65, v29
	s_min_i32 s22, s36, s38
	v_mul_lo_u32 v28, v2, s33
	s_lshl_b32 s67, s22, 3
	v_sub_u32_e32 v31, v0, v28
	s_add_i32 s66, s67, 0
	v_cmp_eq_u32_e64 s[0:1], 0, v31
	s_and_saveexec_b64 s[44:45], s[0:1]
	s_cbranch_execz .LBB44_32
; %bb.1:
	s_cmpk_eq_i32 s18, 0x79
	v_cmp_gt_i32_e64 s[2:3], s19, v2
	s_cbranch_scc1 .LBB44_13
; %bb.2:
	v_pk_mov_b32 v[4:5], 0, 0
	s_mov_b64 s[46:47], 0
	v_pk_mov_b32 v[6:7], v[4:5], v[4:5] op_sel:[0,1]
	s_and_saveexec_b64 s[48:49], s[2:3]
	s_cbranch_execz .LBB44_15
; %bb.3:
	s_cmpk_lg_i32 s17, 0xd5
	s_cselect_b64 s[56:57], -1, 0
	s_add_u32 s68, s60, s8
	v_ashrrev_i32_e32 v3, 31, v2
	s_addc_u32 s37, s61, s9
	v_lshlrev_b64 v[4:5], 3, v[2:3]
	v_mov_b32_e32 v3, s37
	v_add_co_u32_e32 v10, vcc, s68, v4
	s_ashr_i32 s39, s38, 31
	v_addc_co_u32_e32 v11, vcc, v3, v5, vcc
	s_ashr_i32 s37, s36, 31
	v_pk_mov_b32 v[6:7], s[38:39], s[38:39] op_sel:[0,1]
	v_cmp_lt_i64_e32 vcc, s[36:37], v[6:7]
	s_and_b64 s[50:51], vcc, exec
	s_cselect_b32 s51, s37, s39
	s_cselect_b32 s50, s36, s38
	s_ashr_i32 s53, s19, 31
	s_mov_b32 s52, s19
	s_lshl_b64 s[50:51], s[50:51], 3
	s_lshl_b64 s[52:53], s[52:53], 3
	s_add_u32 s6, s6, s54
	s_addc_u32 s7, s7, s55
	s_add_u32 s6, s20, s6
	s_addc_u32 s7, s21, s7
	v_mov_b32_e32 v6, s7
	v_add_co_u32_e32 v12, vcc, s6, v4
	v_addc_co_u32_e32 v13, vcc, v6, v5, vcc
	s_ashr_i32 s7, s23, 31
	s_mov_b32 s6, s23
	v_pk_mov_b32 v[4:5], 0, 0
	v_cndmask_b32_e64 v6, 0, 1, s[56:57]
	v_mul_lo_u32 v1, s23, v2
	s_mul_i32 s18, s23, s22
	v_mul_lo_u32 v8, s19, v2
	s_mul_i32 s69, s19, s22
	s_lshl_b64 s[54:55], s[6:7], 3
	s_mov_b64 s[20:21], 0
	v_mov_b32_e32 v17, s35
	v_mov_b32_e32 v30, s41
	v_cmp_ne_u32_e64 s[6:7], 1, v6
	s_mov_b32 s56, 0
	v_mov_b32_e32 v14, 0
	v_mov_b32_e32 v15, 0x3ff00000
	;; [unrolled: 1-line block ×3, first 2 shown]
	v_pk_mov_b32 v[6:7], v[4:5], v[4:5] op_sel:[0,1]
	s_branch .LBB44_6
.LBB44_4:                               ;   in Loop: Header=BB44_6 Depth=1
	s_or_b64 exec, exec, s[62:63]
.LBB44_5:                               ;   in Loop: Header=BB44_6 Depth=1
	s_or_b64 exec, exec, s[58:59]
	v_mov_b32_e32 v9, s51
	v_add_co_u32_e32 v10, vcc, s50, v10
	v_add_u32_e32 v16, s22, v16
	v_addc_co_u32_e32 v11, vcc, v11, v9, vcc
	v_cmp_le_i32_e32 vcc, s19, v16
	s_or_b64 s[20:21], vcc, s[20:21]
	v_add_co_u32_e32 v12, vcc, s50, v12
	v_fmac_f64_e32 v[6:7], v[18:19], v[18:19]
	v_add_u32_e32 v1, s18, v1
	v_add_u32_e32 v8, s69, v8
	v_addc_co_u32_e32 v13, vcc, v13, v9, vcc
	s_andn2_b64 exec, exec, s[20:21]
	s_cbranch_execz .LBB44_14
.LBB44_6:                               ; =>This Loop Header: Depth=1
                                        ;     Child Loop BB44_11 Depth 2
	v_mad_u64_u32 v[18:19], s[58:59], v16, s23, v[16:17]
	v_ashrrev_i32_e32 v19, 31, v18
	v_lshlrev_b64 v[18:19], 3, v[18:19]
	v_add_co_u32_e32 v20, vcc, s34, v18
	v_addc_co_u32_e32 v21, vcc, v17, v19, vcc
	global_load_dwordx2 v[18:19], v[20:21], off
	v_mad_u64_u32 v[22:23], s[58:59], v16, s19, v[16:17]
	v_ashrrev_i32_e32 v23, 31, v22
	v_lshlrev_b64 v[22:23], 3, v[22:23]
	v_add_co_u32_e32 v22, vcc, s40, v22
	v_addc_co_u32_e32 v23, vcc, v30, v23, vcc
	s_and_b64 vcc, exec, s[6:7]
	s_waitcnt vmcnt(0)
	global_store_dwordx2 v[22:23], v[18:19], off
	s_cbranch_vccnz .LBB44_8
; %bb.7:                                ;   in Loop: Header=BB44_6 Depth=1
	global_store_dwordx2 v[20:21], v[14:15], off
.LBB44_8:                               ;   in Loop: Header=BB44_6 Depth=1
	v_cmp_lt_i32_e32 vcc, 0, v16
	s_and_saveexec_b64 s[58:59], vcc
	s_cbranch_execz .LBB44_5
; %bb.9:                                ;   in Loop: Header=BB44_6 Depth=1
	v_ashrrev_i32_e32 v9, 31, v8
	v_lshlrev_b64 v[20:21], 3, v[8:9]
	v_add_co_u32_e32 v20, vcc, s68, v20
	v_addc_co_u32_e32 v21, vcc, v3, v21, vcc
	s_mov_b32 s37, 0
	s_mov_b64 s[62:63], 0
	v_pk_mov_b32 v[22:23], v[12:13], v[12:13] op_sel:[0,1]
	v_pk_mov_b32 v[24:25], v[10:11], v[10:11] op_sel:[0,1]
	s_branch .LBB44_11
.LBB44_10:                              ;   in Loop: Header=BB44_11 Depth=2
	v_add_co_u32_e32 v20, vcc, 8, v20
	v_addc_co_u32_e32 v21, vcc, 0, v21, vcc
	v_mov_b32_e32 v9, s53
	v_add_co_u32_e32 v24, vcc, s52, v24
	s_add_i32 s37, s37, 1
	v_addc_co_u32_e32 v25, vcc, v25, v9, vcc
	v_cmp_ge_i32_e32 vcc, s37, v16
	v_mul_f64 v[26:27], v[26:27], v[26:27]
	v_mov_b32_e32 v9, s55
	s_or_b64 s[62:63], vcc, s[62:63]
	v_add_co_u32_e32 v22, vcc, s54, v22
	v_fmac_f64_e32 v[4:5], 2.0, v[26:27]
	v_addc_co_u32_e32 v23, vcc, v23, v9, vcc
	s_andn2_b64 exec, exec, s[62:63]
	s_cbranch_execz .LBB44_4
.LBB44_11:                              ;   Parent Loop BB44_6 Depth=1
                                        ; =>  This Inner Loop Header: Depth=2
	global_load_dwordx2 v[26:27], v[22:23], off
	s_and_b64 vcc, exec, s[6:7]
	s_waitcnt vmcnt(0)
	global_store_dwordx2 v[24:25], v[26:27], off
	global_store_dwordx2 v[20:21], v[26:27], off
	s_cbranch_vccnz .LBB44_10
; %bb.12:                               ;   in Loop: Header=BB44_11 Depth=2
	v_add_u32_e32 v32, s37, v1
	v_ashrrev_i32_e32 v33, 31, v32
	v_lshlrev_b64 v[32:33], 3, v[32:33]
	s_mov_b32 s57, s56
	v_mov_b32_e32 v9, s35
	v_add_co_u32_e32 v32, vcc, s34, v32
	v_pk_mov_b32 v[34:35], s[56:57], s[56:57] op_sel:[0,1]
	v_addc_co_u32_e32 v33, vcc, v9, v33, vcc
	global_store_dwordx2 v[22:23], v[34:35], off
	global_store_dwordx2 v[32:33], v[34:35], off
	s_branch .LBB44_10
.LBB44_13:
                                        ; implicit-def: $vgpr4_vgpr5
                                        ; implicit-def: $vgpr6_vgpr7
	s_branch .LBB44_16
.LBB44_14:
	s_or_b64 exec, exec, s[20:21]
.LBB44_15:
	s_or_b64 exec, exec, s[48:49]
	s_andn2_b64 vcc, exec, s[46:47]
	s_cbranch_vccnz .LBB44_29
.LBB44_16:
	v_pk_mov_b32 v[4:5], 0, 0
	v_pk_mov_b32 v[6:7], v[4:5], v[4:5] op_sel:[0,1]
	s_and_saveexec_b64 s[20:21], s[2:3]
	s_cbranch_execz .LBB44_28
; %bb.17:
	s_cmpk_lg_i32 s17, 0xd5
	s_cselect_b64 s[2:3], -1, 0
	s_add_i32 s18, s19, -1
	v_mul_lo_u32 v3, s19, v2
	s_mul_i32 s6, s19, s18
	v_add_u32_e32 v8, s18, v3
	v_add_u32_e32 v3, s6, v29
	s_mul_i32 s6, s23, s18
	v_add_u32_e32 v4, s6, v29
	s_add_u32 s39, s60, s8
	v_subrev_u32_e32 v13, s65, v4
	v_pk_mov_b32 v[4:5], 0, 0
	v_cndmask_b32_e64 v6, 0, 1, s[2:3]
	v_mul_lo_u32 v1, s23, v2
	s_mul_i32 s37, s23, s22
	s_addc_u32 s54, s61, s9
	s_mul_i32 s55, s19, s22
	v_subrev_u32_e32 v3, s65, v3
	s_mov_b64 s[46:47], 0
	v_mov_b32_e32 v26, s35
	v_mov_b32_e32 v27, s41
	v_cmp_ne_u32_e64 s[2:3], 1, v6
	s_mov_b32 s48, 0
	v_mov_b32_e32 v10, 0
	v_mov_b32_e32 v11, 0x3ff00000
	;; [unrolled: 1-line block ×3, first 2 shown]
	v_pk_mov_b32 v[6:7], v[4:5], v[4:5] op_sel:[0,1]
	s_branch .LBB44_20
.LBB44_18:                              ;   in Loop: Header=BB44_20 Depth=1
	s_or_b64 exec, exec, s[52:53]
.LBB44_19:                              ;   in Loop: Header=BB44_20 Depth=1
	s_or_b64 exec, exec, s[50:51]
	v_add_u32_e32 v12, s22, v12
	v_cmp_le_i32_e32 vcc, s19, v12
	v_fmac_f64_e32 v[6:7], v[14:15], v[14:15]
	v_add_u32_e32 v1, s37, v1
	v_add_u32_e32 v8, s55, v8
	;; [unrolled: 1-line block ×3, first 2 shown]
	s_or_b64 s[46:47], vcc, s[46:47]
	v_add_u32_e32 v13, s22, v13
	s_andn2_b64 exec, exec, s[46:47]
	s_cbranch_execz .LBB44_27
.LBB44_20:                              ; =>This Loop Header: Depth=1
                                        ;     Child Loop BB44_25 Depth 2
	v_mad_u64_u32 v[14:15], s[6:7], v12, s23, v[12:13]
	v_ashrrev_i32_e32 v15, 31, v14
	v_lshlrev_b64 v[14:15], 3, v[14:15]
	v_add_co_u32_e32 v16, vcc, s34, v14
	v_addc_co_u32_e32 v17, vcc, v26, v15, vcc
	global_load_dwordx2 v[14:15], v[16:17], off
	v_mad_u64_u32 v[18:19], s[6:7], v12, s19, v[12:13]
	v_ashrrev_i32_e32 v19, 31, v18
	v_lshlrev_b64 v[18:19], 3, v[18:19]
	v_add_co_u32_e32 v18, vcc, s40, v18
	v_addc_co_u32_e32 v19, vcc, v27, v19, vcc
	s_and_b64 vcc, exec, s[2:3]
	s_waitcnt vmcnt(0)
	global_store_dwordx2 v[18:19], v[14:15], off
	s_cbranch_vccnz .LBB44_22
; %bb.21:                               ;   in Loop: Header=BB44_20 Depth=1
	global_store_dwordx2 v[16:17], v[10:11], off
.LBB44_22:                              ;   in Loop: Header=BB44_20 Depth=1
	v_cmp_gt_i32_e32 vcc, s18, v12
	s_and_saveexec_b64 s[50:51], vcc
	s_cbranch_execz .LBB44_19
; %bb.23:                               ;   in Loop: Header=BB44_20 Depth=1
	v_ashrrev_i32_e32 v9, 31, v8
	v_lshlrev_b64 v[16:17], 3, v[8:9]
	v_mov_b32_e32 v9, s54
	v_add_co_u32_e32 v16, vcc, s39, v16
	v_addc_co_u32_e32 v17, vcc, v9, v17, vcc
	s_mov_b64 s[52:53], 0
	v_mov_b32_e32 v18, v13
	v_mov_b32_e32 v20, v3
	s_mov_b32 s56, s18
	s_branch .LBB44_25
.LBB44_24:                              ;   in Loop: Header=BB44_25 Depth=2
	v_add_co_u32_e32 v16, vcc, -8, v16
	s_add_i32 s56, s56, -1
	v_addc_co_u32_e32 v17, vcc, -1, v17, vcc
	v_mul_f64 v[22:23], v[24:25], v[24:25]
	v_cmp_le_i32_e32 vcc, s56, v12
	v_fmac_f64_e32 v[4:5], 2.0, v[22:23]
	v_subrev_u32_e32 v20, s19, v20
	s_or_b64 s[52:53], vcc, s[52:53]
	v_subrev_u32_e32 v18, s23, v18
	s_andn2_b64 exec, exec, s[52:53]
	s_cbranch_execz .LBB44_18
.LBB44_25:                              ;   Parent Loop BB44_20 Depth=1
                                        ; =>  This Inner Loop Header: Depth=2
	v_ashrrev_i32_e32 v19, 31, v18
	v_lshlrev_b64 v[22:23], 3, v[18:19]
	v_add_co_u32_e32 v22, vcc, s34, v22
	v_addc_co_u32_e32 v23, vcc, v26, v23, vcc
	global_load_dwordx2 v[24:25], v[22:23], off
	v_ashrrev_i32_e32 v21, 31, v20
	v_lshlrev_b64 v[32:33], 3, v[20:21]
	v_add_co_u32_e64 v32, s[6:7], s40, v32
	s_and_b64 vcc, exec, s[2:3]
	v_addc_co_u32_e64 v33, s[6:7], v27, v33, s[6:7]
	s_waitcnt vmcnt(0)
	global_store_dwordx2 v[32:33], v[24:25], off
	global_store_dwordx2 v[16:17], v[24:25], off
	s_cbranch_vccnz .LBB44_24
; %bb.26:                               ;   in Loop: Header=BB44_25 Depth=2
	v_add_u32_e32 v32, s56, v1
	v_ashrrev_i32_e32 v33, 31, v32
	v_lshlrev_b64 v[32:33], 3, v[32:33]
	s_mov_b32 s49, s48
	v_mov_b32_e32 v9, s35
	v_add_co_u32_e32 v32, vcc, s34, v32
	v_pk_mov_b32 v[34:35], s[48:49], s[48:49] op_sel:[0,1]
	v_addc_co_u32_e32 v33, vcc, v9, v33, vcc
	global_store_dwordx2 v[22:23], v[34:35], off
	global_store_dwordx2 v[32:33], v[34:35], off
	s_branch .LBB44_24
.LBB44_27:
	s_or_b64 exec, exec, s[46:47]
.LBB44_28:
	s_or_b64 exec, exec, s[20:21]
.LBB44_29:
	v_lshlrev_b32_e32 v1, 3, v2
	v_add_u32_e32 v3, 0, v1
	v_add_u32_e32 v1, s66, v1
	v_cmp_gt_i32_e32 vcc, s36, v2
	ds_write_b64 v3, v[4:5]
	ds_write_b64 v1, v[6:7]
	s_and_b64 exec, exec, vcc
	s_cbranch_execz .LBB44_32
; %bb.30:
	v_lshlrev_b32_e32 v1, 2, v29
	v_lshl_add_u32 v1, s22, 4, v1
	s_lshl_b32 s2, s65, 2
	v_subrev_u32_e32 v1, s2, v1
	v_lshlrev_b32_e32 v3, 1, v29
	s_lshl_b32 s2, s65, 1
	s_lshl_b32 s6, s36, 2
	v_add_u32_e32 v1, 0, v1
	s_lshl_b32 s7, s22, 2
	v_subrev_u32_e32 v3, s2, v3
	s_lshl_b32 s18, s22, 1
	s_mov_b64 s[2:3], 0
	v_mov_b32_e32 v4, v2
.LBB44_31:                              ; =>This Inner Loop Header: Depth=1
	v_add_u32_e32 v4, s22, v4
	v_cmp_le_i32_e32 vcc, s36, v4
	ds_write_b32 v1, v3
	v_add_u32_e32 v5, 1, v3
	v_add_u32_e32 v6, s6, v1
	;; [unrolled: 1-line block ×4, first 2 shown]
	s_or_b64 s[2:3], vcc, s[2:3]
	ds_write_b32 v6, v5
	s_andn2_b64 exec, exec, s[2:3]
	s_cbranch_execnz .LBB44_31
.LBB44_32:
	s_or_b64 exec, exec, s[44:45]
	s_cmp_gt_i32 s22, 0
	v_pk_mov_b32 v[18:19], 0, 0
	s_mov_b32 s2, 0
	s_cselect_b64 s[20:21], -1, 0
	s_cmp_lt_i32 s22, 1
	v_pk_mov_b32 v[4:5], v[18:19], v[18:19] op_sel:[0,1]
	s_waitcnt lgkmcnt(0)
	s_barrier
	s_cbranch_scc1 .LBB44_40
; %bb.33:
	s_cmp_lt_u32 s22, 8
	v_pk_mov_b32 v[4:5], 0, 0
	s_cbranch_scc1 .LBB44_37
; %bb.34:
	v_pk_mov_b32 v[18:19], 0, 0
	s_and_b32 s2, s22, 0x7ffffff8
	s_mov_b32 s3, 0
	s_mov_b32 s6, 0
	v_pk_mov_b32 v[4:5], v[18:19], v[18:19] op_sel:[0,1]
.LBB44_35:                              ; =>This Inner Loop Header: Depth=1
	s_add_i32 s7, s6, s67
	v_mov_b32_e32 v1, s6
	v_mov_b32_e32 v3, s7
	ds_read2_b64 v[6:9], v1 offset1:1
	ds_read2_b64 v[10:13], v1 offset0:2 offset1:3
	ds_read2_b64 v[14:17], v1 offset0:4 offset1:5
	;; [unrolled: 1-line block ×3, first 2 shown]
	ds_read2_b64 v[24:27], v3 offset1:1
	ds_read2_b64 v[32:35], v3 offset0:2 offset1:3
	ds_read2_b64 v[36:39], v3 offset0:4 offset1:5
	;; [unrolled: 1-line block ×3, first 2 shown]
	s_waitcnt lgkmcnt(7)
	v_add_f64 v[6:7], v[18:19], v[6:7]
	s_waitcnt lgkmcnt(3)
	v_add_f64 v[4:5], v[4:5], v[24:25]
	v_add_f64 v[6:7], v[6:7], v[8:9]
	v_add_f64 v[4:5], v[4:5], v[26:27]
	v_add_f64 v[6:7], v[6:7], v[10:11]
	s_waitcnt lgkmcnt(2)
	v_add_f64 v[4:5], v[4:5], v[32:33]
	v_add_f64 v[6:7], v[6:7], v[12:13]
	v_add_f64 v[4:5], v[4:5], v[34:35]
	;; [unrolled: 5-line block ×3, first 2 shown]
	s_add_i32 s3, s3, 8
	s_add_i32 s6, s6, 64
	v_add_f64 v[6:7], v[6:7], v[20:21]
	s_waitcnt lgkmcnt(0)
	v_add_f64 v[4:5], v[4:5], v[40:41]
	s_cmp_lg_u32 s2, s3
	v_add_f64 v[18:19], v[6:7], v[22:23]
	v_add_f64 v[4:5], v[4:5], v[42:43]
	s_cbranch_scc1 .LBB44_35
; %bb.36:
	s_and_b32 s3, s22, 7
	s_cmp_eq_u32 s3, 0
	s_cbranch_scc0 .LBB44_38
	s_branch .LBB44_40
.LBB44_37:
	v_pk_mov_b32 v[18:19], v[4:5], v[4:5] op_sel:[0,1]
	s_and_b32 s3, s22, 7
	s_cmp_eq_u32 s3, 0
	s_cbranch_scc1 .LBB44_40
.LBB44_38:
	s_lshl_b32 s2, s2, 3
	s_add_i32 s2, s2, 0
.LBB44_39:                              ; =>This Inner Loop Header: Depth=1
	v_mov_b32_e32 v1, s2
	s_add_i32 s6, s2, s67
	v_mov_b32_e32 v3, s6
	ds_read_b64 v[6:7], v1
	ds_read_b64 v[8:9], v3
	s_add_i32 s2, s2, 8
	s_add_i32 s3, s3, -1
	s_cmp_lg_u32 s3, 0
	s_waitcnt lgkmcnt(1)
	v_add_f64 v[18:19], v[18:19], v[6:7]
	s_waitcnt lgkmcnt(0)
	v_add_f64 v[4:5], v[4:5], v[8:9]
	s_cbranch_scc1 .LBB44_39
.LBB44_40:
	s_load_dword s18, s[4:5], 0x40
	v_add_f64 v[4:5], v[4:5], v[18:19]
	v_mul_f64 v[4:5], v[4:5], s[10:11]
	v_mul_f64 v[4:5], v[4:5], s[10:11]
	v_cmp_gt_f64_e32 vcc, v[18:19], v[4:5]
	s_waitcnt lgkmcnt(0)
	s_cmp_gt_i32 s18, 0
	s_cselect_b64 s[2:3], -1, 0
	s_and_b64 s[2:3], s[2:3], vcc
	s_andn2_b64 vcc, exec, s[2:3]
	s_mov_b32 s37, 0
	s_cbranch_vccnz .LBB44_120
; %bb.41:
	s_mov_b32 s2, 0
	s_mov_b32 s3, 0x100000
	v_pk_mov_b32 v[12:13], s[12:13], s[12:13] op_sel:[0,1]
	v_pk_mov_b32 v[6:7], s[2:3], s[2:3] op_sel:[0,1]
	v_div_scale_f64 v[12:13], vcc, s[2:3], v[12:13], s[2:3]
	s_abs_i32 s2, s22
	v_cvt_f32_u32_e32 v1, s2
	v_div_scale_f64 v[8:9], s[4:5], s[12:13], s[12:13], v[6:7]
	s_sub_i32 s5, 0, s2
	v_rcp_iflag_f32_e32 v1, v1
	s_add_i32 s76, s66, s67
	s_lshl_b32 s3, s36, 2
	s_add_i32 s77, s76, s3
	v_mul_f32_e32 v1, 0x4f7ffffe, v1
	v_cvt_u32_f32_e32 v1, v1
	s_add_i32 s3, s36, -1
	s_xor_b32 s4, s3, s22
	s_abs_i32 s3, s3
	v_readfirstlane_b32 s6, v1
	s_mul_i32 s5, s5, s6
	s_mul_hi_u32 s5, s6, s5
	s_add_i32 s6, s6, s5
	s_mul_hi_u32 s5, s3, s6
	s_mul_i32 s6, s5, s2
	s_sub_i32 s3, s3, s6
	s_ashr_i32 s4, s4, 31
	s_add_i32 s6, s5, 1
	s_sub_i32 s7, s3, s2
	s_cmp_ge_u32 s3, s2
	s_cselect_b32 s5, s6, s5
	s_cselect_b32 s3, s7, s3
	s_add_i32 s6, s5, 1
	s_cmp_ge_u32 s3, s2
	v_rcp_f64_e32 v[10:11], v[8:9]
	s_cselect_b32 s2, s6, s5
	s_xor_b32 s2, s2, s4
	s_sub_i32 s78, s2, s4
	s_add_i32 s79, s64, -1
	s_cmp_gt_i32 s64, 1
	v_fma_f64 v[14:15], -v[8:9], v[10:11], 1.0
	s_cselect_b64 s[46:47], -1, 0
	s_cmp_gt_i32 s78, -1
	v_fmac_f64_e32 v[10:11], v[10:11], v[14:15]
	s_cselect_b64 s[48:49], -1, 0
	s_add_i32 s80, s19, 1
	v_fma_f64 v[14:15], -v[8:9], v[10:11], 1.0
	s_cmpk_lg_i32 s17, 0xd5
	v_fmac_f64_e32 v[10:11], v[10:11], v[14:15]
	s_cselect_b64 s[50:51], -1, 0
	s_max_i32 s81, s79, 1
	s_and_b32 s82, s22, 7
	v_mul_f64 v[14:15], v[12:13], v[10:11]
	s_cmp_gt_u32 s22, 7
	v_fma_f64 v[8:9], -v[8:9], v[14:15], v[12:13]
	v_lshlrev_b32_e32 v3, 3, v2
	s_cselect_b64 s[52:53], -1, 0
	s_and_b32 s83, s22, 0x7ffffff8
	v_div_fmas_f64 v[8:9], v[8:9], v[10:11], v[14:15]
	v_add_u32_e32 v1, 0, v3
	v_add_u32_e32 v30, s66, v3
	s_cmp_lg_u32 s82, 0
	v_sub_u32_e32 v3, s65, v29
	v_div_fixup_f64 v[6:7], v[8:9], s[12:13], v[6:7]
	s_cselect_b64 s[54:55], -1, 0
	v_mad_u64_u32 v[8:9], s[6:7], s33, v3, v[0:1]
	s_lshl_b32 s56, s33, 1
	s_ashr_i32 s57, s56, 31
	s_mul_i32 s6, s19, s33
	v_lshlrev_b32_e32 v0, 1, v0
	v_lshlrev_b32_e32 v3, 1, v28
	s_lshl_b64 s[58:59], s[56:57], 3
	s_lshl_b32 s57, s6, 1
	v_sub_u32_e32 v0, v0, v3
	v_ashrrev_i32_e32 v3, 31, v2
	s_add_u32 s6, s60, s8
	v_lshlrev_b64 v[10:11], 3, v[2:3]
	s_addc_u32 s7, s61, s9
	v_mov_b32_e32 v3, s7
	v_add_co_u32_e32 v10, vcc, s6, v10
	s_ashr_i32 s39, s38, 31
	v_addc_co_u32_e32 v11, vcc, v3, v11, vcc
	s_ashr_i32 s37, s36, 31
	v_pk_mov_b32 v[12:13], s[38:39], s[38:39] op_sel:[0,1]
	v_cmp_lt_i64_e32 vcc, s[36:37], v[12:13]
	s_and_b64 s[6:7], vcc, exec
	s_cselect_b32 s7, s37, s39
	s_cselect_b32 s6, s36, s38
	v_or_b32_e32 v9, 1, v0
	s_lshl_b64 s[60:61], s[6:7], 3
	s_ashr_i32 s7, s19, 31
	s_mov_b32 s6, s19
	s_mov_b32 s64, 0
	;; [unrolled: 1-line block ×3, first 2 shown]
	v_cmp_gt_i32_e64 s[2:3], s36, v31
	v_cmp_gt_i32_e64 s[4:5], s19, v2
	v_mul_lo_u32 v31, s19, v9
	v_mul_lo_u32 v32, s19, v0
	s_lshl_b64 s[62:63], s[6:7], 3
	s_movk_i32 s39, 0x204
	s_brev_b32 s65, 8
	v_mov_b32_e32 v3, 0x260
	v_mov_b32_e32 v33, 0x7ff80000
	;; [unrolled: 1-line block ×6, first 2 shown]
	s_mov_b32 s37, 0
                                        ; implicit-def: $vgpr12_vgpr13
                                        ; implicit-def: $vgpr16_vgpr17
                                        ; implicit-def: $vgpr14_vgpr15
	s_branch .LBB44_44
.LBB44_42:                              ;   in Loop: Header=BB44_44 Depth=1
	v_pk_mov_b32 v[18:19], 0, 0
.LBB44_43:                              ;   in Loop: Header=BB44_44 Depth=1
	s_add_i32 s37, s37, 1
	s_cmp_lt_i32 s37, s18
	s_cselect_b64 s[6:7], -1, 0
	v_cmp_gt_f64_e32 vcc, v[18:19], v[4:5]
	s_and_b64 s[6:7], s[6:7], vcc
	s_and_b64 vcc, exec, s[6:7]
	s_cbranch_vccz .LBB44_120
.LBB44_44:                              ; =>This Loop Header: Depth=1
                                        ;     Child Loop BB44_47 Depth 2
                                        ;       Child Loop BB44_49 Depth 3
                                        ;         Child Loop BB44_74 Depth 4
                                        ;         Child Loop BB44_84 Depth 4
                                        ;     Child Loop BB44_106 Depth 2
                                        ;       Child Loop BB44_108 Depth 3
                                        ;     Child Loop BB44_115 Depth 2
                                        ;     Child Loop BB44_119 Depth 2
	s_andn2_b64 vcc, exec, s[46:47]
	s_cbranch_vccnz .LBB44_102
; %bb.45:                               ;   in Loop: Header=BB44_44 Depth=1
	s_mov_b32 s84, 0
	s_branch .LBB44_47
.LBB44_46:                              ;   in Loop: Header=BB44_47 Depth=2
	s_add_i32 s84, s84, 1
	s_cmp_eq_u32 s84, s81
	s_cbranch_scc1 .LBB44_102
.LBB44_47:                              ;   Parent Loop BB44_44 Depth=1
                                        ; =>  This Loop Header: Depth=2
                                        ;       Child Loop BB44_49 Depth 3
                                        ;         Child Loop BB44_74 Depth 4
                                        ;         Child Loop BB44_84 Depth 4
	s_andn2_b64 vcc, exec, s[48:49]
	s_cbranch_vccnz .LBB44_46
; %bb.48:                               ;   in Loop: Header=BB44_47 Depth=2
	s_mov_b32 s85, 0
.LBB44_49:                              ;   Parent Loop BB44_44 Depth=1
                                        ;     Parent Loop BB44_47 Depth=2
                                        ; =>    This Loop Header: Depth=3
                                        ;         Child Loop BB44_74 Depth 4
                                        ;         Child Loop BB44_84 Depth 4
	s_mul_i32 s6, s85, s22
	v_add_u32_e32 v21, s6, v2
	v_cmp_gt_i32_e64 s[6:7], s36, v21
	v_mov_b32_e32 v20, s19
	s_and_saveexec_b64 s[8:9], s[6:7]
	s_cbranch_execz .LBB44_51
; %bb.50:                               ;   in Loop: Header=BB44_49 Depth=3
	v_lshl_add_u32 v18, v21, 2, s76
	ds_read_b32 v20, v18
.LBB44_51:                              ;   in Loop: Header=BB44_49 Depth=3
	s_or_b64 exec, exec, s[8:9]
	v_mov_b32_e32 v18, s19
	v_lshl_add_u32 v19, v21, 2, s77
	s_and_saveexec_b64 s[8:9], s[6:7]
	s_cbranch_execz .LBB44_53
; %bb.52:                               ;   in Loop: Header=BB44_49 Depth=3
	ds_read_b32 v18, v19
.LBB44_53:                              ;   in Loop: Header=BB44_49 Depth=3
	s_or_b64 exec, exec, s[8:9]
	s_waitcnt lgkmcnt(0)
	v_cmp_gt_i32_e64 s[8:9], s19, v20
	s_and_b64 s[12:13], s[0:1], s[8:9]
	v_cmp_gt_i32_e64 s[10:11], s19, v18
	s_and_b64 s[66:67], s[12:13], s[10:11]
	s_and_saveexec_b64 s[68:69], s[66:67]
	s_cbranch_execz .LBB44_69
; %bb.54:                               ;   in Loop: Header=BB44_49 Depth=3
	v_mul_lo_u32 v24, v18, s19
	v_add_u32_e32 v14, v24, v20
	v_ashrrev_i32_e32 v15, 31, v14
	v_lshlrev_b64 v[14:15], 3, v[14:15]
	v_mov_b32_e32 v16, s41
	v_add_co_u32_e32 v14, vcc, s40, v14
	v_addc_co_u32_e32 v15, vcc, v16, v15, vcc
	global_load_dwordx2 v[22:23], v[14:15], off
	v_pk_mov_b32 v[16:17], 0, 0
	s_waitcnt vmcnt(0)
	v_mul_f64 v[14:15], v[22:23], v[22:23]
	v_cmp_nlt_f64_e32 vcc, v[14:15], v[6:7]
	v_mov_b32_e32 v14, 0
	v_mov_b32_e32 v15, 0x3ff00000
	s_and_saveexec_b64 s[70:71], vcc
	s_cbranch_execz .LBB44_68
; %bb.55:                               ;   in Loop: Header=BB44_49 Depth=3
	v_add_u32_e32 v14, v24, v18
	v_ashrrev_i32_e32 v15, 31, v14
	v_lshlrev_b64 v[14:15], 3, v[14:15]
	v_mov_b32_e32 v16, s41
	v_add_co_u32_e32 v14, vcc, s40, v14
	v_addc_co_u32_e32 v15, vcc, v16, v15, vcc
	v_mul_lo_u32 v16, v20, s80
	v_ashrrev_i32_e32 v17, 31, v16
	v_lshlrev_b64 v[16:17], 3, v[16:17]
	v_mov_b32_e32 v24, s41
	v_add_co_u32_e32 v16, vcc, s40, v16
	v_addc_co_u32_e32 v17, vcc, v24, v17, vcc
	global_load_dwordx2 v[14:15], v[14:15], off
	s_nop 0
	global_load_dwordx2 v[24:25], v[16:17], off
	v_add_f64 v[16:17], |v[22:23]|, |v[22:23]|
	s_waitcnt vmcnt(0)
	v_add_f64 v[24:25], v[14:15], -v[24:25]
	v_max_f64 v[14:15], |v[24:25]|, |v[16:17]|
	v_frexp_exp_i32_f64_e32 v26, v[14:15]
	v_sub_u32_e32 v27, 0, v26
	v_ldexp_f64 v[28:29], |v[16:17]|, v27
	v_ldexp_f64 v[14:15], |v[24:25]|, v27
	v_mul_f64 v[28:29], v[28:29], v[28:29]
	v_fmac_f64_e32 v[28:29], v[14:15], v[14:15]
	v_rsq_f64_e32 v[14:15], v[28:29]
	v_cmp_eq_f64_e64 s[12:13], 0, v[28:29]
	v_cmp_ngt_f64_e32 vcc, 0, v[24:25]
	v_cmp_class_f64_e64 s[72:73], v[24:25], s39
	v_mul_f64 v[38:39], v[28:29], v[14:15]
	v_mul_f64 v[14:15], v[14:15], 0.5
	v_fma_f64 v[40:41], -v[14:15], v[38:39], 0.5
	v_fmac_f64_e32 v[38:39], v[38:39], v[40:41]
	v_fmac_f64_e32 v[14:15], v[14:15], v[40:41]
	v_fma_f64 v[40:41], -v[38:39], v[38:39], v[28:29]
	v_fmac_f64_e32 v[38:39], v[40:41], v[14:15]
	v_cndmask_b32_e64 v15, v39, v29, s[12:13]
	v_cndmask_b32_e64 v14, v38, v28, s[12:13]
	v_cmp_class_f64_e64 s[12:13], v[16:17], s39
                                        ; implicit-def: $vgpr28_vgpr29
	s_and_saveexec_b64 s[74:75], vcc
	s_xor_b64 s[74:75], exec, s[74:75]
; %bb.56:                               ;   in Loop: Header=BB44_49 Depth=3
	v_ldexp_f64 v[14:15], v[14:15], v26
	v_cmp_o_f64_e32 vcc, v[24:25], v[16:17]
	v_cndmask_b32_e32 v14, 0, v14, vcc
	v_cndmask_b32_e32 v15, v33, v15, vcc
	s_or_b64 vcc, s[12:13], s[72:73]
	v_cndmask_b32_e32 v29, v15, v34, vcc
	v_cndmask_b32_e64 v28, v14, 0, vcc
                                        ; implicit-def: $vgpr14_vgpr15
                                        ; implicit-def: $vgpr26
; %bb.57:                               ;   in Loop: Header=BB44_49 Depth=3
	s_andn2_saveexec_b64 s[74:75], s[74:75]
; %bb.58:                               ;   in Loop: Header=BB44_49 Depth=3
	v_ldexp_f64 v[14:15], -v[14:15], v26
	v_cmp_o_f64_e32 vcc, v[16:17], v[16:17]
	v_cndmask_b32_e32 v14, 0, v14, vcc
	v_cndmask_b32_e32 v15, v35, v15, vcc
	s_or_b64 vcc, s[12:13], s[72:73]
	v_cndmask_b32_e32 v29, v15, v36, vcc
	v_cndmask_b32_e64 v28, v14, 0, vcc
; %bb.59:                               ;   in Loop: Header=BB44_49 Depth=3
	s_or_b64 exec, exec, s[74:75]
	v_mov_b32_e32 v14, 0
	v_cmp_neq_f64_e32 vcc, 0, v[16:17]
	v_mov_b32_e32 v15, 0x3ff00000
	v_pk_mov_b32 v[26:27], 0, 0
	s_and_saveexec_b64 s[12:13], vcc
	s_cbranch_execz .LBB44_67
; %bb.60:                               ;   in Loop: Header=BB44_49 Depth=3
	v_add_f64 v[24:25], v[24:25], v[28:29]
	v_mov_b32_e32 v26, 0
	v_cmp_neq_f64_e32 vcc, 0, v[24:25]
	v_mov_b32_e32 v27, 0x3ff00000
	v_pk_mov_b32 v[14:15], 0, 0
	s_and_saveexec_b64 s[72:73], vcc
	s_cbranch_execz .LBB44_66
; %bb.61:                               ;   in Loop: Header=BB44_49 Depth=3
	v_cmp_ngt_f64_e64 s[74:75], |v[16:17]|, |v[24:25]|
                                        ; implicit-def: $vgpr26_vgpr27
                                        ; implicit-def: $vgpr14_vgpr15
	s_and_saveexec_b64 s[86:87], s[74:75]
	s_xor_b64 s[74:75], exec, s[86:87]
	s_cbranch_execz .LBB44_63
; %bb.62:                               ;   in Loop: Header=BB44_49 Depth=3
	v_div_scale_f64 v[14:15], s[86:87], v[24:25], v[24:25], -v[16:17]
	v_rcp_f64_e32 v[26:27], v[14:15]
	v_div_scale_f64 v[28:29], vcc, -v[16:17], v[24:25], -v[16:17]
	v_fma_f64 v[38:39], -v[14:15], v[26:27], 1.0
	v_fmac_f64_e32 v[26:27], v[26:27], v[38:39]
	v_fma_f64 v[38:39], -v[14:15], v[26:27], 1.0
	v_fmac_f64_e32 v[26:27], v[26:27], v[38:39]
	v_mul_f64 v[38:39], v[28:29], v[26:27]
	v_fma_f64 v[14:15], -v[14:15], v[38:39], v[28:29]
	v_div_fmas_f64 v[14:15], v[14:15], v[26:27], v[38:39]
	v_div_fixup_f64 v[16:17], v[14:15], v[24:25], -v[16:17]
	v_fma_f64 v[14:15], v[16:17], v[16:17], 1.0
	v_cmp_gt_f64_e32 vcc, s[64:65], v[14:15]
	v_cndmask_b32_e64 v24, 0, 1, vcc
	v_lshlrev_b32_e32 v24, 8, v24
	v_ldexp_f64 v[14:15], v[14:15], v24
	v_rsq_f64_e32 v[24:25], v[14:15]
	v_mul_f64 v[26:27], v[14:15], v[24:25]
	v_mul_f64 v[24:25], v[24:25], 0.5
	v_fma_f64 v[28:29], -v[24:25], v[26:27], 0.5
	v_fmac_f64_e32 v[26:27], v[26:27], v[28:29]
	v_fma_f64 v[38:39], -v[26:27], v[26:27], v[14:15]
	v_fmac_f64_e32 v[24:25], v[24:25], v[28:29]
	v_fmac_f64_e32 v[26:27], v[38:39], v[24:25]
	v_fma_f64 v[28:29], -v[26:27], v[26:27], v[14:15]
	v_fmac_f64_e32 v[26:27], v[28:29], v[24:25]
	v_cndmask_b32_e32 v24, 0, v37, vcc
	v_ldexp_f64 v[24:25], v[26:27], v24
	v_cmp_class_f64_e32 vcc, v[14:15], v3
	v_cndmask_b32_e32 v15, v25, v15, vcc
	v_cndmask_b32_e32 v14, v24, v14, vcc
	v_div_scale_f64 v[24:25], s[86:87], v[14:15], v[14:15], 1.0
	v_rcp_f64_e32 v[26:27], v[24:25]
	v_fma_f64 v[28:29], -v[24:25], v[26:27], 1.0
	v_fmac_f64_e32 v[26:27], v[26:27], v[28:29]
	v_fma_f64 v[28:29], -v[24:25], v[26:27], 1.0
	v_fmac_f64_e32 v[26:27], v[26:27], v[28:29]
	v_div_scale_f64 v[28:29], vcc, 1.0, v[14:15], 1.0
	v_mul_f64 v[38:39], v[28:29], v[26:27]
	v_fma_f64 v[24:25], -v[24:25], v[38:39], v[28:29]
	s_nop 1
	v_div_fmas_f64 v[24:25], v[24:25], v[26:27], v[38:39]
	v_div_fixup_f64 v[14:15], v[24:25], v[14:15], 1.0
	v_mul_f64 v[26:27], v[16:17], v[14:15]
                                        ; implicit-def: $vgpr16_vgpr17
                                        ; implicit-def: $vgpr24_vgpr25
.LBB44_63:                              ;   in Loop: Header=BB44_49 Depth=3
	s_andn2_saveexec_b64 s[74:75], s[74:75]
	s_cbranch_execz .LBB44_65
; %bb.64:                               ;   in Loop: Header=BB44_49 Depth=3
	v_div_scale_f64 v[14:15], s[86:87], v[16:17], v[16:17], -v[24:25]
	v_rcp_f64_e32 v[26:27], v[14:15]
	v_div_scale_f64 v[28:29], vcc, -v[24:25], v[16:17], -v[24:25]
	v_fma_f64 v[38:39], -v[14:15], v[26:27], 1.0
	v_fmac_f64_e32 v[26:27], v[26:27], v[38:39]
	v_fma_f64 v[38:39], -v[14:15], v[26:27], 1.0
	v_fmac_f64_e32 v[26:27], v[26:27], v[38:39]
	v_mul_f64 v[38:39], v[28:29], v[26:27]
	v_fma_f64 v[14:15], -v[14:15], v[38:39], v[28:29]
	v_div_fmas_f64 v[14:15], v[14:15], v[26:27], v[38:39]
	v_div_fixup_f64 v[14:15], v[14:15], v[16:17], -v[24:25]
	v_fma_f64 v[16:17], v[14:15], v[14:15], 1.0
	v_cmp_gt_f64_e32 vcc, s[64:65], v[16:17]
	v_cndmask_b32_e64 v24, 0, 1, vcc
	v_lshlrev_b32_e32 v24, 8, v24
	v_ldexp_f64 v[16:17], v[16:17], v24
	v_rsq_f64_e32 v[24:25], v[16:17]
	v_mul_f64 v[26:27], v[16:17], v[24:25]
	v_mul_f64 v[24:25], v[24:25], 0.5
	v_fma_f64 v[28:29], -v[24:25], v[26:27], 0.5
	v_fmac_f64_e32 v[26:27], v[26:27], v[28:29]
	v_fma_f64 v[38:39], -v[26:27], v[26:27], v[16:17]
	v_fmac_f64_e32 v[24:25], v[24:25], v[28:29]
	v_fmac_f64_e32 v[26:27], v[38:39], v[24:25]
	v_fma_f64 v[28:29], -v[26:27], v[26:27], v[16:17]
	v_fmac_f64_e32 v[26:27], v[28:29], v[24:25]
	v_cndmask_b32_e32 v24, 0, v37, vcc
	v_ldexp_f64 v[24:25], v[26:27], v24
	v_cmp_class_f64_e32 vcc, v[16:17], v3
	v_cndmask_b32_e32 v17, v25, v17, vcc
	v_cndmask_b32_e32 v16, v24, v16, vcc
	v_div_scale_f64 v[24:25], s[86:87], v[16:17], v[16:17], 1.0
	v_rcp_f64_e32 v[26:27], v[24:25]
	v_fma_f64 v[28:29], -v[24:25], v[26:27], 1.0
	v_fmac_f64_e32 v[26:27], v[26:27], v[28:29]
	v_fma_f64 v[28:29], -v[24:25], v[26:27], 1.0
	v_fmac_f64_e32 v[26:27], v[26:27], v[28:29]
	v_div_scale_f64 v[28:29], vcc, 1.0, v[16:17], 1.0
	v_mul_f64 v[38:39], v[28:29], v[26:27]
	v_fma_f64 v[24:25], -v[24:25], v[38:39], v[28:29]
	s_nop 1
	v_div_fmas_f64 v[24:25], v[24:25], v[26:27], v[38:39]
	v_div_fixup_f64 v[26:27], v[24:25], v[16:17], 1.0
	v_mul_f64 v[14:15], v[14:15], v[26:27]
.LBB44_65:                              ;   in Loop: Header=BB44_49 Depth=3
	s_or_b64 exec, exec, s[74:75]
.LBB44_66:                              ;   in Loop: Header=BB44_49 Depth=3
	s_or_b64 exec, exec, s[72:73]
.LBB44_67:                              ;   in Loop: Header=BB44_49 Depth=3
	s_or_b64 exec, exec, s[12:13]
	v_mul_f64 v[16:17], v[22:23], v[26:27]
	v_and_b32_e32 v25, 0x7fffffff, v23
	v_mov_b32_e32 v24, v22
	v_div_scale_f64 v[26:27], s[12:13], v[24:25], v[24:25], v[16:17]
	v_rcp_f64_e32 v[28:29], v[26:27]
	v_div_scale_f64 v[24:25], vcc, v[16:17], v[24:25], v[16:17]
	v_fma_f64 v[38:39], -v[26:27], v[28:29], 1.0
	v_fmac_f64_e32 v[28:29], v[28:29], v[38:39]
	v_fma_f64 v[38:39], -v[26:27], v[28:29], 1.0
	v_fmac_f64_e32 v[28:29], v[28:29], v[38:39]
	v_mul_f64 v[38:39], v[24:25], v[28:29]
	v_fma_f64 v[24:25], -v[26:27], v[38:39], v[24:25]
	v_div_fmas_f64 v[24:25], v[24:25], v[28:29], v[38:39]
	v_div_fixup_f64 v[16:17], v[24:25], |v[22:23]|, v[16:17]
.LBB44_68:                              ;   in Loop: Header=BB44_49 Depth=3
	s_or_b64 exec, exec, s[70:71]
	ds_write_b64 v1, v[14:15]
	ds_write_b64 v30, v[16:17]
.LBB44_69:                              ;   in Loop: Header=BB44_49 Depth=3
	s_or_b64 exec, exec, s[68:69]
	s_and_b64 s[8:9], s[8:9], s[10:11]
	s_mov_b64 s[12:13], 0
	s_waitcnt lgkmcnt(0)
	s_barrier
	s_and_saveexec_b64 s[10:11], s[8:9]
	s_cbranch_execz .LBB44_81
; %bb.70:                               ;   in Loop: Header=BB44_49 Depth=3
	ds_read_b64 v[14:15], v1
	ds_read_b64 v[16:17], v30
	s_mov_b64 s[8:9], 0
	s_and_saveexec_b64 s[12:13], s[2:3]
	s_cbranch_execz .LBB44_80
; %bb.71:                               ;   in Loop: Header=BB44_49 Depth=3
	v_mad_u64_u32 v[12:13], s[8:9], v18, s19, v[0:1]
	v_mad_u64_u32 v[22:23], s[8:9], v20, s19, v[0:1]
	v_ashrrev_i32_e32 v13, 31, v12
	v_ashrrev_i32_e32 v23, 31, v22
	v_mul_lo_u32 v28, v20, s23
	v_mul_lo_u32 v29, v18, s23
	v_lshlrev_b64 v[12:13], 3, v[12:13]
	v_lshlrev_b64 v[22:23], 3, v[22:23]
	s_mov_b64 s[68:69], 0
	s_mov_b64 s[70:71], s[40:41]
	v_mov_b32_e32 v38, v0
	v_mov_b32_e32 v39, v8
	s_branch .LBB44_74
.LBB44_72:                              ;   in Loop: Header=BB44_74 Depth=4
	s_or_b64 exec, exec, s[72:73]
.LBB44_73:                              ;   in Loop: Header=BB44_74 Depth=4
	v_add_u32_e32 v39, s33, v39
	s_add_u32 s70, s70, s58
	s_addc_u32 s71, s71, s59
	v_cmp_le_i32_e32 vcc, s36, v39
	s_or_b64 s[68:69], vcc, s[68:69]
	v_add_u32_e32 v38, s56, v38
	s_andn2_b64 exec, exec, s[68:69]
	s_cbranch_execz .LBB44_79
.LBB44_74:                              ;   Parent Loop BB44_44 Depth=1
                                        ;     Parent Loop BB44_47 Depth=2
                                        ;       Parent Loop BB44_49 Depth=3
                                        ; =>      This Inner Loop Header: Depth=4
	v_mov_b32_e32 v27, s71
	v_add_co_u32_e32 v24, vcc, s70, v22
	v_addc_co_u32_e32 v25, vcc, v27, v23, vcc
	v_add_co_u32_e32 v26, vcc, s70, v12
	v_addc_co_u32_e32 v27, vcc, v27, v13, vcc
	global_load_dwordx2 v[40:41], v[26:27], off
	global_load_dwordx2 v[42:43], v[24:25], off
	v_add_u32_e32 v48, 1, v38
	v_cmp_gt_i32_e64 s[8:9], s19, v48
	s_waitcnt vmcnt(1) lgkmcnt(0)
	v_mul_f64 v[44:45], v[16:17], v[40:41]
	s_waitcnt vmcnt(0)
	v_mul_f64 v[46:47], v[16:17], v[42:43]
	v_fmac_f64_e32 v[44:45], v[14:15], v[42:43]
	v_fma_f64 v[40:41], v[14:15], v[40:41], -v[46:47]
	global_store_dwordx2 v[24:25], v[44:45], off
	global_store_dwordx2 v[26:27], v[40:41], off
	s_and_saveexec_b64 s[72:73], s[8:9]
	s_cbranch_execz .LBB44_76
; %bb.75:                               ;   in Loop: Header=BB44_74 Depth=4
	global_load_dwordx2 v[40:41], v[26:27], off offset:8
	global_load_dwordx2 v[42:43], v[24:25], off offset:8
	s_waitcnt vmcnt(1)
	v_mul_f64 v[44:45], v[16:17], v[40:41]
	s_waitcnt vmcnt(0)
	v_mul_f64 v[46:47], v[16:17], v[42:43]
	v_fmac_f64_e32 v[44:45], v[14:15], v[42:43]
	v_fma_f64 v[40:41], v[14:15], v[40:41], -v[46:47]
	global_store_dwordx2 v[24:25], v[44:45], off offset:8
	global_store_dwordx2 v[26:27], v[40:41], off offset:8
.LBB44_76:                              ;   in Loop: Header=BB44_74 Depth=4
	s_or_b64 exec, exec, s[72:73]
	s_andn2_b64 vcc, exec, s[50:51]
	s_cbranch_vccnz .LBB44_73
; %bb.77:                               ;   in Loop: Header=BB44_74 Depth=4
	v_add_u32_e32 v24, v28, v38
	v_ashrrev_i32_e32 v25, 31, v24
	v_lshlrev_b64 v[24:25], 3, v[24:25]
	v_mov_b32_e32 v26, s35
	v_add_co_u32_e32 v24, vcc, s34, v24
	v_addc_co_u32_e32 v25, vcc, v26, v25, vcc
	v_add_u32_e32 v26, v29, v38
	v_ashrrev_i32_e32 v27, 31, v26
	v_lshlrev_b64 v[26:27], 3, v[26:27]
	v_mov_b32_e32 v40, s35
	v_add_co_u32_e32 v26, vcc, s34, v26
	v_addc_co_u32_e32 v27, vcc, v40, v27, vcc
	global_load_dwordx2 v[40:41], v[26:27], off
	global_load_dwordx2 v[42:43], v[24:25], off
	s_waitcnt vmcnt(1)
	v_mul_f64 v[44:45], v[16:17], v[40:41]
	s_waitcnt vmcnt(0)
	v_mul_f64 v[46:47], v[16:17], v[42:43]
	v_fmac_f64_e32 v[44:45], v[14:15], v[42:43]
	v_fma_f64 v[40:41], v[14:15], v[40:41], -v[46:47]
	global_store_dwordx2 v[24:25], v[44:45], off
	global_store_dwordx2 v[26:27], v[40:41], off
	s_and_saveexec_b64 s[72:73], s[8:9]
	s_cbranch_execz .LBB44_72
; %bb.78:                               ;   in Loop: Header=BB44_74 Depth=4
	global_load_dwordx2 v[40:41], v[26:27], off offset:8
	global_load_dwordx2 v[42:43], v[24:25], off offset:8
	s_waitcnt vmcnt(1)
	v_mul_f64 v[44:45], v[16:17], v[40:41]
	s_waitcnt vmcnt(0)
	v_mul_f64 v[46:47], v[16:17], v[42:43]
	v_fmac_f64_e32 v[44:45], v[14:15], v[42:43]
	v_fma_f64 v[40:41], v[14:15], v[40:41], -v[46:47]
	global_store_dwordx2 v[24:25], v[44:45], off offset:8
	global_store_dwordx2 v[26:27], v[40:41], off offset:8
	s_branch .LBB44_72
.LBB44_79:                              ;   in Loop: Header=BB44_49 Depth=3
	s_or_b64 exec, exec, s[68:69]
	s_mov_b64 s[8:9], exec
.LBB44_80:                              ;   in Loop: Header=BB44_49 Depth=3
	s_or_b64 exec, exec, s[12:13]
	s_and_b64 s[12:13], s[8:9], exec
	s_waitcnt lgkmcnt(0)
	v_pk_mov_b32 v[12:13], v[16:17], v[16:17] op_sel:[0,1]
.LBB44_81:                              ;   in Loop: Header=BB44_49 Depth=3
	s_or_b64 exec, exec, s[10:11]
	s_barrier
	s_and_saveexec_b64 s[8:9], s[12:13]
	s_cbranch_execz .LBB44_86
; %bb.82:                               ;   in Loop: Header=BB44_49 Depth=3
	v_add_u32_e32 v22, v31, v20
	v_add_u32_e32 v23, v31, v18
	v_add_u32_e32 v24, v32, v18
	v_add_u32_e32 v25, v32, v20
	s_mov_b32 s45, 0
	s_mov_b64 s[10:11], 0
	v_mov_b32_e32 v26, v9
	v_mov_b32_e32 v27, v8
	s_branch .LBB44_84
.LBB44_83:                              ;   in Loop: Header=BB44_84 Depth=4
	s_or_b64 exec, exec, s[12:13]
	v_add_u32_e32 v27, s33, v27
	s_add_i32 s45, s45, s57
	v_cmp_le_i32_e32 vcc, s36, v27
	s_or_b64 s[10:11], vcc, s[10:11]
	v_add_u32_e32 v26, s56, v26
	s_andn2_b64 exec, exec, s[10:11]
	s_cbranch_execz .LBB44_86
.LBB44_84:                              ;   Parent Loop BB44_44 Depth=1
                                        ;     Parent Loop BB44_47 Depth=2
                                        ;       Parent Loop BB44_49 Depth=3
                                        ; =>      This Inner Loop Header: Depth=4
	v_add_u32_e32 v28, s45, v25
	v_ashrrev_i32_e32 v29, 31, v28
	v_lshlrev_b64 v[28:29], 3, v[28:29]
	v_mov_b32_e32 v38, s41
	v_add_co_u32_e32 v28, vcc, s40, v28
	v_addc_co_u32_e32 v29, vcc, v38, v29, vcc
	v_add_u32_e32 v38, s45, v24
	v_ashrrev_i32_e32 v39, 31, v38
	v_lshlrev_b64 v[38:39], 3, v[38:39]
	v_mov_b32_e32 v40, s41
	v_add_co_u32_e32 v38, vcc, s40, v38
	v_addc_co_u32_e32 v39, vcc, v40, v39, vcc
	global_load_dwordx2 v[40:41], v[38:39], off
	global_load_dwordx2 v[42:43], v[28:29], off
	v_cmp_gt_i32_e32 vcc, s19, v26
	s_waitcnt vmcnt(1)
	v_mul_f64 v[44:45], v[16:17], v[40:41]
	s_waitcnt vmcnt(0)
	v_mul_f64 v[46:47], v[12:13], v[42:43]
	v_fmac_f64_e32 v[44:45], v[14:15], v[42:43]
	v_fma_f64 v[40:41], v[14:15], v[40:41], -v[46:47]
	global_store_dwordx2 v[28:29], v[44:45], off
	global_store_dwordx2 v[38:39], v[40:41], off
	s_and_saveexec_b64 s[12:13], vcc
	s_cbranch_execz .LBB44_83
; %bb.85:                               ;   in Loop: Header=BB44_84 Depth=4
	v_add_u32_e32 v28, s45, v22
	v_ashrrev_i32_e32 v29, 31, v28
	v_lshlrev_b64 v[28:29], 3, v[28:29]
	v_mov_b32_e32 v38, s41
	v_add_co_u32_e32 v28, vcc, s40, v28
	v_addc_co_u32_e32 v29, vcc, v38, v29, vcc
	v_add_u32_e32 v38, s45, v23
	v_ashrrev_i32_e32 v39, 31, v38
	v_lshlrev_b64 v[38:39], 3, v[38:39]
	v_mov_b32_e32 v40, s41
	v_add_co_u32_e32 v38, vcc, s40, v38
	v_addc_co_u32_e32 v39, vcc, v40, v39, vcc
	global_load_dwordx2 v[40:41], v[38:39], off
	global_load_dwordx2 v[42:43], v[28:29], off
	s_waitcnt vmcnt(1)
	v_mul_f64 v[44:45], v[16:17], v[40:41]
	s_waitcnt vmcnt(0)
	v_mul_f64 v[46:47], v[12:13], v[42:43]
	v_fmac_f64_e32 v[44:45], v[14:15], v[42:43]
	v_fma_f64 v[40:41], v[14:15], v[40:41], -v[46:47]
	global_store_dwordx2 v[28:29], v[44:45], off
	global_store_dwordx2 v[38:39], v[40:41], off
	s_branch .LBB44_83
.LBB44_86:                              ;   in Loop: Header=BB44_49 Depth=3
	s_or_b64 exec, exec, s[8:9]
	s_barrier
	s_and_saveexec_b64 s[8:9], s[66:67]
	s_cbranch_execz .LBB44_88
; %bb.87:                               ;   in Loop: Header=BB44_49 Depth=3
	v_mad_u64_u32 v[22:23], s[10:11], v18, s19, v[20:21]
	v_ashrrev_i32_e32 v23, 31, v22
	v_lshlrev_b64 v[22:23], 3, v[22:23]
	v_mov_b32_e32 v24, s41
	v_add_co_u32_e32 v22, vcc, s40, v22
	s_mov_b32 s45, s44
	v_addc_co_u32_e32 v23, vcc, v24, v23, vcc
	v_pk_mov_b32 v[24:25], s[44:45], s[44:45] op_sel:[0,1]
	global_store_dwordx2 v[22:23], v[24:25], off
	v_mad_u64_u32 v[22:23], s[10:11], v20, s19, v[18:19]
	v_ashrrev_i32_e32 v23, 31, v22
	v_lshlrev_b64 v[22:23], 3, v[22:23]
	v_mov_b32_e32 v26, s41
	v_add_co_u32_e32 v22, vcc, s40, v22
	v_addc_co_u32_e32 v23, vcc, v26, v23, vcc
	global_store_dwordx2 v[22:23], v[24:25], off
.LBB44_88:                              ;   in Loop: Header=BB44_49 Depth=3
	s_or_b64 exec, exec, s[8:9]
	s_and_b64 s[6:7], s[0:1], s[6:7]
	s_barrier
	s_and_saveexec_b64 s[8:9], s[6:7]
	s_cbranch_execz .LBB44_100
; %bb.89:                               ;   in Loop: Header=BB44_49 Depth=3
	v_cmp_lt_i32_e32 vcc, 0, v20
	s_and_saveexec_b64 s[10:11], vcc
	s_cbranch_execz .LBB44_95
; %bb.90:                               ;   in Loop: Header=BB44_49 Depth=3
	v_cmp_ne_u32_e32 vcc, 2, v20
	v_cmp_ne_u32_e64 s[6:7], s79, v20
	s_and_b64 s[6:7], vcc, s[6:7]
                                        ; implicit-def: $vgpr22
	s_and_saveexec_b64 s[12:13], s[6:7]
	s_xor_b64 s[6:7], exec, s[12:13]
; %bb.91:                               ;   in Loop: Header=BB44_49 Depth=3
	v_and_b32_e32 v22, 1, v20
	v_cmp_eq_u32_e32 vcc, 0, v22
	v_cndmask_b32_e64 v22, 2, -2, vcc
	v_add_u32_e32 v22, v22, v20
                                        ; implicit-def: $vgpr20
; %bb.92:                               ;   in Loop: Header=BB44_49 Depth=3
	s_andn2_saveexec_b64 s[6:7], s[6:7]
; %bb.93:                               ;   in Loop: Header=BB44_49 Depth=3
	v_add_u32_e32 v22, -1, v20
; %bb.94:                               ;   in Loop: Header=BB44_49 Depth=3
	s_or_b64 exec, exec, s[6:7]
	v_lshl_add_u32 v20, v21, 2, s76
	ds_write_b32 v20, v22
.LBB44_95:                              ;   in Loop: Header=BB44_49 Depth=3
	s_or_b64 exec, exec, s[10:11]
	v_cmp_ne_u32_e32 vcc, 2, v18
	v_cmp_ne_u32_e64 s[6:7], s79, v18
	s_and_b64 s[6:7], vcc, s[6:7]
                                        ; implicit-def: $vgpr20
	s_and_saveexec_b64 s[10:11], s[6:7]
	s_xor_b64 s[6:7], exec, s[10:11]
; %bb.96:                               ;   in Loop: Header=BB44_49 Depth=3
	v_and_b32_e32 v20, 1, v18
	v_cmp_eq_u32_e32 vcc, 0, v20
	v_cndmask_b32_e64 v20, 2, -2, vcc
	v_add_u32_e32 v20, v20, v18
                                        ; implicit-def: $vgpr18
; %bb.97:                               ;   in Loop: Header=BB44_49 Depth=3
	s_andn2_saveexec_b64 s[6:7], s[6:7]
; %bb.98:                               ;   in Loop: Header=BB44_49 Depth=3
	v_add_u32_e32 v20, -1, v18
; %bb.99:                               ;   in Loop: Header=BB44_49 Depth=3
	s_or_b64 exec, exec, s[6:7]
	ds_write_b32 v19, v20
.LBB44_100:                             ;   in Loop: Header=BB44_49 Depth=3
	s_or_b64 exec, exec, s[8:9]
	s_add_i32 s6, s85, 1
	s_cmp_eq_u32 s85, s78
	s_waitcnt lgkmcnt(0)
	s_barrier
	s_cbranch_scc1 .LBB44_46
; %bb.101:                              ;   in Loop: Header=BB44_49 Depth=3
	s_mov_b32 s85, s6
	s_branch .LBB44_49
.LBB44_102:                             ;   in Loop: Header=BB44_44 Depth=1
	s_and_saveexec_b64 s[6:7], s[0:1]
	s_cbranch_execz .LBB44_112
; %bb.103:                              ;   in Loop: Header=BB44_44 Depth=1
	v_pk_mov_b32 v[18:19], 0, 0
	s_and_saveexec_b64 s[8:9], s[4:5]
	s_cbranch_execz .LBB44_111
; %bb.104:                              ;   in Loop: Header=BB44_44 Depth=1
	s_mov_b64 s[10:11], 0
	v_pk_mov_b32 v[18:19], 0, 0
	v_pk_mov_b32 v[20:21], v[10:11], v[10:11] op_sel:[0,1]
	v_mov_b32_e32 v24, v2
	s_branch .LBB44_106
.LBB44_105:                             ;   in Loop: Header=BB44_106 Depth=2
	s_or_b64 exec, exec, s[12:13]
	v_add_u32_e32 v24, s22, v24
	v_cmp_le_i32_e32 vcc, s19, v24
	v_mov_b32_e32 v22, s61
	s_or_b64 s[10:11], vcc, s[10:11]
	v_add_co_u32_e32 v20, vcc, s60, v20
	v_addc_co_u32_e32 v21, vcc, v21, v22, vcc
	s_andn2_b64 exec, exec, s[10:11]
	s_cbranch_execz .LBB44_110
.LBB44_106:                             ;   Parent Loop BB44_44 Depth=1
                                        ; =>  This Loop Header: Depth=2
                                        ;       Child Loop BB44_108 Depth 3
	v_cmp_lt_i32_e32 vcc, 0, v24
	s_and_saveexec_b64 s[12:13], vcc
	s_cbranch_execz .LBB44_105
; %bb.107:                              ;   in Loop: Header=BB44_106 Depth=2
	s_mov_b32 s45, 0
	s_mov_b64 s[66:67], 0
	v_pk_mov_b32 v[22:23], v[20:21], v[20:21] op_sel:[0,1]
.LBB44_108:                             ;   Parent Loop BB44_44 Depth=1
                                        ;     Parent Loop BB44_106 Depth=2
                                        ; =>    This Inner Loop Header: Depth=3
	global_load_dwordx2 v[26:27], v[22:23], off
	v_mov_b32_e32 v25, s63
	v_add_co_u32_e32 v22, vcc, s62, v22
	s_add_i32 s45, s45, 1
	v_addc_co_u32_e32 v23, vcc, v23, v25, vcc
	v_cmp_ge_i32_e32 vcc, s45, v24
	s_or_b64 s[66:67], vcc, s[66:67]
	s_waitcnt vmcnt(0)
	v_mul_f64 v[26:27], v[26:27], v[26:27]
	v_fmac_f64_e32 v[18:19], 2.0, v[26:27]
	s_andn2_b64 exec, exec, s[66:67]
	s_cbranch_execnz .LBB44_108
; %bb.109:                              ;   in Loop: Header=BB44_106 Depth=2
	s_or_b64 exec, exec, s[66:67]
	s_branch .LBB44_105
.LBB44_110:                             ;   in Loop: Header=BB44_44 Depth=1
	s_or_b64 exec, exec, s[10:11]
.LBB44_111:                             ;   in Loop: Header=BB44_44 Depth=1
	s_or_b64 exec, exec, s[8:9]
	ds_write_b64 v1, v[18:19]
.LBB44_112:                             ;   in Loop: Header=BB44_44 Depth=1
	s_or_b64 exec, exec, s[6:7]
	s_andn2_b64 vcc, exec, s[20:21]
	s_waitcnt lgkmcnt(0)
	s_barrier
	s_cbranch_vccnz .LBB44_42
; %bb.113:                              ;   in Loop: Header=BB44_44 Depth=1
	s_mov_b32 s6, 0
	s_andn2_b64 vcc, exec, s[52:53]
	s_cbranch_vccnz .LBB44_117
; %bb.114:                              ;   in Loop: Header=BB44_44 Depth=1
	s_mov_b32 s7, 0
	v_pk_mov_b32 v[18:19], 0, 0
.LBB44_115:                             ;   Parent Loop BB44_44 Depth=1
                                        ; =>  This Inner Loop Header: Depth=2
	v_mov_b32_e32 v28, s7
	ds_read2_b64 v[20:23], v28 offset1:1
	ds_read2_b64 v[24:27], v28 offset0:2 offset1:3
	ds_read2_b64 v[38:41], v28 offset0:4 offset1:5
	ds_read2_b64 v[42:45], v28 offset0:6 offset1:7
	s_add_i32 s6, s6, 8
	s_waitcnt lgkmcnt(3)
	v_add_f64 v[18:19], v[18:19], v[20:21]
	v_add_f64 v[18:19], v[18:19], v[22:23]
	s_waitcnt lgkmcnt(2)
	v_add_f64 v[18:19], v[18:19], v[24:25]
	v_add_f64 v[18:19], v[18:19], v[26:27]
	;; [unrolled: 3-line block ×3, first 2 shown]
	s_add_i32 s7, s7, 64
	s_waitcnt lgkmcnt(0)
	v_add_f64 v[18:19], v[18:19], v[42:43]
	s_cmp_lg_u32 s83, s6
	v_add_f64 v[18:19], v[18:19], v[44:45]
	s_cbranch_scc1 .LBB44_115
; %bb.116:                              ;   in Loop: Header=BB44_44 Depth=1
	s_mov_b32 s6, s83
	s_andn2_b64 vcc, exec, s[54:55]
	s_cbranch_vccz .LBB44_118
	s_branch .LBB44_43
.LBB44_117:                             ;   in Loop: Header=BB44_44 Depth=1
	v_pk_mov_b32 v[18:19], 0, 0
	s_andn2_b64 vcc, exec, s[54:55]
	s_cbranch_vccnz .LBB44_43
.LBB44_118:                             ;   in Loop: Header=BB44_44 Depth=1
	s_lshl_b32 s6, s6, 3
	s_add_i32 s6, s6, 0
	s_mov_b32 s7, s82
.LBB44_119:                             ;   Parent Loop BB44_44 Depth=1
                                        ; =>  This Inner Loop Header: Depth=2
	v_mov_b32_e32 v20, s6
	ds_read_b64 v[20:21], v20
	s_add_i32 s6, s6, 8
	s_add_i32 s7, s7, -1
	s_cmp_lg_u32 s7, 0
	s_waitcnt lgkmcnt(0)
	v_add_f64 v[18:19], v[18:19], v[20:21]
	s_cbranch_scc1 .LBB44_119
	s_branch .LBB44_43
.LBB44_120:
	s_mul_i32 s2, s42, s29
	s_mul_hi_u32 s3, s42, s28
	s_add_i32 s2, s3, s2
	s_mul_i32 s3, s43, s28
	s_add_i32 s3, s2, s3
	s_mul_i32 s2, s42, s28
	s_and_saveexec_b64 s[4:5], s[0:1]
	s_cbranch_execz .LBB44_126
; %bb.121:
	v_cmp_eq_u32_e32 vcc, 0, v2
	s_and_saveexec_b64 s[6:7], vcc
	s_cbranch_execz .LBB44_123
; %bb.122:
	s_lshl_b64 s[8:9], s[42:43], 3
	s_add_u32 s8, s14, s8
	s_addc_u32 s9, s15, s9
	s_mov_b32 s14, 0
	s_brev_b32 s15, 8
	v_cmp_gt_f64_e32 vcc, s[14:15], v[18:19]
	v_cndmask_b32_e64 v0, 0, 1, vcc
	v_lshlrev_b32_e32 v0, 8, v0
	v_ldexp_f64 v[0:1], v[18:19], v0
	v_rsq_f64_e32 v[4:5], v[0:1]
	s_lshl_b64 s[10:11], s[42:43], 2
	s_add_u32 s12, s24, s10
	s_addc_u32 s13, s25, s11
	v_mul_f64 v[6:7], v[0:1], v[4:5]
	v_mul_f64 v[4:5], v[4:5], 0.5
	s_add_u32 s10, s30, s10
	v_fma_f64 v[8:9], -v[4:5], v[6:7], 0.5
	s_addc_u32 s11, s31, s11
	v_fmac_f64_e32 v[6:7], v[6:7], v[8:9]
	s_cmp_gt_i32 s37, s18
	v_fma_f64 v[10:11], -v[6:7], v[6:7], v[0:1]
	v_fmac_f64_e32 v[4:5], v[4:5], v[8:9]
	s_cselect_b64 s[14:15], -1, 0
	s_min_i32 s18, s37, s18
	v_fmac_f64_e32 v[6:7], v[10:11], v[4:5]
	v_cndmask_b32_e64 v12, 0, 1, s[14:15]
	v_fma_f64 v[8:9], -v[6:7], v[6:7], v[0:1]
	s_and_b64 s[14:15], vcc, exec
	v_fmac_f64_e32 v[6:7], v[8:9], v[4:5]
	s_cselect_b32 s14, 0xffffff80, 0
	v_ldexp_f64 v[4:5], v[6:7], s14
	v_mov_b32_e32 v6, 0x260
	v_cmp_class_f64_e32 vcc, v[0:1], v6
	v_mov_b32_e32 v3, 0
	v_cndmask_b32_e32 v1, v5, v1, vcc
	v_cndmask_b32_e32 v0, v4, v0, vcc
	global_store_dwordx2 v3, v[0:1], s[8:9]
	v_mov_b32_e32 v0, s18
	global_store_dword v3, v0, s[12:13]
	global_store_dword v3, v12, s[10:11]
.LBB44_123:
	s_or_b64 exec, exec, s[6:7]
	v_cmp_gt_i32_e32 vcc, s19, v2
	s_and_b64 exec, exec, vcc
	s_cbranch_execz .LBB44_126
; %bb.124:
	s_add_i32 s10, s19, 1
	s_lshl_b64 s[6:7], s[2:3], 3
	v_ashrrev_i32_e32 v3, 31, v2
	s_add_u32 s6, s26, s6
	v_lshlrev_b64 v[0:1], 3, v[2:3]
	s_addc_u32 s7, s27, s7
	v_mov_b32_e32 v3, s7
	v_add_co_u32_e32 v0, vcc, s6, v0
	s_ashr_i32 s39, s38, 31
	v_addc_co_u32_e32 v1, vcc, v3, v1, vcc
	s_ashr_i32 s37, s36, 31
	v_pk_mov_b32 v[4:5], s[38:39], s[38:39] op_sel:[0,1]
	v_cmp_lt_i64_e32 vcc, s[36:37], v[4:5]
	s_and_b64 s[6:7], vcc, exec
	s_cselect_b32 s7, s37, s39
	s_cselect_b32 s6, s36, s38
	s_lshl_b64 s[6:7], s[6:7], 3
	v_mad_u64_u32 v[4:5], s[8:9], v2, s19, v[2:3]
	s_mul_i32 s10, s22, s10
	s_mov_b64 s[8:9], 0
	v_mov_b32_e32 v3, s41
	v_mov_b32_e32 v6, s7
	;; [unrolled: 1-line block ×3, first 2 shown]
.LBB44_125:                             ; =>This Inner Loop Header: Depth=1
	v_ashrrev_i32_e32 v5, 31, v4
	v_lshlrev_b64 v[8:9], 3, v[4:5]
	v_add_co_u32_e32 v8, vcc, s40, v8
	v_addc_co_u32_e32 v9, vcc, v3, v9, vcc
	global_load_dwordx2 v[8:9], v[8:9], off
	v_add_u32_e32 v7, s22, v7
	v_cmp_le_i32_e32 vcc, s19, v7
	s_or_b64 s[8:9], vcc, s[8:9]
	v_add_u32_e32 v4, s10, v4
	s_waitcnt vmcnt(0)
	global_store_dwordx2 v[0:1], v[8:9], off
	v_add_co_u32_e32 v0, vcc, s6, v0
	v_addc_co_u32_e32 v1, vcc, v1, v6, vcc
	s_andn2_b64 exec, exec, s[8:9]
	s_cbranch_execnz .LBB44_125
.LBB44_126:
	s_or_b64 exec, exec, s[4:5]
	s_cmpk_eq_i32 s16, 0xfb
	s_cselect_b64 s[4:5], -1, 0
	s_cmp_lt_i32 s19, 2
	s_cselect_b64 s[6:7], -1, 0
	s_or_b64 s[4:5], s[4:5], s[6:7]
	s_and_b64 vcc, exec, s[4:5]
	s_barrier
	s_cbranch_vccnz .LBB44_137
; %bb.127:
	s_lshl_b64 s[2:3], s[2:3], 3
	s_add_u32 s18, s2, s26
	s_addc_u32 s24, s3, s27
	s_cmpk_lg_i32 s17, 0xd5
	s_cselect_b64 s[4:5], -1, 0
	v_cmp_gt_i32_e64 s[2:3], s19, v2
	s_and_b64 s[8:9], s[4:5], s[2:3]
	s_add_i32 s25, s19, -2
	s_add_u32 s10, s18, 8
	s_addc_u32 s11, s24, 0
	s_ashr_i32 s39, s38, 31
	s_ashr_i32 s37, s36, 31
	v_pk_mov_b32 v[0:1], s[38:39], s[38:39] op_sel:[0,1]
	v_cmp_lt_i64_e64 s[2:3], s[36:37], v[0:1]
	s_and_b64 s[2:3], s[2:3], exec
	s_mov_b32 s7, 0
	s_cselect_b32 s3, s37, s39
	s_cselect_b32 s2, s36, s38
	v_cmp_eq_u32_e32 vcc, 0, v2
	s_lshl_b64 s[12:13], s[2:3], 3
	v_mov_b32_e32 v3, 0
	v_mov_b32_e32 v0, v2
	s_mov_b32 s6, s7
	s_branch .LBB44_129
.LBB44_128:                             ;   in Loop: Header=BB44_129 Depth=1
	s_or_b64 exec, exec, s[14:15]
	s_add_u32 s10, s10, 8
	s_addc_u32 s11, s11, 0
	v_add_u32_e32 v0, s23, v0
	s_cmp_lg_u32 s6, s25
	s_mov_b32 s6, s26
	s_barrier
	s_cbranch_scc0 .LBB44_137
.LBB44_129:                             ; =>This Loop Header: Depth=1
                                        ;     Child Loop BB44_130 Depth 2
                                        ;     Child Loop BB44_136 Depth 2
	s_lshl_b64 s[2:3], s[6:7], 3
	s_add_u32 s16, s18, s2
	s_addc_u32 s17, s24, s3
	global_load_dwordx2 v[4:5], v3, s[16:17]
	s_add_i32 s26, s6, 1
	s_mov_b64 s[14:15], s[10:11]
	s_mov_b32 s4, s6
	s_mov_b32 s5, s26
.LBB44_130:                             ;   Parent Loop BB44_129 Depth=1
                                        ; =>  This Inner Loop Header: Depth=2
	global_load_dwordx2 v[6:7], v3, s[14:15]
	s_waitcnt vmcnt(0)
	v_cmp_lt_f64_e64 s[2:3], v[6:7], v[4:5]
	s_and_b64 s[20:21], s[2:3], exec
	s_cselect_b32 s4, s5, s4
	s_add_i32 s5, s5, 1
	s_add_u32 s14, s14, 8
	s_addc_u32 s15, s15, 0
	v_cndmask_b32_e64 v5, v5, v7, s[2:3]
	s_cmp_lt_i32 s5, s19
	v_cndmask_b32_e64 v4, v4, v6, s[2:3]
	s_cbranch_scc1 .LBB44_130
; %bb.131:                              ;   in Loop: Header=BB44_129 Depth=1
	s_cmp_lg_u32 s4, s6
	s_cselect_b64 s[2:3], -1, 0
	s_and_b64 s[2:3], s[0:1], s[2:3]
	s_barrier
	s_and_saveexec_b64 s[14:15], s[2:3]
	s_cbranch_execz .LBB44_128
; %bb.132:                              ;   in Loop: Header=BB44_129 Depth=1
	s_and_saveexec_b64 s[2:3], vcc
	s_cbranch_execz .LBB44_134
; %bb.133:                              ;   in Loop: Header=BB44_129 Depth=1
	global_load_dwordx2 v[6:7], v3, s[16:17]
	s_ashr_i32 s5, s4, 31
	s_lshl_b64 s[20:21], s[4:5], 3
	s_add_u32 s20, s18, s20
	s_addc_u32 s21, s24, s21
	s_waitcnt vmcnt(0)
	global_store_dwordx2 v3, v[6:7], s[20:21]
	global_store_dwordx2 v3, v[4:5], s[16:17]
.LBB44_134:                             ;   in Loop: Header=BB44_129 Depth=1
	s_or_b64 exec, exec, s[2:3]
	s_and_b64 exec, exec, s[8:9]
	s_cbranch_execz .LBB44_128
; %bb.135:                              ;   in Loop: Header=BB44_129 Depth=1
	s_mul_i32 s2, s4, s23
	v_add_u32_e32 v6, s2, v2
	v_ashrrev_i32_e32 v1, 31, v0
	v_ashrrev_i32_e32 v7, 31, v6
	v_lshlrev_b64 v[4:5], 3, v[0:1]
	v_lshlrev_b64 v[6:7], 3, v[6:7]
	s_mov_b64 s[16:17], 0
	s_mov_b64 s[20:21], s[34:35]
	v_mov_b32_e32 v1, v2
.LBB44_136:                             ;   Parent Loop BB44_129 Depth=1
                                        ; =>  This Inner Loop Header: Depth=2
	v_mov_b32_e32 v9, s21
	v_add_co_u32_e64 v8, s[2:3], s20, v4
	v_add_co_u32_e64 v10, s[4:5], s20, v6
	v_addc_co_u32_e64 v11, s[4:5], v9, v7, s[4:5]
	v_addc_co_u32_e64 v9, s[2:3], v9, v5, s[2:3]
	global_load_dwordx2 v[12:13], v[8:9], off
	global_load_dwordx2 v[14:15], v[10:11], off
	v_add_u32_e32 v1, s22, v1
	s_add_u32 s20, s20, s12
	s_addc_u32 s21, s21, s13
	v_cmp_le_i32_e64 s[2:3], s19, v1
	s_or_b64 s[16:17], s[2:3], s[16:17]
	s_waitcnt vmcnt(1)
	global_store_dwordx2 v[10:11], v[12:13], off
	s_waitcnt vmcnt(1)
	global_store_dwordx2 v[8:9], v[14:15], off
	s_andn2_b64 exec, exec, s[16:17]
	s_cbranch_execnz .LBB44_136
	s_branch .LBB44_128
.LBB44_137:
	s_endpgm
	.section	.rodata,"a",@progbits
	.p2align	6, 0x0
	.amdhsa_kernel _ZN9rocsolver6v33100L18syevj_small_kernelIddPdEEv14rocblas_esort_14rocblas_evect_13rocblas_fill_iT1_iilT0_S7_PS7_iPiS8_lS9_PT_
		.amdhsa_group_segment_fixed_size 0
		.amdhsa_private_segment_fixed_size 0
		.amdhsa_kernarg_size 112
		.amdhsa_user_sgpr_count 6
		.amdhsa_user_sgpr_private_segment_buffer 1
		.amdhsa_user_sgpr_dispatch_ptr 0
		.amdhsa_user_sgpr_queue_ptr 0
		.amdhsa_user_sgpr_kernarg_segment_ptr 1
		.amdhsa_user_sgpr_dispatch_id 0
		.amdhsa_user_sgpr_flat_scratch_init 0
		.amdhsa_user_sgpr_kernarg_preload_length 0
		.amdhsa_user_sgpr_kernarg_preload_offset 0
		.amdhsa_user_sgpr_private_segment_size 0
		.amdhsa_uses_dynamic_stack 0
		.amdhsa_system_sgpr_private_segment_wavefront_offset 0
		.amdhsa_system_sgpr_workgroup_id_x 1
		.amdhsa_system_sgpr_workgroup_id_y 0
		.amdhsa_system_sgpr_workgroup_id_z 1
		.amdhsa_system_sgpr_workgroup_info 0
		.amdhsa_system_vgpr_workitem_id 0
		.amdhsa_next_free_vgpr 49
		.amdhsa_next_free_sgpr 88
		.amdhsa_accum_offset 52
		.amdhsa_reserve_vcc 1
		.amdhsa_reserve_flat_scratch 0
		.amdhsa_float_round_mode_32 0
		.amdhsa_float_round_mode_16_64 0
		.amdhsa_float_denorm_mode_32 3
		.amdhsa_float_denorm_mode_16_64 3
		.amdhsa_dx10_clamp 1
		.amdhsa_ieee_mode 1
		.amdhsa_fp16_overflow 0
		.amdhsa_tg_split 0
		.amdhsa_exception_fp_ieee_invalid_op 0
		.amdhsa_exception_fp_denorm_src 0
		.amdhsa_exception_fp_ieee_div_zero 0
		.amdhsa_exception_fp_ieee_overflow 0
		.amdhsa_exception_fp_ieee_underflow 0
		.amdhsa_exception_fp_ieee_inexact 0
		.amdhsa_exception_int_div_zero 0
	.end_amdhsa_kernel
	.section	.text._ZN9rocsolver6v33100L18syevj_small_kernelIddPdEEv14rocblas_esort_14rocblas_evect_13rocblas_fill_iT1_iilT0_S7_PS7_iPiS8_lS9_PT_,"axG",@progbits,_ZN9rocsolver6v33100L18syevj_small_kernelIddPdEEv14rocblas_esort_14rocblas_evect_13rocblas_fill_iT1_iilT0_S7_PS7_iPiS8_lS9_PT_,comdat
.Lfunc_end44:
	.size	_ZN9rocsolver6v33100L18syevj_small_kernelIddPdEEv14rocblas_esort_14rocblas_evect_13rocblas_fill_iT1_iilT0_S7_PS7_iPiS8_lS9_PT_, .Lfunc_end44-_ZN9rocsolver6v33100L18syevj_small_kernelIddPdEEv14rocblas_esort_14rocblas_evect_13rocblas_fill_iT1_iilT0_S7_PS7_iPiS8_lS9_PT_
                                        ; -- End function
	.section	.AMDGPU.csdata,"",@progbits
; Kernel info:
; codeLenInByte = 6856
; NumSgprs: 92
; NumVgprs: 49
; NumAgprs: 0
; TotalNumVgprs: 49
; ScratchSize: 0
; MemoryBound: 0
; FloatMode: 240
; IeeeMode: 1
; LDSByteSize: 0 bytes/workgroup (compile time only)
; SGPRBlocks: 11
; VGPRBlocks: 6
; NumSGPRsForWavesPerEU: 92
; NumVGPRsForWavesPerEU: 49
; AccumOffset: 52
; Occupancy: 8
; WaveLimiterHint : 0
; COMPUTE_PGM_RSRC2:SCRATCH_EN: 0
; COMPUTE_PGM_RSRC2:USER_SGPR: 6
; COMPUTE_PGM_RSRC2:TRAP_HANDLER: 0
; COMPUTE_PGM_RSRC2:TGID_X_EN: 1
; COMPUTE_PGM_RSRC2:TGID_Y_EN: 0
; COMPUTE_PGM_RSRC2:TGID_Z_EN: 1
; COMPUTE_PGM_RSRC2:TIDIG_COMP_CNT: 0
; COMPUTE_PGM_RSRC3_GFX90A:ACCUM_OFFSET: 12
; COMPUTE_PGM_RSRC3_GFX90A:TG_SPLIT: 0
	.section	.text._ZN9rocsolver6v33100L10syevj_initIddPdEEv14rocblas_evect_13rocblas_fill_iiT1_iilT0_PS6_PT_S7_PiSA_SA_,"axG",@progbits,_ZN9rocsolver6v33100L10syevj_initIddPdEEv14rocblas_evect_13rocblas_fill_iiT1_iilT0_PS6_PT_S7_PiSA_SA_,comdat
	.globl	_ZN9rocsolver6v33100L10syevj_initIddPdEEv14rocblas_evect_13rocblas_fill_iiT1_iilT0_PS6_PT_S7_PiSA_SA_ ; -- Begin function _ZN9rocsolver6v33100L10syevj_initIddPdEEv14rocblas_evect_13rocblas_fill_iiT1_iilT0_PS6_PT_S7_PiSA_SA_
	.p2align	8
	.type	_ZN9rocsolver6v33100L10syevj_initIddPdEEv14rocblas_evect_13rocblas_fill_iiT1_iilT0_PS6_PT_S7_PiSA_SA_,@function
_ZN9rocsolver6v33100L10syevj_initIddPdEEv14rocblas_evect_13rocblas_fill_iiT1_iilT0_PS6_PT_S7_PiSA_SA_: ; @_ZN9rocsolver6v33100L10syevj_initIddPdEEv14rocblas_evect_13rocblas_fill_iiT1_iilT0_PS6_PT_S7_PiSA_SA_
; %bb.0:
	s_load_dword s0, s[4:5], 0x6c
	s_load_dwordx8 s[24:31], s[4:5], 0x0
	s_load_dwordx16 s[8:23], s[4:5], 0x20
	s_mov_b32 s6, s7
	s_ashr_i32 s7, s7, 31
	s_waitcnt lgkmcnt(0)
	s_and_b32 s33, s0, 0xffff
	s_ashr_i32 s1, s30, 31
	s_mul_i32 s2, s6, s9
	s_mul_hi_u32 s3, s6, s8
	s_add_i32 s2, s3, s2
	s_mul_i32 s3, s7, s8
	s_add_i32 s3, s2, s3
	s_mul_i32 s2, s6, s8
	s_lshl_b64 s[2:3], s[2:3], 3
	s_mov_b32 s0, s30
	s_add_u32 s4, s28, s2
	s_addc_u32 s5, s29, s3
	s_lshl_b64 s[40:41], s[0:1], 3
	s_mul_i32 s0, s6, s27
	s_add_u32 s30, s4, s40
	s_mul_i32 s0, s0, s27
	s_addc_u32 s47, s5, s41
	s_ashr_i32 s1, s0, 31
	s_lshl_b64 s[4:5], s[0:1], 3
	s_add_u32 s46, s14, s4
	s_addc_u32 s48, s15, s5
	s_cmpk_eq_i32 s25, 0x79
	v_cmp_gt_i32_e64 s[0:1], s27, v0
	s_cbranch_scc1 .LBB45_12
; %bb.1:
	v_pk_mov_b32 v[2:3], 0, 0
	s_mov_b64 s[8:9], 0
	v_pk_mov_b32 v[4:5], v[2:3], v[2:3] op_sel:[0,1]
	s_and_saveexec_b64 s[34:35], s[0:1]
	s_cbranch_execz .LBB45_14
; %bb.2:
	s_add_i32 s25, s27, 1
	s_cmpk_lg_i32 s24, 0xd5
	s_cselect_b64 s[42:43], -1, 0
	s_add_u32 s50, s14, s4
	s_addc_u32 s37, s15, s5
	s_ashr_i32 s39, s27, 31
	s_mov_b32 s38, s27
	s_lshl_b32 s52, s33, 3
	s_lshl_b64 s[38:39], s[38:39], 3
	s_add_u32 s2, s2, s40
	v_lshlrev_b32_e32 v2, 3, v0
	s_addc_u32 s3, s3, s41
	v_mov_b32_e32 v15, s37
	v_add_co_u32_e32 v8, vcc, s50, v2
	s_add_u32 s2, s28, s2
	v_addc_co_u32_e32 v9, vcc, 0, v15, vcc
	s_addc_u32 s3, s29, s3
	v_mov_b32_e32 v3, s3
	v_add_co_u32_e32 v10, vcc, s2, v2
	s_mov_b32 s36, 0
	v_addc_co_u32_e32 v11, vcc, 0, v3, vcc
	s_ashr_i32 s3, s31, 31
	s_mov_b32 s2, s31
	v_pk_mov_b32 v[2:3], 0, 0
	v_cndmask_b32_e64 v4, 0, 1, s[42:43]
	v_mul_lo_u32 v1, v0, s31
	s_mul_i32 s49, s31, s33
	v_mul_lo_u32 v6, v0, s27
	s_mul_i32 s51, s27, s33
	s_mov_b32 s53, s36
	s_lshl_b64 s[40:41], s[2:3], 3
	s_mov_b64 s[28:29], 0
	v_mov_b32_e32 v26, s47
	v_mov_b32_e32 v27, s48
	v_cmp_ne_u32_e64 s[2:3], 1, v4
	v_mov_b32_e32 v12, 0
	v_mov_b32_e32 v13, 0x3ff00000
	v_pk_mov_b32 v[4:5], v[2:3], v[2:3] op_sel:[0,1]
	v_mov_b32_e32 v14, v0
	s_branch .LBB45_5
.LBB45_3:                               ;   in Loop: Header=BB45_5 Depth=1
	s_or_b64 exec, exec, s[44:45]
.LBB45_4:                               ;   in Loop: Header=BB45_5 Depth=1
	s_or_b64 exec, exec, s[42:43]
	v_mov_b32_e32 v7, s53
	v_add_co_u32_e32 v8, vcc, s52, v8
	v_add_u32_e32 v14, s33, v14
	v_addc_co_u32_e32 v9, vcc, v9, v7, vcc
	v_cmp_le_i32_e32 vcc, s27, v14
	s_or_b64 s[28:29], vcc, s[28:29]
	v_add_co_u32_e32 v10, vcc, s52, v10
	v_fmac_f64_e32 v[2:3], v[16:17], v[16:17]
	v_add_u32_e32 v1, s49, v1
	v_add_u32_e32 v6, s51, v6
	v_addc_co_u32_e32 v11, vcc, v11, v7, vcc
	s_andn2_b64 exec, exec, s[28:29]
	s_cbranch_execz .LBB45_13
.LBB45_5:                               ; =>This Loop Header: Depth=1
                                        ;     Child Loop BB45_10 Depth 2
	v_mad_u64_u32 v[16:17], s[42:43], v14, s31, v[14:15]
	v_ashrrev_i32_e32 v17, 31, v16
	v_lshlrev_b64 v[16:17], 3, v[16:17]
	v_add_co_u32_e32 v18, vcc, s30, v16
	v_addc_co_u32_e32 v19, vcc, v26, v17, vcc
	global_load_dwordx2 v[16:17], v[18:19], off
	v_mul_lo_u32 v20, v14, s25
	v_ashrrev_i32_e32 v21, 31, v20
	v_lshlrev_b64 v[20:21], 3, v[20:21]
	v_add_co_u32_e32 v20, vcc, s46, v20
	v_addc_co_u32_e32 v21, vcc, v27, v21, vcc
	s_and_b64 vcc, exec, s[2:3]
	s_waitcnt vmcnt(0)
	global_store_dwordx2 v[20:21], v[16:17], off
	s_cbranch_vccnz .LBB45_7
; %bb.6:                                ;   in Loop: Header=BB45_5 Depth=1
	global_store_dwordx2 v[18:19], v[12:13], off
.LBB45_7:                               ;   in Loop: Header=BB45_5 Depth=1
	v_cmp_ne_u32_e32 vcc, 0, v14
	s_and_saveexec_b64 s[42:43], vcc
	s_cbranch_execz .LBB45_4
; %bb.8:                                ;   in Loop: Header=BB45_5 Depth=1
	v_ashrrev_i32_e32 v7, 31, v6
	v_lshlrev_b64 v[18:19], 3, v[6:7]
	v_add_co_u32_e32 v18, vcc, s50, v18
	v_addc_co_u32_e32 v19, vcc, v15, v19, vcc
	s_mov_b32 s54, 0
	s_mov_b64 s[44:45], 0
	v_pk_mov_b32 v[20:21], v[10:11], v[10:11] op_sel:[0,1]
	v_pk_mov_b32 v[22:23], v[8:9], v[8:9] op_sel:[0,1]
	s_branch .LBB45_10
.LBB45_9:                               ;   in Loop: Header=BB45_10 Depth=2
	v_add_co_u32_e32 v18, vcc, 8, v18
	v_addc_co_u32_e32 v19, vcc, 0, v19, vcc
	v_mov_b32_e32 v7, s39
	v_add_co_u32_e32 v22, vcc, s38, v22
	s_add_i32 s54, s54, 1
	v_addc_co_u32_e32 v23, vcc, v23, v7, vcc
	v_cmp_ge_u32_e32 vcc, s54, v14
	v_mul_f64 v[24:25], v[24:25], v[24:25]
	v_mov_b32_e32 v7, s41
	s_or_b64 s[44:45], vcc, s[44:45]
	v_add_co_u32_e32 v20, vcc, s40, v20
	v_fmac_f64_e32 v[4:5], 2.0, v[24:25]
	v_addc_co_u32_e32 v21, vcc, v21, v7, vcc
	s_andn2_b64 exec, exec, s[44:45]
	s_cbranch_execz .LBB45_3
.LBB45_10:                              ;   Parent Loop BB45_5 Depth=1
                                        ; =>  This Inner Loop Header: Depth=2
	global_load_dwordx2 v[24:25], v[20:21], off
	s_and_b64 vcc, exec, s[2:3]
	s_waitcnt vmcnt(0)
	global_store_dwordx2 v[22:23], v[24:25], off
	global_store_dwordx2 v[18:19], v[24:25], off
	s_cbranch_vccnz .LBB45_9
; %bb.11:                               ;   in Loop: Header=BB45_10 Depth=2
	v_add_u32_e32 v28, s54, v1
	v_ashrrev_i32_e32 v29, 31, v28
	v_lshlrev_b64 v[28:29], 3, v[28:29]
	s_mov_b32 s37, s36
	v_add_co_u32_e32 v28, vcc, s30, v28
	v_pk_mov_b32 v[30:31], s[36:37], s[36:37] op_sel:[0,1]
	v_addc_co_u32_e32 v29, vcc, v26, v29, vcc
	global_store_dwordx2 v[20:21], v[30:31], off
	global_store_dwordx2 v[28:29], v[30:31], off
	s_branch .LBB45_9
.LBB45_12:
                                        ; implicit-def: $vgpr2_vgpr3
                                        ; implicit-def: $vgpr4_vgpr5
	s_branch .LBB45_15
.LBB45_13:
	s_or_b64 exec, exec, s[28:29]
.LBB45_14:
	s_or_b64 exec, exec, s[34:35]
	s_andn2_b64 vcc, exec, s[8:9]
	s_cbranch_vccnz .LBB45_28
.LBB45_15:
	v_pk_mov_b32 v[2:3], 0, 0
	v_pk_mov_b32 v[4:5], v[2:3], v[2:3] op_sel:[0,1]
	s_and_saveexec_b64 s[8:9], s[0:1]
	s_cbranch_execz .LBB45_27
; %bb.16:
	s_add_i32 s34, s27, 1
	s_cmpk_lg_i32 s24, 0xd5
	s_cselect_b64 s[0:1], -1, 0
	s_add_i32 s35, s27, -1
	s_mul_i32 s2, s31, s35
	v_mul_lo_u32 v2, s27, v0
	v_add_u32_e32 v1, s2, v0
	s_mul_i32 s2, s27, s35
	s_add_u32 s36, s14, s4
	v_add_u32_e32 v6, s35, v2
	v_pk_mov_b32 v[2:3], 0, 0
	v_cndmask_b32_e64 v4, 0, 1, s[0:1]
	v_add_u32_e32 v11, s2, v0
	s_addc_u32 s37, s15, s5
	s_mul_i32 s38, s27, s33
	v_mul_lo_u32 v24, v0, s31
	s_mul_i32 s39, s31, s33
	s_mov_b64 s[4:5], 0
	v_mov_b32_e32 v25, s47
	v_mov_b32_e32 v26, s48
	v_cmp_ne_u32_e64 s[0:1], 1, v4
	s_mov_b32 s14, 0
	v_mov_b32_e32 v8, 0
	v_mov_b32_e32 v9, 0x3ff00000
	v_pk_mov_b32 v[4:5], v[2:3], v[2:3] op_sel:[0,1]
	v_mov_b32_e32 v10, v0
	s_branch .LBB45_19
.LBB45_17:                              ;   in Loop: Header=BB45_19 Depth=1
	s_or_b64 exec, exec, s[28:29]
.LBB45_18:                              ;   in Loop: Header=BB45_19 Depth=1
	s_or_b64 exec, exec, s[24:25]
	v_add_u32_e32 v10, s33, v10
	v_cmp_le_i32_e32 vcc, s27, v10
	v_fmac_f64_e32 v[2:3], v[12:13], v[12:13]
	v_add_u32_e32 v1, s33, v1
	v_add_u32_e32 v11, s33, v11
	;; [unrolled: 1-line block ×3, first 2 shown]
	s_or_b64 s[4:5], vcc, s[4:5]
	v_add_u32_e32 v24, s39, v24
	s_andn2_b64 exec, exec, s[4:5]
	s_cbranch_execz .LBB45_26
.LBB45_19:                              ; =>This Loop Header: Depth=1
                                        ;     Child Loop BB45_24 Depth 2
	v_mad_u64_u32 v[12:13], s[2:3], v10, s31, v[10:11]
	v_ashrrev_i32_e32 v13, 31, v12
	v_lshlrev_b64 v[12:13], 3, v[12:13]
	v_add_co_u32_e32 v14, vcc, s30, v12
	v_addc_co_u32_e32 v15, vcc, v25, v13, vcc
	global_load_dwordx2 v[12:13], v[14:15], off
	v_mul_lo_u32 v16, v10, s34
	v_ashrrev_i32_e32 v17, 31, v16
	v_lshlrev_b64 v[16:17], 3, v[16:17]
	v_add_co_u32_e32 v16, vcc, s46, v16
	v_addc_co_u32_e32 v17, vcc, v26, v17, vcc
	s_and_b64 vcc, exec, s[0:1]
	s_waitcnt vmcnt(0)
	global_store_dwordx2 v[16:17], v[12:13], off
	s_cbranch_vccnz .LBB45_21
; %bb.20:                               ;   in Loop: Header=BB45_19 Depth=1
	global_store_dwordx2 v[14:15], v[8:9], off
.LBB45_21:                              ;   in Loop: Header=BB45_19 Depth=1
	v_cmp_gt_i32_e32 vcc, s35, v10
	s_and_saveexec_b64 s[24:25], vcc
	s_cbranch_execz .LBB45_18
; %bb.22:                               ;   in Loop: Header=BB45_19 Depth=1
	v_ashrrev_i32_e32 v7, 31, v6
	v_lshlrev_b64 v[14:15], 3, v[6:7]
	v_mov_b32_e32 v7, s37
	v_add_co_u32_e32 v14, vcc, s36, v14
	v_addc_co_u32_e32 v15, vcc, v7, v15, vcc
	s_mov_b64 s[28:29], 0
	v_mov_b32_e32 v16, v11
	v_mov_b32_e32 v18, v1
	s_mov_b32 s40, s35
	s_branch .LBB45_24
.LBB45_23:                              ;   in Loop: Header=BB45_24 Depth=2
	s_add_i32 s40, s40, -1
	v_cmp_le_i32_e32 vcc, s40, v10
	v_mul_f64 v[20:21], v[22:23], v[22:23]
	s_or_b64 s[28:29], vcc, s[28:29]
	v_add_co_u32_e32 v14, vcc, -8, v14
	v_fmac_f64_e32 v[4:5], 2.0, v[20:21]
	v_subrev_u32_e32 v18, s31, v18
	v_subrev_u32_e32 v16, s27, v16
	v_addc_co_u32_e32 v15, vcc, -1, v15, vcc
	s_andn2_b64 exec, exec, s[28:29]
	s_cbranch_execz .LBB45_17
.LBB45_24:                              ;   Parent Loop BB45_19 Depth=1
                                        ; =>  This Inner Loop Header: Depth=2
	v_ashrrev_i32_e32 v19, 31, v18
	v_lshlrev_b64 v[20:21], 3, v[18:19]
	v_add_co_u32_e32 v20, vcc, s30, v20
	v_addc_co_u32_e32 v21, vcc, v25, v21, vcc
	global_load_dwordx2 v[22:23], v[20:21], off
	v_ashrrev_i32_e32 v17, 31, v16
	v_lshlrev_b64 v[28:29], 3, v[16:17]
	v_add_co_u32_e64 v28, s[2:3], s46, v28
	s_and_b64 vcc, exec, s[0:1]
	v_addc_co_u32_e64 v29, s[2:3], v26, v29, s[2:3]
	s_waitcnt vmcnt(0)
	global_store_dwordx2 v[28:29], v[22:23], off
	global_store_dwordx2 v[14:15], v[22:23], off
	s_cbranch_vccnz .LBB45_23
; %bb.25:                               ;   in Loop: Header=BB45_24 Depth=2
	v_add_u32_e32 v28, s40, v24
	v_ashrrev_i32_e32 v29, 31, v28
	v_lshlrev_b64 v[28:29], 3, v[28:29]
	s_mov_b32 s15, s14
	v_add_co_u32_e32 v28, vcc, s30, v28
	v_pk_mov_b32 v[30:31], s[14:15], s[14:15] op_sel:[0,1]
	v_addc_co_u32_e32 v29, vcc, v25, v29, vcc
	global_store_dwordx2 v[20:21], v[30:31], off
	global_store_dwordx2 v[28:29], v[30:31], off
	s_branch .LBB45_23
.LBB45_26:
	s_or_b64 exec, exec, s[4:5]
.LBB45_27:
	s_or_b64 exec, exec, s[8:9]
.LBB45_28:
	s_lshl_b32 s2, s33, 3
	s_add_i32 s0, s2, 0
	v_lshlrev_b32_e32 v1, 3, v0
	v_add_u32_e32 v6, 0, v1
	v_add_u32_e32 v1, s0, v1
	v_cmp_eq_u32_e32 vcc, 0, v0
	ds_write_b64 v6, v[4:5]
	ds_write_b64 v1, v[2:3]
	s_waitcnt lgkmcnt(0)
	s_barrier
	s_and_saveexec_b64 s[0:1], vcc
	s_cbranch_execz .LBB45_40
; %bb.29:
	s_min_i32 s4, s33, s27
	s_cmp_lt_i32 s4, 2
	s_cbranch_scc1 .LBB45_37
; %bb.30:
	s_add_i32 s3, s4, -1
	s_add_i32 s4, s4, -2
	s_cmp_lt_u32 s4, 7
	s_cbranch_scc1 .LBB45_34
; %bb.31:
	s_and_b32 s4, s3, -8
	s_mov_b32 s8, 0
	s_add_i32 s5, 0, 8
.LBB45_32:                              ; =>This Inner Loop Header: Depth=1
	s_add_i32 s14, s5, s2
	v_mov_b32_e32 v1, s5
	v_mov_b32_e32 v34, s14
	ds_read2_b64 v[6:9], v1 offset1:1
	ds_read2_b64 v[10:13], v1 offset0:2 offset1:3
	ds_read2_b64 v[14:17], v1 offset0:4 offset1:5
	;; [unrolled: 1-line block ×3, first 2 shown]
	ds_read2_b64 v[22:25], v34 offset1:1
	ds_read2_b64 v[26:29], v34 offset0:2 offset1:3
	ds_read2_b64 v[30:33], v34 offset0:4 offset1:5
	;; [unrolled: 1-line block ×3, first 2 shown]
	s_waitcnt lgkmcnt(7)
	v_add_f64 v[4:5], v[4:5], v[6:7]
	s_waitcnt lgkmcnt(3)
	v_add_f64 v[2:3], v[2:3], v[22:23]
	v_add_f64 v[4:5], v[4:5], v[8:9]
	v_add_f64 v[2:3], v[2:3], v[24:25]
	v_add_f64 v[4:5], v[4:5], v[10:11]
	s_waitcnt lgkmcnt(2)
	v_add_f64 v[2:3], v[2:3], v[26:27]
	v_add_f64 v[4:5], v[4:5], v[12:13]
	v_add_f64 v[2:3], v[2:3], v[28:29]
	;; [unrolled: 5-line block ×3, first 2 shown]
	s_mov_b32 s9, s8
	s_add_i32 s5, s5, 64
	s_add_i32 s8, s8, 8
	v_add_f64 v[4:5], v[4:5], v[18:19]
	s_waitcnt lgkmcnt(0)
	v_add_f64 v[2:3], v[2:3], v[34:35]
	s_cmp_lg_u32 s4, s8
	v_add_f64 v[4:5], v[4:5], v[20:21]
	v_add_f64 v[2:3], v[2:3], v[36:37]
	s_cbranch_scc1 .LBB45_32
; %bb.33:
	s_add_i32 s4, s9, 9
	s_and_b32 s3, s3, 7
	s_cmp_eq_u32 s3, 0
	s_cbranch_scc0 .LBB45_35
	s_branch .LBB45_37
.LBB45_34:
	s_mov_b32 s4, 1
	s_and_b32 s3, s3, 7
	s_cmp_eq_u32 s3, 0
	s_cbranch_scc1 .LBB45_37
.LBB45_35:
	s_lshl_b32 s4, s4, 3
	s_add_i32 s4, s4, 0
.LBB45_36:                              ; =>This Inner Loop Header: Depth=1
	s_add_i32 s5, s4, s2
	v_mov_b32_e32 v1, s4
	v_mov_b32_e32 v8, s5
	ds_read_b64 v[6:7], v1
	ds_read_b64 v[8:9], v8
	s_add_i32 s4, s4, 8
	s_add_i32 s3, s3, -1
	s_cmp_lg_u32 s3, 0
	s_waitcnt lgkmcnt(1)
	v_add_f64 v[4:5], v[4:5], v[6:7]
	s_waitcnt lgkmcnt(0)
	v_add_f64 v[2:3], v[2:3], v[8:9]
	s_cbranch_scc1 .LBB45_36
.LBB45_37:
	s_lshl_b64 s[2:3], s[6:7], 3
	s_add_u32 s4, s16, s2
	v_add_f64 v[2:3], v[4:5], v[2:3]
	s_addc_u32 s5, s17, s3
	v_mul_f64 v[2:3], v[2:3], s[10:11]
	s_add_u32 s2, s12, s2
	v_mul_f64 v[2:3], v[2:3], s[10:11]
	v_mov_b32_e32 v1, 0
	s_addc_u32 s3, s13, s3
	global_store_dwordx2 v1, v[2:3], s[4:5]
	global_store_dwordx2 v1, v[4:5], s[2:3]
	global_load_dwordx2 v[2:3], v1, s[4:5]
	s_waitcnt vmcnt(0)
	v_cmp_lt_f64_e32 vcc, v[4:5], v[2:3]
	s_and_b64 exec, exec, vcc
	s_cbranch_execz .LBB45_40
; %bb.38:
	s_lshl_b64 s[4:5], s[6:7], 2
	s_add_u32 s4, s22, s4
	s_mov_b64 s[2:3], exec
	s_addc_u32 s5, s23, s5
	v_mov_b32_e32 v2, 1
	global_store_dword v1, v2, s[4:5] offset:4
	v_mbcnt_lo_u32_b32 v1, s2, 0
	v_mbcnt_hi_u32_b32 v1, s3, v1
	v_cmp_eq_u32_e32 vcc, 0, v1
	s_and_b64 s[4:5], exec, vcc
	s_mov_b64 exec, s[4:5]
	s_cbranch_execz .LBB45_40
; %bb.39:
	s_bcnt1_i32_b64 s2, s[2:3]
	v_mov_b32_e32 v1, 0
	v_mov_b32_e32 v2, s2
	global_atomic_add v1, v2, s[22:23]
.LBB45_40:
	s_or_b64 exec, exec, s[0:1]
	s_cmp_eq_u32 s6, 0
	s_cselect_b64 s[2:3], -1, 0
	s_cmp_lg_u64 s[18:19], 0
	s_cselect_b64 s[6:7], -1, 0
	s_cmp_lg_u64 s[20:21], 0
	s_cselect_b64 s[8:9], -1, 0
	s_and_b64 s[6:7], s[6:7], s[8:9]
	s_and_b64 s[2:3], s[6:7], s[2:3]
	v_cmp_gt_i32_e32 vcc, s26, v0
	s_mov_b32 s4, 0
	s_mov_b64 s[0:1], 0
	s_and_b64 s[2:3], s[2:3], vcc
	s_and_saveexec_b64 s[6:7], s[2:3]
	s_cbranch_execz .LBB45_43
; %bb.41:
	v_lshlrev_b32_e32 v3, 1, v0
	s_lshl_b32 s2, s33, 1
	v_lshlrev_b32_e32 v2, 2, v0
	v_mov_b32_e32 v1, 0
	s_lshl_b32 s3, s33, 2
	v_mov_b32_e32 v4, s19
	v_mov_b32_e32 v5, s21
	v_mov_b32_e32 v6, s4
.LBB45_42:                              ; =>This Inner Loop Header: Depth=1
	v_add_co_u32_e32 v8, vcc, s18, v2
	v_addc_co_u32_e32 v9, vcc, v4, v1, vcc
	v_add_co_u32_e32 v10, vcc, s20, v2
	v_addc_co_u32_e32 v11, vcc, v5, v1, vcc
	v_add_co_u32_e32 v2, vcc, s3, v2
	v_add_u32_e32 v0, s33, v0
	v_addc_co_u32_e32 v1, vcc, v1, v6, vcc
	v_cmp_le_i32_e32 vcc, s26, v0
	v_add_u32_e32 v7, 1, v3
	global_store_dword v[8:9], v3, off
	global_store_dword v[10:11], v7, off
	s_or_b64 s[0:1], vcc, s[0:1]
	v_add_u32_e32 v3, s2, v3
	s_andn2_b64 exec, exec, s[0:1]
	s_cbranch_execnz .LBB45_42
.LBB45_43:
	s_endpgm
	.section	.rodata,"a",@progbits
	.p2align	6, 0x0
	.amdhsa_kernel _ZN9rocsolver6v33100L10syevj_initIddPdEEv14rocblas_evect_13rocblas_fill_iiT1_iilT0_PS6_PT_S7_PiSA_SA_
		.amdhsa_group_segment_fixed_size 0
		.amdhsa_private_segment_fixed_size 0
		.amdhsa_kernarg_size 352
		.amdhsa_user_sgpr_count 6
		.amdhsa_user_sgpr_private_segment_buffer 1
		.amdhsa_user_sgpr_dispatch_ptr 0
		.amdhsa_user_sgpr_queue_ptr 0
		.amdhsa_user_sgpr_kernarg_segment_ptr 1
		.amdhsa_user_sgpr_dispatch_id 0
		.amdhsa_user_sgpr_flat_scratch_init 0
		.amdhsa_user_sgpr_kernarg_preload_length 0
		.amdhsa_user_sgpr_kernarg_preload_offset 0
		.amdhsa_user_sgpr_private_segment_size 0
		.amdhsa_uses_dynamic_stack 0
		.amdhsa_system_sgpr_private_segment_wavefront_offset 0
		.amdhsa_system_sgpr_workgroup_id_x 1
		.amdhsa_system_sgpr_workgroup_id_y 1
		.amdhsa_system_sgpr_workgroup_id_z 0
		.amdhsa_system_sgpr_workgroup_info 0
		.amdhsa_system_vgpr_workitem_id 0
		.amdhsa_next_free_vgpr 38
		.amdhsa_next_free_sgpr 55
		.amdhsa_accum_offset 40
		.amdhsa_reserve_vcc 1
		.amdhsa_reserve_flat_scratch 0
		.amdhsa_float_round_mode_32 0
		.amdhsa_float_round_mode_16_64 0
		.amdhsa_float_denorm_mode_32 3
		.amdhsa_float_denorm_mode_16_64 3
		.amdhsa_dx10_clamp 1
		.amdhsa_ieee_mode 1
		.amdhsa_fp16_overflow 0
		.amdhsa_tg_split 0
		.amdhsa_exception_fp_ieee_invalid_op 0
		.amdhsa_exception_fp_denorm_src 0
		.amdhsa_exception_fp_ieee_div_zero 0
		.amdhsa_exception_fp_ieee_overflow 0
		.amdhsa_exception_fp_ieee_underflow 0
		.amdhsa_exception_fp_ieee_inexact 0
		.amdhsa_exception_int_div_zero 0
	.end_amdhsa_kernel
	.section	.text._ZN9rocsolver6v33100L10syevj_initIddPdEEv14rocblas_evect_13rocblas_fill_iiT1_iilT0_PS6_PT_S7_PiSA_SA_,"axG",@progbits,_ZN9rocsolver6v33100L10syevj_initIddPdEEv14rocblas_evect_13rocblas_fill_iiT1_iilT0_PS6_PT_S7_PiSA_SA_,comdat
.Lfunc_end45:
	.size	_ZN9rocsolver6v33100L10syevj_initIddPdEEv14rocblas_evect_13rocblas_fill_iiT1_iilT0_PS6_PT_S7_PiSA_SA_, .Lfunc_end45-_ZN9rocsolver6v33100L10syevj_initIddPdEEv14rocblas_evect_13rocblas_fill_iiT1_iilT0_PS6_PT_S7_PiSA_SA_
                                        ; -- End function
	.section	.AMDGPU.csdata,"",@progbits
; Kernel info:
; codeLenInByte = 2080
; NumSgprs: 59
; NumVgprs: 38
; NumAgprs: 0
; TotalNumVgprs: 38
; ScratchSize: 0
; MemoryBound: 0
; FloatMode: 240
; IeeeMode: 1
; LDSByteSize: 0 bytes/workgroup (compile time only)
; SGPRBlocks: 7
; VGPRBlocks: 4
; NumSGPRsForWavesPerEU: 59
; NumVGPRsForWavesPerEU: 38
; AccumOffset: 40
; Occupancy: 8
; WaveLimiterHint : 0
; COMPUTE_PGM_RSRC2:SCRATCH_EN: 0
; COMPUTE_PGM_RSRC2:USER_SGPR: 6
; COMPUTE_PGM_RSRC2:TRAP_HANDLER: 0
; COMPUTE_PGM_RSRC2:TGID_X_EN: 1
; COMPUTE_PGM_RSRC2:TGID_Y_EN: 1
; COMPUTE_PGM_RSRC2:TGID_Z_EN: 0
; COMPUTE_PGM_RSRC2:TIDIG_COMP_CNT: 0
; COMPUTE_PGM_RSRC3_GFX90A:ACCUM_OFFSET: 9
; COMPUTE_PGM_RSRC3_GFX90A:TG_SPLIT: 0
	.section	.text._ZN9rocsolver6v33100L17syevj_diag_kernelIddPdEEviT1_iilT0_PT_Pi,"axG",@progbits,_ZN9rocsolver6v33100L17syevj_diag_kernelIddPdEEviT1_iilT0_PT_Pi,comdat
	.globl	_ZN9rocsolver6v33100L17syevj_diag_kernelIddPdEEviT1_iilT0_PT_Pi ; -- Begin function _ZN9rocsolver6v33100L17syevj_diag_kernelIddPdEEviT1_iilT0_PT_Pi
	.p2align	8
	.type	_ZN9rocsolver6v33100L17syevj_diag_kernelIddPdEEviT1_iilT0_PT_Pi,@function
_ZN9rocsolver6v33100L17syevj_diag_kernelIddPdEEviT1_iilT0_PT_Pi: ; @_ZN9rocsolver6v33100L17syevj_diag_kernelIddPdEEviT1_iilT0_PT_Pi
; %bb.0:
	s_load_dwordx8 s[8:15], s[4:5], 0x18
	s_mov_b32 s2, s7
	s_ashr_i32 s3, s7, 31
	s_lshl_b64 s[0:1], s[2:3], 2
	s_waitcnt lgkmcnt(0)
	s_add_u32 s0, s14, s0
	s_addc_u32 s1, s15, s1
	s_load_dword s0, s[0:1], 0x4
	s_waitcnt lgkmcnt(0)
	s_cmp_lg_u32 s0, 0
	s_cbranch_scc1 .LBB46_46
; %bb.1:
	s_load_dword s30, s[4:5], 0x0
	s_load_dword s7, s[4:5], 0x44
	s_add_u32 s0, s4, 56
	s_addc_u32 s1, s5, 0
	v_and_b32_e32 v1, 0x3ff, v0
	s_waitcnt lgkmcnt(0)
	s_add_i32 s14, s30, -1
	s_and_b32 s7, s7, 0xffff
	s_lshr_b32 s15, s14, 31
	s_lshl_b32 s7, s7, 1
	s_add_i32 s14, s14, s15
	s_mul_i32 s31, s7, s6
	s_and_b32 s14, s14, -2
	s_sub_i32 s14, s14, s31
	s_add_i32 s14, s14, 2
	v_bfe_u32 v4, v0, 10, 10
	s_min_i32 s20, s7, s14
	s_ashr_i32 s21, s20, 1
	v_max_i32_e32 v0, v1, v4
	v_cmp_gt_i32_e32 vcc, s21, v0
	s_and_saveexec_b64 s[14:15], vcc
	s_cbranch_execz .LBB46_46
; %bb.2:
	s_cmp_eq_u64 s[12:13], 0
	s_mov_b64 s[16:17], 0
	s_cbranch_scc1 .LBB46_4
; %bb.3:
	s_load_dword s0, s[0:1], 0x0
	s_waitcnt lgkmcnt(0)
	s_mul_i32 s0, s0, s2
	s_add_i32 s0, s0, s6
	s_mul_i32 s0, s7, s0
	s_mul_i32 s0, s0, s7
	s_ashr_i32 s1, s0, 31
	s_lshl_b64 s[0:1], s[0:1], 3
	s_add_u32 s16, s12, s0
	s_addc_u32 s17, s13, s1
.LBB46_4:
	v_lshlrev_b32_e32 v6, 1, v4
	s_cmp_lg_u64 s[16:17], 0
	v_lshlrev_b32_e32 v0, 1, v1
	s_cselect_b64 s[18:19], -1, 0
	s_cmp_eq_u64 s[16:17], 0
	v_mul_u32_u24_e32 v3, s7, v6
	v_mad_u32_u24 v7, s7, v6, s7
	s_cbranch_scc1 .LBB46_6
; %bb.5:
	v_mov_b32_e32 v2, 0x3ff00000
	v_cmp_eq_u32_e32 vcc, v0, v6
	v_mov_b32_e32 v8, 0
	v_cndmask_b32_e32 v9, 0, v2, vcc
	v_add_lshl_u32 v2, v3, v0, 3
	v_mov_b32_e32 v5, s17
	v_add_co_u32_e32 v10, vcc, s16, v2
	v_add_u32_e32 v12, v7, v0
	v_mov_b32_e32 v13, v8
	s_mov_b32 s0, 0
	v_addc_co_u32_e32 v11, vcc, 0, v5, vcc
	v_lshlrev_b64 v[12:13], 3, v[12:13]
	v_add_co_u32_e32 v12, vcc, s16, v12
	s_mov_b32 s1, s0
	v_addc_co_u32_e32 v13, vcc, v5, v13, vcc
	v_pk_mov_b32 v[14:15], s[0:1], s[0:1] op_sel:[0,1]
	flat_store_dwordx2 v[10:11], v[8:9]
	flat_store_dwordx2 v[12:13], v[14:15]
	flat_store_dwordx2 v[10:11], v[14:15] offset:8
	v_add_co_u32_e32 v10, vcc, v7, v0
	v_addc_co_u32_e64 v11, s[0:1], 0, 0, vcc
	v_lshlrev_b64 v[10:11], 3, v[10:11]
	v_add_co_u32_e32 v10, vcc, s16, v10
	v_addc_co_u32_e32 v11, vcc, v5, v11, vcc
	flat_store_dwordx2 v[10:11], v[8:9] offset:8
.LBB46_6:
	s_lshl_b32 s0, s21, 3
	s_add_i32 s23, s0, 0
	s_add_i32 s22, s23, s0
	s_lshl_b32 s0, s21, 2
	v_add_u32_e32 v0, s31, v0
	s_add_i32 s33, s22, s0
	v_or_b32_e32 v2, 1, v0
	v_cmp_eq_u32_e64 s[0:1], 0, v4
	v_lshlrev_b32_e32 v8, 2, v1
	s_and_saveexec_b64 s[6:7], s[0:1]
	s_cbranch_execz .LBB46_8
; %bb.7:
	v_add_u32_e32 v5, s22, v8
	v_add_u32_e32 v4, s33, v8
	ds_write_b32 v5, v0
	ds_write_b32 v4, v2
.LBB46_8:
	s_or_b64 exec, exec, s[6:7]
	s_cmp_lt_i32 s20, 2
	s_cbranch_scc1 .LBB46_46
; %bb.9:
	s_mov_b32 s6, 0
	s_mov_b32 s7, 0x100000
	v_pk_mov_b32 v[4:5], s[6:7], s[6:7] op_sel:[0,1]
	v_div_scale_f64 v[10:11], s[12:13], s[10:11], s[10:11], v[4:5]
	v_rcp_f64_e32 v[12:13], v[10:11]
	s_load_dwordx4 s[12:15], s[4:5], 0x8
	v_pk_mov_b32 v[14:15], s[10:11], s[10:11] op_sel:[0,1]
	v_div_scale_f64 v[14:15], vcc, s[6:7], v[14:15], s[6:7]
	s_mul_i32 s6, s2, s9
	s_mul_hi_u32 s7, s2, s8
	v_fma_f64 v[16:17], -v[10:11], v[12:13], 1.0
	s_add_i32 s6, s7, s6
	s_mul_i32 s3, s3, s8
	v_fmac_f64_e32 v[12:13], v[12:13], v[16:17]
	s_add_i32 s3, s6, s3
	s_mul_i32 s2, s2, s8
	v_fma_f64 v[16:17], -v[10:11], v[12:13], 1.0
	s_waitcnt lgkmcnt(0)
	s_ashr_i32 s5, s14, 31
	s_lshl_b64 s[2:3], s[2:3], 3
	v_fmac_f64_e32 v[12:13], v[12:13], v[16:17]
	s_mov_b32 s4, s14
	s_add_u32 s6, s12, s2
	v_mul_f64 v[16:17], v[14:15], v[12:13]
	s_addc_u32 s7, s13, s3
	s_lshl_b64 s[2:3], s[4:5], 3
	v_fma_f64 v[10:11], -v[10:11], v[16:17], v[14:15]
	s_add_u32 s14, s6, s2
	v_add_u32_e32 v6, s31, v6
	v_div_fmas_f64 v[10:11], v[10:11], v[12:13], v[16:17]
	s_addc_u32 s34, s7, s3
	v_or_b32_e32 v9, 1, v6
	s_add_i32 s21, s21, -1
	s_add_i32 s4, s33, -4
	v_add_u32_e32 v28, s33, v8
	v_div_fixup_f64 v[4:5], v[10:11], s[10:11], v[4:5]
	v_lshlrev_b32_e32 v10, 3, v1
	v_cmp_gt_i32_e64 s[2:3], s30, v9
	v_mul_lo_u32 v24, v6, s15
	v_add_u32_e32 v26, s22, v8
	v_add_u32_e32 v8, 4, v28
	v_mov_b32_e32 v9, s4
	v_cmp_eq_u32_e32 vcc, s21, v1
	s_mov_b32 s12, 0
	s_add_i32 s35, s15, 1
	s_mov_b32 s10, 0
	v_add_u32_e32 v22, 0, v10
	v_add_u32_e32 v23, s23, v10
	;; [unrolled: 1-line block ×3, first 2 shown]
	v_add_u32_e32 v27, -4, v26
	v_cndmask_b32_e32 v29, v8, v9, vcc
	s_add_i32 s36, s20, -1
	s_movk_i32 s37, 0x204
	s_brev_b32 s13, 8
	v_mov_b32_e32 v30, 0x260
	v_mov_b32_e32 v31, 0x7ff80000
	;; [unrolled: 1-line block ×6, first 2 shown]
                                        ; implicit-def: $vgpr8_vgpr9
                                        ; implicit-def: $vgpr10_vgpr11
                                        ; implicit-def: $vgpr14_vgpr15
	s_branch .LBB46_11
.LBB46_10:                              ;   in Loop: Header=BB46_11 Depth=1
	s_or_b64 exec, exec, s[4:5]
	s_add_i32 s36, s36, -1
	s_cmp_lg_u32 s36, 0
	s_cbranch_scc0 .LBB46_46
.LBB46_11:                              ; =>This Inner Loop Header: Depth=1
	v_cmp_gt_i32_e64 s[4:5], s30, v0
	s_and_b64 s[8:9], s[0:1], s[4:5]
	v_cmp_gt_i32_e64 s[6:7], s30, v2
	s_and_b64 s[20:21], s[8:9], s[6:7]
	s_and_saveexec_b64 s[22:23], s[20:21]
	s_cbranch_execz .LBB46_27
; %bb.12:                               ;   in Loop: Header=BB46_11 Depth=1
	v_mul_lo_u32 v16, v2, s15
	v_add_u32_e32 v10, v0, v16
	v_ashrrev_i32_e32 v11, 31, v10
	v_lshlrev_b64 v[10:11], 3, v[10:11]
	v_mov_b32_e32 v12, s34
	v_add_co_u32_e32 v10, vcc, s14, v10
	v_addc_co_u32_e32 v11, vcc, v12, v11, vcc
	global_load_dwordx2 v[12:13], v[10:11], off
	v_pk_mov_b32 v[14:15], 0, 0
	s_waitcnt vmcnt(0)
	v_mul_f64 v[10:11], v[12:13], v[12:13]
	v_cmp_nlt_f64_e32 vcc, v[10:11], v[4:5]
	v_mov_b32_e32 v10, 0
	v_mov_b32_e32 v11, 0x3ff00000
	s_and_saveexec_b64 s[24:25], vcc
	s_cbranch_execz .LBB46_26
; %bb.13:                               ;   in Loop: Header=BB46_11 Depth=1
	v_add_u32_e32 v10, v16, v2
	v_ashrrev_i32_e32 v11, 31, v10
	v_lshlrev_b64 v[10:11], 3, v[10:11]
	v_mov_b32_e32 v14, s34
	v_add_co_u32_e32 v10, vcc, s14, v10
	v_addc_co_u32_e32 v11, vcc, v14, v11, vcc
	v_mul_lo_u32 v14, v0, s35
	v_ashrrev_i32_e32 v15, 31, v14
	v_lshlrev_b64 v[14:15], 3, v[14:15]
	v_mov_b32_e32 v16, s34
	v_add_co_u32_e32 v14, vcc, s14, v14
	v_addc_co_u32_e32 v15, vcc, v16, v15, vcc
	global_load_dwordx2 v[16:17], v[10:11], off
	global_load_dwordx2 v[18:19], v[14:15], off
	v_add_f64 v[14:15], |v[12:13]|, |v[12:13]|
	s_waitcnt vmcnt(0)
	v_add_f64 v[16:17], v[16:17], -v[18:19]
	v_max_f64 v[10:11], |v[16:17]|, |v[14:15]|
	v_frexp_exp_i32_f64_e32 v18, v[10:11]
	v_sub_u32_e32 v19, 0, v18
	v_ldexp_f64 v[20:21], |v[14:15]|, v19
	v_ldexp_f64 v[10:11], |v[16:17]|, v19
	v_mul_f64 v[20:21], v[20:21], v[20:21]
	v_fmac_f64_e32 v[20:21], v[10:11], v[10:11]
	v_rsq_f64_e32 v[10:11], v[20:21]
	v_cmp_eq_f64_e64 s[8:9], 0, v[20:21]
	v_cmp_ngt_f64_e32 vcc, 0, v[16:17]
	v_cmp_class_f64_e64 s[26:27], v[16:17], s37
	v_mul_f64 v[36:37], v[20:21], v[10:11]
	v_mul_f64 v[10:11], v[10:11], 0.5
	v_fma_f64 v[38:39], -v[10:11], v[36:37], 0.5
	v_fmac_f64_e32 v[36:37], v[36:37], v[38:39]
	v_fmac_f64_e32 v[10:11], v[10:11], v[38:39]
	v_fma_f64 v[38:39], -v[36:37], v[36:37], v[20:21]
	v_fmac_f64_e32 v[36:37], v[38:39], v[10:11]
	v_cndmask_b32_e64 v11, v37, v21, s[8:9]
	v_cndmask_b32_e64 v10, v36, v20, s[8:9]
	v_cmp_class_f64_e64 s[8:9], v[14:15], s37
                                        ; implicit-def: $vgpr20_vgpr21
	s_and_saveexec_b64 s[28:29], vcc
	s_xor_b64 s[28:29], exec, s[28:29]
; %bb.14:                               ;   in Loop: Header=BB46_11 Depth=1
	v_ldexp_f64 v[10:11], v[10:11], v18
	v_cmp_o_f64_e32 vcc, v[16:17], v[14:15]
	v_cndmask_b32_e32 v10, 0, v10, vcc
	v_cndmask_b32_e32 v11, v31, v11, vcc
	s_or_b64 vcc, s[8:9], s[26:27]
	v_cndmask_b32_e32 v21, v11, v32, vcc
	v_cndmask_b32_e64 v20, v10, 0, vcc
                                        ; implicit-def: $vgpr10_vgpr11
                                        ; implicit-def: $vgpr18
; %bb.15:                               ;   in Loop: Header=BB46_11 Depth=1
	s_andn2_saveexec_b64 s[28:29], s[28:29]
; %bb.16:                               ;   in Loop: Header=BB46_11 Depth=1
	v_ldexp_f64 v[10:11], -v[10:11], v18
	v_cmp_o_f64_e32 vcc, v[14:15], v[14:15]
	v_cndmask_b32_e32 v10, 0, v10, vcc
	v_cndmask_b32_e32 v11, v33, v11, vcc
	s_or_b64 vcc, s[8:9], s[26:27]
	v_cndmask_b32_e32 v21, v11, v34, vcc
	v_cndmask_b32_e64 v20, v10, 0, vcc
; %bb.17:                               ;   in Loop: Header=BB46_11 Depth=1
	s_or_b64 exec, exec, s[28:29]
	v_mov_b32_e32 v10, 0
	v_cmp_neq_f64_e32 vcc, 0, v[14:15]
	v_pk_mov_b32 v[18:19], 0, 0
	v_mov_b32_e32 v11, 0x3ff00000
	s_and_saveexec_b64 s[8:9], vcc
	s_cbranch_execz .LBB46_25
; %bb.18:                               ;   in Loop: Header=BB46_11 Depth=1
	v_add_f64 v[16:17], v[16:17], v[20:21]
	v_mov_b32_e32 v18, 0
	v_cmp_neq_f64_e32 vcc, 0, v[16:17]
	v_pk_mov_b32 v[10:11], 0, 0
	v_mov_b32_e32 v19, 0x3ff00000
	s_and_saveexec_b64 s[26:27], vcc
	s_cbranch_execz .LBB46_24
; %bb.19:                               ;   in Loop: Header=BB46_11 Depth=1
	v_cmp_ngt_f64_e64 s[28:29], |v[14:15]|, |v[16:17]|
                                        ; implicit-def: $vgpr10_vgpr11
                                        ; implicit-def: $vgpr18_vgpr19
	s_and_saveexec_b64 s[38:39], s[28:29]
	s_xor_b64 s[28:29], exec, s[38:39]
	s_cbranch_execz .LBB46_21
; %bb.20:                               ;   in Loop: Header=BB46_11 Depth=1
	v_div_scale_f64 v[10:11], s[38:39], v[16:17], v[16:17], -v[14:15]
	v_rcp_f64_e32 v[18:19], v[10:11]
	v_div_scale_f64 v[20:21], vcc, -v[14:15], v[16:17], -v[14:15]
	v_fma_f64 v[36:37], -v[10:11], v[18:19], 1.0
	v_fmac_f64_e32 v[18:19], v[18:19], v[36:37]
	v_fma_f64 v[36:37], -v[10:11], v[18:19], 1.0
	v_fmac_f64_e32 v[18:19], v[18:19], v[36:37]
	v_mul_f64 v[36:37], v[20:21], v[18:19]
	v_fma_f64 v[10:11], -v[10:11], v[36:37], v[20:21]
	v_div_fmas_f64 v[10:11], v[10:11], v[18:19], v[36:37]
	v_div_fixup_f64 v[14:15], v[10:11], v[16:17], -v[14:15]
	v_fma_f64 v[10:11], v[14:15], v[14:15], 1.0
	v_cmp_gt_f64_e32 vcc, s[12:13], v[10:11]
	v_cndmask_b32_e64 v16, 0, 1, vcc
	v_lshlrev_b32_e32 v16, 8, v16
	v_ldexp_f64 v[10:11], v[10:11], v16
	v_rsq_f64_e32 v[16:17], v[10:11]
	v_mul_f64 v[18:19], v[10:11], v[16:17]
	v_mul_f64 v[16:17], v[16:17], 0.5
	v_fma_f64 v[20:21], -v[16:17], v[18:19], 0.5
	v_fmac_f64_e32 v[18:19], v[18:19], v[20:21]
	v_fma_f64 v[36:37], -v[18:19], v[18:19], v[10:11]
	v_fmac_f64_e32 v[16:17], v[16:17], v[20:21]
	v_fmac_f64_e32 v[18:19], v[36:37], v[16:17]
	v_fma_f64 v[20:21], -v[18:19], v[18:19], v[10:11]
	v_fmac_f64_e32 v[18:19], v[20:21], v[16:17]
	v_cndmask_b32_e32 v16, 0, v35, vcc
	v_ldexp_f64 v[16:17], v[18:19], v16
	v_cmp_class_f64_e32 vcc, v[10:11], v30
	v_cndmask_b32_e32 v11, v17, v11, vcc
	v_cndmask_b32_e32 v10, v16, v10, vcc
	v_div_scale_f64 v[16:17], s[38:39], v[10:11], v[10:11], 1.0
	v_rcp_f64_e32 v[18:19], v[16:17]
	v_fma_f64 v[20:21], -v[16:17], v[18:19], 1.0
	v_fmac_f64_e32 v[18:19], v[18:19], v[20:21]
	v_fma_f64 v[20:21], -v[16:17], v[18:19], 1.0
	v_fmac_f64_e32 v[18:19], v[18:19], v[20:21]
	v_div_scale_f64 v[20:21], vcc, 1.0, v[10:11], 1.0
	v_mul_f64 v[36:37], v[20:21], v[18:19]
	v_fma_f64 v[16:17], -v[16:17], v[36:37], v[20:21]
	s_nop 1
	v_div_fmas_f64 v[16:17], v[16:17], v[18:19], v[36:37]
	v_div_fixup_f64 v[10:11], v[16:17], v[10:11], 1.0
	v_mul_f64 v[18:19], v[14:15], v[10:11]
                                        ; implicit-def: $vgpr14_vgpr15
                                        ; implicit-def: $vgpr16_vgpr17
.LBB46_21:                              ;   in Loop: Header=BB46_11 Depth=1
	s_andn2_saveexec_b64 s[28:29], s[28:29]
	s_cbranch_execz .LBB46_23
; %bb.22:                               ;   in Loop: Header=BB46_11 Depth=1
	v_div_scale_f64 v[10:11], s[38:39], v[14:15], v[14:15], -v[16:17]
	v_rcp_f64_e32 v[18:19], v[10:11]
	v_div_scale_f64 v[20:21], vcc, -v[16:17], v[14:15], -v[16:17]
	v_fma_f64 v[36:37], -v[10:11], v[18:19], 1.0
	v_fmac_f64_e32 v[18:19], v[18:19], v[36:37]
	v_fma_f64 v[36:37], -v[10:11], v[18:19], 1.0
	v_fmac_f64_e32 v[18:19], v[18:19], v[36:37]
	v_mul_f64 v[36:37], v[20:21], v[18:19]
	v_fma_f64 v[10:11], -v[10:11], v[36:37], v[20:21]
	v_div_fmas_f64 v[10:11], v[10:11], v[18:19], v[36:37]
	v_div_fixup_f64 v[10:11], v[10:11], v[14:15], -v[16:17]
	v_fma_f64 v[14:15], v[10:11], v[10:11], 1.0
	v_cmp_gt_f64_e32 vcc, s[12:13], v[14:15]
	v_cndmask_b32_e64 v16, 0, 1, vcc
	v_lshlrev_b32_e32 v16, 8, v16
	v_ldexp_f64 v[14:15], v[14:15], v16
	v_rsq_f64_e32 v[16:17], v[14:15]
	v_mul_f64 v[18:19], v[14:15], v[16:17]
	v_mul_f64 v[16:17], v[16:17], 0.5
	v_fma_f64 v[20:21], -v[16:17], v[18:19], 0.5
	v_fmac_f64_e32 v[18:19], v[18:19], v[20:21]
	v_fma_f64 v[36:37], -v[18:19], v[18:19], v[14:15]
	v_fmac_f64_e32 v[16:17], v[16:17], v[20:21]
	v_fmac_f64_e32 v[18:19], v[36:37], v[16:17]
	v_fma_f64 v[20:21], -v[18:19], v[18:19], v[14:15]
	v_fmac_f64_e32 v[18:19], v[20:21], v[16:17]
	v_cndmask_b32_e32 v16, 0, v35, vcc
	v_ldexp_f64 v[16:17], v[18:19], v16
	v_cmp_class_f64_e32 vcc, v[14:15], v30
	v_cndmask_b32_e32 v15, v17, v15, vcc
	v_cndmask_b32_e32 v14, v16, v14, vcc
	v_div_scale_f64 v[16:17], s[38:39], v[14:15], v[14:15], 1.0
	v_rcp_f64_e32 v[18:19], v[16:17]
	v_fma_f64 v[20:21], -v[16:17], v[18:19], 1.0
	v_fmac_f64_e32 v[18:19], v[18:19], v[20:21]
	v_fma_f64 v[20:21], -v[16:17], v[18:19], 1.0
	v_fmac_f64_e32 v[18:19], v[18:19], v[20:21]
	v_div_scale_f64 v[20:21], vcc, 1.0, v[14:15], 1.0
	v_mul_f64 v[36:37], v[20:21], v[18:19]
	v_fma_f64 v[16:17], -v[16:17], v[36:37], v[20:21]
	s_nop 1
	v_div_fmas_f64 v[16:17], v[16:17], v[18:19], v[36:37]
	v_div_fixup_f64 v[18:19], v[16:17], v[14:15], 1.0
	v_mul_f64 v[10:11], v[10:11], v[18:19]
.LBB46_23:                              ;   in Loop: Header=BB46_11 Depth=1
	s_or_b64 exec, exec, s[28:29]
.LBB46_24:                              ;   in Loop: Header=BB46_11 Depth=1
	s_or_b64 exec, exec, s[26:27]
.LBB46_25:                              ;   in Loop: Header=BB46_11 Depth=1
	s_or_b64 exec, exec, s[8:9]
	v_mul_f64 v[14:15], v[12:13], v[18:19]
	v_and_b32_e32 v17, 0x7fffffff, v13
	v_mov_b32_e32 v16, v12
	v_div_scale_f64 v[18:19], s[8:9], v[16:17], v[16:17], v[14:15]
	v_rcp_f64_e32 v[20:21], v[18:19]
	v_div_scale_f64 v[16:17], vcc, v[14:15], v[16:17], v[14:15]
	v_fma_f64 v[36:37], -v[18:19], v[20:21], 1.0
	v_fmac_f64_e32 v[20:21], v[20:21], v[36:37]
	v_fma_f64 v[36:37], -v[18:19], v[20:21], 1.0
	v_fmac_f64_e32 v[20:21], v[20:21], v[36:37]
	v_mul_f64 v[36:37], v[16:17], v[20:21]
	v_fma_f64 v[16:17], -v[18:19], v[36:37], v[16:17]
	v_div_fmas_f64 v[16:17], v[16:17], v[20:21], v[36:37]
	v_div_fixup_f64 v[14:15], v[16:17], |v[12:13]|, v[14:15]
.LBB46_26:                              ;   in Loop: Header=BB46_11 Depth=1
	s_or_b64 exec, exec, s[24:25]
	ds_write_b64 v22, v[10:11]
	ds_write_b64 v23, v[14:15]
.LBB46_27:                              ;   in Loop: Header=BB46_11 Depth=1
	s_or_b64 exec, exec, s[22:23]
	s_and_b64 s[4:5], s[4:5], s[6:7]
	s_waitcnt lgkmcnt(0)
	s_barrier
	s_and_saveexec_b64 s[6:7], s[4:5]
	s_cbranch_execz .LBB46_35
; %bb.28:                               ;   in Loop: Header=BB46_11 Depth=1
	ds_read_b64 v[10:11], v22
	ds_read_b64 v[8:9], v23
	s_andn2_b64 vcc, exec, s[18:19]
	s_cbranch_vccnz .LBB46_32
; %bb.29:                               ;   in Loop: Header=BB46_11 Depth=1
	v_subrev_u32_e32 v13, s31, v0
	v_add_u32_e32 v14, v13, v3
	v_subrev_u32_e32 v12, s31, v2
	v_ashrrev_i32_e32 v15, 31, v14
	v_lshlrev_b64 v[14:15], 3, v[14:15]
	v_add_u32_e32 v16, v12, v3
	v_mov_b32_e32 v18, s17
	v_add_co_u32_e32 v14, vcc, s16, v14
	v_ashrrev_i32_e32 v17, 31, v16
	v_addc_co_u32_e32 v15, vcc, v18, v15, vcc
	v_lshlrev_b64 v[16:17], 3, v[16:17]
	v_add_co_u32_e32 v16, vcc, s16, v16
	v_addc_co_u32_e32 v17, vcc, v18, v17, vcc
	flat_load_dwordx2 v[18:19], v[16:17]
	flat_load_dwordx2 v[20:21], v[14:15]
	s_waitcnt vmcnt(0) lgkmcnt(0)
	v_mul_f64 v[36:37], v[8:9], v[18:19]
	v_mul_f64 v[38:39], v[8:9], v[20:21]
	v_fmac_f64_e32 v[36:37], v[10:11], v[20:21]
	v_fma_f64 v[18:19], v[10:11], v[18:19], -v[38:39]
	flat_store_dwordx2 v[14:15], v[36:37]
	flat_store_dwordx2 v[16:17], v[18:19]
	s_and_saveexec_b64 s[8:9], s[2:3]
	s_cbranch_execz .LBB46_31
; %bb.30:                               ;   in Loop: Header=BB46_11 Depth=1
	v_add_u32_e32 v14, v13, v7
	v_ashrrev_i32_e32 v15, 31, v14
	v_lshlrev_b64 v[14:15], 3, v[14:15]
	v_add_u32_e32 v12, v12, v7
	v_mov_b32_e32 v16, s17
	v_add_co_u32_e32 v14, vcc, s16, v14
	v_ashrrev_i32_e32 v13, 31, v12
	v_addc_co_u32_e32 v15, vcc, v16, v15, vcc
	v_lshlrev_b64 v[12:13], 3, v[12:13]
	v_add_co_u32_e32 v12, vcc, s16, v12
	v_addc_co_u32_e32 v13, vcc, v16, v13, vcc
	flat_load_dwordx2 v[16:17], v[12:13]
	flat_load_dwordx2 v[18:19], v[14:15]
	s_waitcnt vmcnt(0) lgkmcnt(0)
	v_mul_f64 v[20:21], v[8:9], v[16:17]
	v_mul_f64 v[36:37], v[8:9], v[18:19]
	v_fmac_f64_e32 v[20:21], v[10:11], v[18:19]
	v_fma_f64 v[16:17], v[10:11], v[16:17], -v[36:37]
	flat_store_dwordx2 v[14:15], v[20:21]
	flat_store_dwordx2 v[12:13], v[16:17]
.LBB46_31:                              ;   in Loop: Header=BB46_11 Depth=1
	s_or_b64 exec, exec, s[8:9]
.LBB46_32:                              ;   in Loop: Header=BB46_11 Depth=1
	v_mad_u64_u32 v[12:13], s[8:9], v0, s15, v[6:7]
	v_ashrrev_i32_e32 v13, 31, v12
	v_lshlrev_b64 v[12:13], 3, v[12:13]
	v_mov_b32_e32 v14, s34
	v_add_co_u32_e32 v12, vcc, s14, v12
	v_addc_co_u32_e32 v13, vcc, v14, v13, vcc
	v_mad_u64_u32 v[14:15], s[8:9], v2, s15, v[6:7]
	v_ashrrev_i32_e32 v15, 31, v14
	v_lshlrev_b64 v[14:15], 3, v[14:15]
	v_mov_b32_e32 v16, s34
	v_add_co_u32_e32 v14, vcc, s14, v14
	v_addc_co_u32_e32 v15, vcc, v16, v15, vcc
	global_load_dwordx2 v[16:17], v[14:15], off
	global_load_dwordx2 v[18:19], v[12:13], off
	s_waitcnt vmcnt(0) lgkmcnt(0)
	v_mul_f64 v[20:21], v[8:9], v[16:17]
	v_mul_f64 v[36:37], v[8:9], v[18:19]
	v_fmac_f64_e32 v[20:21], v[10:11], v[18:19]
	v_fma_f64 v[16:17], v[10:11], v[16:17], -v[36:37]
	global_store_dwordx2 v[12:13], v[20:21], off
	global_store_dwordx2 v[14:15], v[16:17], off
	s_and_saveexec_b64 s[8:9], s[2:3]
	s_cbranch_execz .LBB46_34
; %bb.33:                               ;   in Loop: Header=BB46_11 Depth=1
	global_load_dwordx2 v[16:17], v[14:15], off offset:8
	global_load_dwordx2 v[18:19], v[12:13], off offset:8
	s_waitcnt vmcnt(1)
	v_mul_f64 v[20:21], v[8:9], v[16:17]
	s_waitcnt vmcnt(0)
	v_mul_f64 v[36:37], v[8:9], v[18:19]
	v_fmac_f64_e32 v[20:21], v[10:11], v[18:19]
	v_fma_f64 v[16:17], v[10:11], v[16:17], -v[36:37]
	global_store_dwordx2 v[12:13], v[20:21], off offset:8
	global_store_dwordx2 v[14:15], v[16:17], off offset:8
.LBB46_34:                              ;   in Loop: Header=BB46_11 Depth=1
	s_or_b64 exec, exec, s[8:9]
	v_pk_mov_b32 v[14:15], v[8:9], v[8:9] op_sel:[0,1]
.LBB46_35:                              ;   in Loop: Header=BB46_11 Depth=1
	s_or_b64 exec, exec, s[6:7]
	s_barrier
	s_and_saveexec_b64 s[6:7], s[4:5]
	s_cbranch_execz .LBB46_38
; %bb.36:                               ;   in Loop: Header=BB46_11 Depth=1
	v_add_u32_e32 v12, v0, v24
	v_ashrrev_i32_e32 v13, 31, v12
	v_lshlrev_b64 v[12:13], 3, v[12:13]
	v_mov_b32_e32 v16, s34
	v_add_co_u32_e32 v12, vcc, s14, v12
	v_addc_co_u32_e32 v13, vcc, v16, v13, vcc
	v_add_u32_e32 v16, v2, v24
	v_ashrrev_i32_e32 v17, 31, v16
	v_lshlrev_b64 v[16:17], 3, v[16:17]
	v_mov_b32_e32 v18, s34
	v_add_co_u32_e32 v16, vcc, s14, v16
	v_addc_co_u32_e32 v17, vcc, v18, v17, vcc
	global_load_dwordx2 v[18:19], v[16:17], off
	global_load_dwordx2 v[20:21], v[12:13], off
	s_waitcnt vmcnt(0)
	v_mul_f64 v[36:37], v[14:15], v[18:19]
	v_mul_f64 v[38:39], v[8:9], v[20:21]
	v_fmac_f64_e32 v[36:37], v[10:11], v[20:21]
	v_fma_f64 v[18:19], v[10:11], v[18:19], -v[38:39]
	global_store_dwordx2 v[12:13], v[36:37], off
	global_store_dwordx2 v[16:17], v[18:19], off
	s_and_b64 exec, exec, s[2:3]
	s_cbranch_execz .LBB46_38
; %bb.37:                               ;   in Loop: Header=BB46_11 Depth=1
	v_add_u32_e32 v12, v0, v25
	v_ashrrev_i32_e32 v13, 31, v12
	v_lshlrev_b64 v[12:13], 3, v[12:13]
	v_mov_b32_e32 v16, s34
	v_add_co_u32_e32 v12, vcc, s14, v12
	v_addc_co_u32_e32 v13, vcc, v16, v13, vcc
	v_add_u32_e32 v16, v2, v25
	v_ashrrev_i32_e32 v17, 31, v16
	v_lshlrev_b64 v[16:17], 3, v[16:17]
	v_mov_b32_e32 v18, s34
	v_add_co_u32_e32 v16, vcc, s14, v16
	v_addc_co_u32_e32 v17, vcc, v18, v17, vcc
	global_load_dwordx2 v[18:19], v[16:17], off
	global_load_dwordx2 v[20:21], v[12:13], off
	s_waitcnt vmcnt(1)
	v_mul_f64 v[36:37], v[14:15], v[18:19]
	s_waitcnt vmcnt(0)
	v_mul_f64 v[38:39], v[8:9], v[20:21]
	v_fmac_f64_e32 v[36:37], v[10:11], v[20:21]
	v_fma_f64 v[18:19], v[10:11], v[18:19], -v[38:39]
	global_store_dwordx2 v[12:13], v[36:37], off
	global_store_dwordx2 v[16:17], v[18:19], off
.LBB46_38:                              ;   in Loop: Header=BB46_11 Depth=1
	s_or_b64 exec, exec, s[6:7]
	s_barrier
	s_and_saveexec_b64 s[4:5], s[20:21]
	s_cbranch_execz .LBB46_40
; %bb.39:                               ;   in Loop: Header=BB46_11 Depth=1
	v_mad_u64_u32 v[12:13], s[6:7], v2, s15, v[0:1]
	v_ashrrev_i32_e32 v13, 31, v12
	v_lshlrev_b64 v[12:13], 3, v[12:13]
	v_mov_b32_e32 v16, s34
	v_add_co_u32_e32 v12, vcc, s14, v12
	s_mov_b32 s11, s10
	v_addc_co_u32_e32 v13, vcc, v16, v13, vcc
	v_pk_mov_b32 v[16:17], s[10:11], s[10:11] op_sel:[0,1]
	global_store_dwordx2 v[12:13], v[16:17], off
	v_mad_u64_u32 v[12:13], s[6:7], v0, s15, v[2:3]
	v_ashrrev_i32_e32 v13, 31, v12
	v_lshlrev_b64 v[12:13], 3, v[12:13]
	v_mov_b32_e32 v2, s34
	v_add_co_u32_e32 v12, vcc, s14, v12
	v_addc_co_u32_e32 v13, vcc, v2, v13, vcc
	global_store_dwordx2 v[12:13], v[16:17], off
.LBB46_40:                              ;   in Loop: Header=BB46_11 Depth=1
	s_or_b64 exec, exec, s[4:5]
	v_cmp_lt_i32_e32 vcc, 0, v1
	s_and_saveexec_b64 s[4:5], vcc
	s_cbranch_execz .LBB46_44
; %bb.41:                               ;   in Loop: Header=BB46_11 Depth=1
	v_cmp_ne_u32_e32 vcc, 1, v1
	v_mov_b32_e32 v0, s33
	s_and_saveexec_b64 s[6:7], vcc
; %bb.42:                               ;   in Loop: Header=BB46_11 Depth=1
	v_mov_b32_e32 v0, v27
; %bb.43:                               ;   in Loop: Header=BB46_11 Depth=1
	s_or_b64 exec, exec, s[6:7]
	ds_read_b32 v0, v0
.LBB46_44:                              ;   in Loop: Header=BB46_11 Depth=1
	s_or_b64 exec, exec, s[4:5]
	ds_read_b32 v2, v29
	s_waitcnt lgkmcnt(0)
	s_barrier
	s_and_saveexec_b64 s[4:5], s[0:1]
	s_cbranch_execz .LBB46_10
; %bb.45:                               ;   in Loop: Header=BB46_11 Depth=1
	ds_write_b32 v26, v0
	ds_write_b32 v28, v2
	s_branch .LBB46_10
.LBB46_46:
	s_endpgm
	.section	.rodata,"a",@progbits
	.p2align	6, 0x0
	.amdhsa_kernel _ZN9rocsolver6v33100L17syevj_diag_kernelIddPdEEviT1_iilT0_PT_Pi
		.amdhsa_group_segment_fixed_size 0
		.amdhsa_private_segment_fixed_size 0
		.amdhsa_kernarg_size 312
		.amdhsa_user_sgpr_count 6
		.amdhsa_user_sgpr_private_segment_buffer 1
		.amdhsa_user_sgpr_dispatch_ptr 0
		.amdhsa_user_sgpr_queue_ptr 0
		.amdhsa_user_sgpr_kernarg_segment_ptr 1
		.amdhsa_user_sgpr_dispatch_id 0
		.amdhsa_user_sgpr_flat_scratch_init 0
		.amdhsa_user_sgpr_kernarg_preload_length 0
		.amdhsa_user_sgpr_kernarg_preload_offset 0
		.amdhsa_user_sgpr_private_segment_size 0
		.amdhsa_uses_dynamic_stack 0
		.amdhsa_system_sgpr_private_segment_wavefront_offset 0
		.amdhsa_system_sgpr_workgroup_id_x 1
		.amdhsa_system_sgpr_workgroup_id_y 0
		.amdhsa_system_sgpr_workgroup_id_z 1
		.amdhsa_system_sgpr_workgroup_info 0
		.amdhsa_system_vgpr_workitem_id 1
		.amdhsa_next_free_vgpr 40
		.amdhsa_next_free_sgpr 40
		.amdhsa_accum_offset 40
		.amdhsa_reserve_vcc 1
		.amdhsa_reserve_flat_scratch 0
		.amdhsa_float_round_mode_32 0
		.amdhsa_float_round_mode_16_64 0
		.amdhsa_float_denorm_mode_32 3
		.amdhsa_float_denorm_mode_16_64 3
		.amdhsa_dx10_clamp 1
		.amdhsa_ieee_mode 1
		.amdhsa_fp16_overflow 0
		.amdhsa_tg_split 0
		.amdhsa_exception_fp_ieee_invalid_op 0
		.amdhsa_exception_fp_denorm_src 0
		.amdhsa_exception_fp_ieee_div_zero 0
		.amdhsa_exception_fp_ieee_overflow 0
		.amdhsa_exception_fp_ieee_underflow 0
		.amdhsa_exception_fp_ieee_inexact 0
		.amdhsa_exception_int_div_zero 0
	.end_amdhsa_kernel
	.section	.text._ZN9rocsolver6v33100L17syevj_diag_kernelIddPdEEviT1_iilT0_PT_Pi,"axG",@progbits,_ZN9rocsolver6v33100L17syevj_diag_kernelIddPdEEviT1_iilT0_PT_Pi,comdat
.Lfunc_end46:
	.size	_ZN9rocsolver6v33100L17syevj_diag_kernelIddPdEEviT1_iilT0_PT_Pi, .Lfunc_end46-_ZN9rocsolver6v33100L17syevj_diag_kernelIddPdEEviT1_iilT0_PT_Pi
                                        ; -- End function
	.section	.AMDGPU.csdata,"",@progbits
; Kernel info:
; codeLenInByte = 3032
; NumSgprs: 44
; NumVgprs: 40
; NumAgprs: 0
; TotalNumVgprs: 40
; ScratchSize: 0
; MemoryBound: 0
; FloatMode: 240
; IeeeMode: 1
; LDSByteSize: 0 bytes/workgroup (compile time only)
; SGPRBlocks: 5
; VGPRBlocks: 4
; NumSGPRsForWavesPerEU: 44
; NumVGPRsForWavesPerEU: 40
; AccumOffset: 40
; Occupancy: 8
; WaveLimiterHint : 0
; COMPUTE_PGM_RSRC2:SCRATCH_EN: 0
; COMPUTE_PGM_RSRC2:USER_SGPR: 6
; COMPUTE_PGM_RSRC2:TRAP_HANDLER: 0
; COMPUTE_PGM_RSRC2:TGID_X_EN: 1
; COMPUTE_PGM_RSRC2:TGID_Y_EN: 0
; COMPUTE_PGM_RSRC2:TGID_Z_EN: 1
; COMPUTE_PGM_RSRC2:TIDIG_COMP_CNT: 1
; COMPUTE_PGM_RSRC3_GFX90A:ACCUM_OFFSET: 9
; COMPUTE_PGM_RSRC3_GFX90A:TG_SPLIT: 0
	.section	.text._ZN9rocsolver6v33100L21syevj_diag_rotate_orgILb0EddPdEEvbiT2_iilPT0_Pi,"axG",@progbits,_ZN9rocsolver6v33100L21syevj_diag_rotate_orgILb0EddPdEEvbiT2_iilPT0_Pi,comdat
	.globl	_ZN9rocsolver6v33100L21syevj_diag_rotate_orgILb0EddPdEEvbiT2_iilPT0_Pi ; -- Begin function _ZN9rocsolver6v33100L21syevj_diag_rotate_orgILb0EddPdEEvbiT2_iilPT0_Pi
	.p2align	8
	.type	_ZN9rocsolver6v33100L21syevj_diag_rotate_orgILb0EddPdEEvbiT2_iilPT0_Pi,@function
_ZN9rocsolver6v33100L21syevj_diag_rotate_orgILb0EddPdEEvbiT2_iilPT0_Pi: ; @_ZN9rocsolver6v33100L21syevj_diag_rotate_orgILb0EddPdEEvbiT2_iilPT0_Pi
; %bb.0:
	s_load_dwordx2 s[0:1], s[4:5], 0x0
	s_load_dwordx2 s[2:3], s[4:5], 0x28
	s_waitcnt lgkmcnt(0)
	s_bitcmp1_b32 s0, 0
	s_cselect_b64 s[10:11], -1, 0
	s_ashr_i32 s9, s8, 31
	s_lshl_b64 s[12:13], s[8:9], 2
	s_add_u32 s2, s2, s12
	s_addc_u32 s3, s3, s13
	s_load_dword s0, s[2:3], 0x4
	s_waitcnt lgkmcnt(0)
	s_cmp_lg_u32 s0, 0
	s_cselect_b64 s[2:3], -1, 0
	s_cmp_eq_u32 s6, s7
	s_cselect_b64 s[12:13], -1, 0
	s_and_b64 s[10:11], s[12:13], s[10:11]
	s_or_b64 s[2:3], s[10:11], s[2:3]
	s_and_b64 vcc, exec, s[2:3]
	s_cbranch_vccnz .LBB47_7
; %bb.1:
	s_load_dword s0, s[4:5], 0x3c
	s_add_u32 s2, s4, 48
	s_addc_u32 s3, s5, 0
	v_and_b32_e32 v2, 0x3ff, v0
	v_bfe_u32 v3, v0, 10, 10
	s_waitcnt lgkmcnt(0)
	s_and_b32 s10, s0, 0xffff
	s_mul_i32 s0, s6, s10
	s_mul_i32 s11, s7, s10
	v_add_u32_e32 v1, s0, v2
	v_add_u32_e32 v0, s11, v3
	v_max_i32_e32 v4, v1, v0
	v_cmp_gt_i32_e32 vcc, s1, v4
	s_and_saveexec_b64 s[12:13], vcc
	s_cbranch_execz .LBB47_7
; %bb.2:
	s_load_dwordx8 s[12:19], s[4:5], 0x8
	s_sub_i32 s0, s1, s0
	s_min_i32 s4, s0, s10
	s_waitcnt lgkmcnt(0)
	s_mul_i32 s5, s8, s17
	s_mul_hi_u32 s11, s8, s16
	s_add_i32 s5, s11, s5
	s_mul_i32 s9, s9, s16
	s_add_i32 s17, s5, s9
	s_mul_i32 s16, s8, s16
	s_ashr_i32 s1, s14, 31
	s_lshl_b64 s[16:17], s[16:17], 3
	s_mov_b32 s0, s14
	s_add_u32 s5, s12, s16
	s_addc_u32 s9, s13, s17
	s_lshl_b64 s[0:1], s[0:1], 3
	s_add_u32 s0, s5, s0
	s_addc_u32 s1, s9, s1
	s_cmp_lt_i32 s4, 1
	s_cbranch_scc1 .LBB47_5
; %bb.3:
	s_load_dword s2, s[2:3], 0x0
	s_mul_i32 s3, s6, s15
	s_add_i32 s3, s7, s3
	s_mul_i32 s3, s3, s10
	v_add_u32_e32 v4, s3, v3
	s_waitcnt lgkmcnt(0)
	s_mul_i32 s2, s2, s8
	s_add_i32 s2, s2, s6
	s_mul_i32 s2, s2, s10
	s_mul_i32 s2, s2, s10
	s_ashr_i32 s3, s2, 31
	s_lshl_b64 s[2:3], s[2:3], 3
	s_add_u32 s2, s18, s2
	v_lshlrev_b32_e32 v2, 3, v2
	s_addc_u32 s3, s19, s3
	s_mov_b32 s5, 0
	v_mov_b32_e32 v3, s3
	v_add_co_u32_e32 v6, vcc, s2, v2
	v_addc_co_u32_e32 v7, vcc, 0, v3, vcc
	s_lshl_b32 s2, s10, 3
	v_pk_mov_b32 v[2:3], 0, 0
	v_mov_b32_e32 v8, s1
	v_mov_b32_e32 v9, s5
.LBB47_4:                               ; =>This Inner Loop Header: Depth=1
	v_ashrrev_i32_e32 v5, 31, v4
	v_lshlrev_b64 v[12:13], 3, v[4:5]
	v_add_co_u32_e32 v12, vcc, s0, v12
	v_addc_co_u32_e32 v13, vcc, v8, v13, vcc
	global_load_dwordx2 v[10:11], v[6:7], off
	s_add_i32 s4, s4, -1
	global_load_dwordx2 v[12:13], v[12:13], off
	v_add_co_u32_e32 v6, vcc, s2, v6
	v_addc_co_u32_e32 v7, vcc, v7, v9, vcc
	v_add_u32_e32 v4, s15, v4
	s_cmp_lg_u32 s4, 0
	s_waitcnt vmcnt(0)
	v_fmac_f64_e32 v[2:3], v[10:11], v[12:13]
	s_cbranch_scc1 .LBB47_4
	s_branch .LBB47_6
.LBB47_5:
	v_pk_mov_b32 v[2:3], 0, 0
.LBB47_6:
	v_mad_u64_u32 v[0:1], s[2:3], v1, s15, v[0:1]
	v_ashrrev_i32_e32 v1, 31, v0
	v_lshlrev_b64 v[0:1], 3, v[0:1]
	v_mov_b32_e32 v4, s1
	v_add_co_u32_e32 v0, vcc, s0, v0
	v_addc_co_u32_e32 v1, vcc, v4, v1, vcc
	s_barrier
	global_store_dwordx2 v[0:1], v[2:3], off
.LBB47_7:
	s_endpgm
	.section	.rodata,"a",@progbits
	.p2align	6, 0x0
	.amdhsa_kernel _ZN9rocsolver6v33100L21syevj_diag_rotate_orgILb0EddPdEEvbiT2_iilPT0_Pi
		.amdhsa_group_segment_fixed_size 0
		.amdhsa_private_segment_fixed_size 0
		.amdhsa_kernarg_size 304
		.amdhsa_user_sgpr_count 6
		.amdhsa_user_sgpr_private_segment_buffer 1
		.amdhsa_user_sgpr_dispatch_ptr 0
		.amdhsa_user_sgpr_queue_ptr 0
		.amdhsa_user_sgpr_kernarg_segment_ptr 1
		.amdhsa_user_sgpr_dispatch_id 0
		.amdhsa_user_sgpr_flat_scratch_init 0
		.amdhsa_user_sgpr_kernarg_preload_length 0
		.amdhsa_user_sgpr_kernarg_preload_offset 0
		.amdhsa_user_sgpr_private_segment_size 0
		.amdhsa_uses_dynamic_stack 0
		.amdhsa_system_sgpr_private_segment_wavefront_offset 0
		.amdhsa_system_sgpr_workgroup_id_x 1
		.amdhsa_system_sgpr_workgroup_id_y 1
		.amdhsa_system_sgpr_workgroup_id_z 1
		.amdhsa_system_sgpr_workgroup_info 0
		.amdhsa_system_vgpr_workitem_id 1
		.amdhsa_next_free_vgpr 14
		.amdhsa_next_free_sgpr 20
		.amdhsa_accum_offset 16
		.amdhsa_reserve_vcc 1
		.amdhsa_reserve_flat_scratch 0
		.amdhsa_float_round_mode_32 0
		.amdhsa_float_round_mode_16_64 0
		.amdhsa_float_denorm_mode_32 3
		.amdhsa_float_denorm_mode_16_64 3
		.amdhsa_dx10_clamp 1
		.amdhsa_ieee_mode 1
		.amdhsa_fp16_overflow 0
		.amdhsa_tg_split 0
		.amdhsa_exception_fp_ieee_invalid_op 0
		.amdhsa_exception_fp_denorm_src 0
		.amdhsa_exception_fp_ieee_div_zero 0
		.amdhsa_exception_fp_ieee_overflow 0
		.amdhsa_exception_fp_ieee_underflow 0
		.amdhsa_exception_fp_ieee_inexact 0
		.amdhsa_exception_int_div_zero 0
	.end_amdhsa_kernel
	.section	.text._ZN9rocsolver6v33100L21syevj_diag_rotate_orgILb0EddPdEEvbiT2_iilPT0_Pi,"axG",@progbits,_ZN9rocsolver6v33100L21syevj_diag_rotate_orgILb0EddPdEEvbiT2_iilPT0_Pi,comdat
.Lfunc_end47:
	.size	_ZN9rocsolver6v33100L21syevj_diag_rotate_orgILb0EddPdEEvbiT2_iilPT0_Pi, .Lfunc_end47-_ZN9rocsolver6v33100L21syevj_diag_rotate_orgILb0EddPdEEvbiT2_iilPT0_Pi
                                        ; -- End function
	.section	.AMDGPU.csdata,"",@progbits
; Kernel info:
; codeLenInByte = 476
; NumSgprs: 24
; NumVgprs: 14
; NumAgprs: 0
; TotalNumVgprs: 14
; ScratchSize: 0
; MemoryBound: 0
; FloatMode: 240
; IeeeMode: 1
; LDSByteSize: 0 bytes/workgroup (compile time only)
; SGPRBlocks: 2
; VGPRBlocks: 1
; NumSGPRsForWavesPerEU: 24
; NumVGPRsForWavesPerEU: 14
; AccumOffset: 16
; Occupancy: 8
; WaveLimiterHint : 0
; COMPUTE_PGM_RSRC2:SCRATCH_EN: 0
; COMPUTE_PGM_RSRC2:USER_SGPR: 6
; COMPUTE_PGM_RSRC2:TRAP_HANDLER: 0
; COMPUTE_PGM_RSRC2:TGID_X_EN: 1
; COMPUTE_PGM_RSRC2:TGID_Y_EN: 1
; COMPUTE_PGM_RSRC2:TGID_Z_EN: 1
; COMPUTE_PGM_RSRC2:TIDIG_COMP_CNT: 1
; COMPUTE_PGM_RSRC3_GFX90A:ACCUM_OFFSET: 3
; COMPUTE_PGM_RSRC3_GFX90A:TG_SPLIT: 0
	.section	.text._ZN9rocsolver6v33100L21syevj_diag_rotate_orgILb1EddPdEEvbiT2_iilPT0_Pi,"axG",@progbits,_ZN9rocsolver6v33100L21syevj_diag_rotate_orgILb1EddPdEEvbiT2_iilPT0_Pi,comdat
	.globl	_ZN9rocsolver6v33100L21syevj_diag_rotate_orgILb1EddPdEEvbiT2_iilPT0_Pi ; -- Begin function _ZN9rocsolver6v33100L21syevj_diag_rotate_orgILb1EddPdEEvbiT2_iilPT0_Pi
	.p2align	8
	.type	_ZN9rocsolver6v33100L21syevj_diag_rotate_orgILb1EddPdEEvbiT2_iilPT0_Pi,@function
_ZN9rocsolver6v33100L21syevj_diag_rotate_orgILb1EddPdEEvbiT2_iilPT0_Pi: ; @_ZN9rocsolver6v33100L21syevj_diag_rotate_orgILb1EddPdEEvbiT2_iilPT0_Pi
; %bb.0:
	s_load_dwordx2 s[0:1], s[4:5], 0x0
	s_load_dwordx2 s[2:3], s[4:5], 0x28
	s_waitcnt lgkmcnt(0)
	s_bitcmp1_b32 s0, 0
	s_cselect_b64 s[10:11], -1, 0
	s_ashr_i32 s9, s8, 31
	s_lshl_b64 s[12:13], s[8:9], 2
	s_add_u32 s2, s2, s12
	s_addc_u32 s3, s3, s13
	s_load_dword s0, s[2:3], 0x4
	s_waitcnt lgkmcnt(0)
	s_cmp_lg_u32 s0, 0
	s_cselect_b64 s[2:3], -1, 0
	s_cmp_eq_u32 s6, s7
	s_cselect_b64 s[12:13], -1, 0
	s_and_b64 s[10:11], s[12:13], s[10:11]
	s_or_b64 s[2:3], s[10:11], s[2:3]
	s_and_b64 vcc, exec, s[2:3]
	s_cbranch_vccnz .LBB48_7
; %bb.1:
	s_load_dword s0, s[4:5], 0x3c
	s_add_u32 s2, s4, 48
	s_addc_u32 s3, s5, 0
	v_and_b32_e32 v1, 0x3ff, v0
	v_bfe_u32 v0, v0, 10, 10
	s_waitcnt lgkmcnt(0)
	s_and_b32 s11, s0, 0xffff
	s_mul_i32 s10, s6, s11
	s_mul_i32 s7, s7, s11
	v_add_u32_e32 v6, s10, v1
	v_add_u32_e32 v0, s7, v0
	v_max_i32_e32 v2, v6, v0
	v_cmp_gt_i32_e32 vcc, s1, v2
	s_and_saveexec_b64 s[12:13], vcc
	s_cbranch_execz .LBB48_7
; %bb.2:
	s_load_dwordx8 s[12:19], s[4:5], 0x8
	s_sub_i32 s0, s1, s10
	s_min_i32 s4, s0, s11
	s_waitcnt lgkmcnt(0)
	s_mul_i32 s5, s8, s17
	s_mul_hi_u32 s7, s8, s16
	s_add_i32 s5, s7, s5
	s_mul_i32 s7, s9, s16
	s_add_i32 s17, s5, s7
	s_mul_i32 s16, s8, s16
	s_ashr_i32 s1, s14, 31
	s_lshl_b64 s[16:17], s[16:17], 3
	s_mov_b32 s0, s14
	s_add_u32 s5, s12, s16
	s_addc_u32 s7, s13, s17
	s_lshl_b64 s[0:1], s[0:1], 3
	s_add_u32 s0, s5, s0
	s_addc_u32 s1, s7, s1
	s_cmp_lt_i32 s4, 1
	v_mul_lo_u32 v7, v0, s15
	s_cbranch_scc1 .LBB48_5
; %bb.3:
	s_load_dword s2, s[2:3], 0x0
	v_lshlrev_b32_e32 v0, 3, v1
	s_mov_b32 s5, 0
	v_add_u32_e32 v4, s10, v7
	v_mov_b32_e32 v8, s1
	s_waitcnt lgkmcnt(0)
	s_mul_i32 s2, s2, s8
	s_add_i32 s2, s2, s6
	s_mul_i32 s2, s2, s11
	s_mul_i32 s2, s2, s11
	s_ashr_i32 s3, s2, 31
	s_lshl_b64 s[2:3], s[2:3], 3
	s_add_u32 s2, s18, s2
	s_addc_u32 s3, s19, s3
	v_mov_b32_e32 v1, s3
	v_add_co_u32_e32 v2, vcc, s2, v0
	v_addc_co_u32_e32 v3, vcc, 0, v1, vcc
	s_lshl_b32 s2, s11, 3
	v_pk_mov_b32 v[0:1], 0, 0
	v_mov_b32_e32 v9, s5
.LBB48_4:                               ; =>This Inner Loop Header: Depth=1
	v_ashrrev_i32_e32 v5, 31, v4
	v_lshlrev_b64 v[12:13], 3, v[4:5]
	v_add_co_u32_e32 v12, vcc, s0, v12
	v_addc_co_u32_e32 v13, vcc, v8, v13, vcc
	global_load_dwordx2 v[10:11], v[2:3], off
	s_add_i32 s4, s4, -1
	global_load_dwordx2 v[12:13], v[12:13], off
	v_add_co_u32_e32 v2, vcc, s2, v2
	v_addc_co_u32_e32 v3, vcc, v3, v9, vcc
	v_add_u32_e32 v4, 1, v4
	s_cmp_lg_u32 s4, 0
	s_waitcnt vmcnt(0)
	v_fmac_f64_e32 v[0:1], v[10:11], v[12:13]
	s_cbranch_scc1 .LBB48_4
	s_branch .LBB48_6
.LBB48_5:
	v_pk_mov_b32 v[0:1], 0, 0
.LBB48_6:
	v_add_u32_e32 v2, v7, v6
	v_ashrrev_i32_e32 v3, 31, v2
	v_lshlrev_b64 v[2:3], 3, v[2:3]
	v_mov_b32_e32 v4, s1
	v_add_co_u32_e32 v2, vcc, s0, v2
	v_addc_co_u32_e32 v3, vcc, v4, v3, vcc
	s_barrier
	global_store_dwordx2 v[2:3], v[0:1], off
.LBB48_7:
	s_endpgm
	.section	.rodata,"a",@progbits
	.p2align	6, 0x0
	.amdhsa_kernel _ZN9rocsolver6v33100L21syevj_diag_rotate_orgILb1EddPdEEvbiT2_iilPT0_Pi
		.amdhsa_group_segment_fixed_size 0
		.amdhsa_private_segment_fixed_size 0
		.amdhsa_kernarg_size 304
		.amdhsa_user_sgpr_count 6
		.amdhsa_user_sgpr_private_segment_buffer 1
		.amdhsa_user_sgpr_dispatch_ptr 0
		.amdhsa_user_sgpr_queue_ptr 0
		.amdhsa_user_sgpr_kernarg_segment_ptr 1
		.amdhsa_user_sgpr_dispatch_id 0
		.amdhsa_user_sgpr_flat_scratch_init 0
		.amdhsa_user_sgpr_kernarg_preload_length 0
		.amdhsa_user_sgpr_kernarg_preload_offset 0
		.amdhsa_user_sgpr_private_segment_size 0
		.amdhsa_uses_dynamic_stack 0
		.amdhsa_system_sgpr_private_segment_wavefront_offset 0
		.amdhsa_system_sgpr_workgroup_id_x 1
		.amdhsa_system_sgpr_workgroup_id_y 1
		.amdhsa_system_sgpr_workgroup_id_z 1
		.amdhsa_system_sgpr_workgroup_info 0
		.amdhsa_system_vgpr_workitem_id 1
		.amdhsa_next_free_vgpr 14
		.amdhsa_next_free_sgpr 20
		.amdhsa_accum_offset 16
		.amdhsa_reserve_vcc 1
		.amdhsa_reserve_flat_scratch 0
		.amdhsa_float_round_mode_32 0
		.amdhsa_float_round_mode_16_64 0
		.amdhsa_float_denorm_mode_32 3
		.amdhsa_float_denorm_mode_16_64 3
		.amdhsa_dx10_clamp 1
		.amdhsa_ieee_mode 1
		.amdhsa_fp16_overflow 0
		.amdhsa_tg_split 0
		.amdhsa_exception_fp_ieee_invalid_op 0
		.amdhsa_exception_fp_denorm_src 0
		.amdhsa_exception_fp_ieee_div_zero 0
		.amdhsa_exception_fp_ieee_overflow 0
		.amdhsa_exception_fp_ieee_underflow 0
		.amdhsa_exception_fp_ieee_inexact 0
		.amdhsa_exception_int_div_zero 0
	.end_amdhsa_kernel
	.section	.text._ZN9rocsolver6v33100L21syevj_diag_rotate_orgILb1EddPdEEvbiT2_iilPT0_Pi,"axG",@progbits,_ZN9rocsolver6v33100L21syevj_diag_rotate_orgILb1EddPdEEvbiT2_iilPT0_Pi,comdat
.Lfunc_end48:
	.size	_ZN9rocsolver6v33100L21syevj_diag_rotate_orgILb1EddPdEEvbiT2_iilPT0_Pi, .Lfunc_end48-_ZN9rocsolver6v33100L21syevj_diag_rotate_orgILb1EddPdEEvbiT2_iilPT0_Pi
                                        ; -- End function
	.section	.AMDGPU.csdata,"",@progbits
; Kernel info:
; codeLenInByte = 468
; NumSgprs: 24
; NumVgprs: 14
; NumAgprs: 0
; TotalNumVgprs: 14
; ScratchSize: 0
; MemoryBound: 0
; FloatMode: 240
; IeeeMode: 1
; LDSByteSize: 0 bytes/workgroup (compile time only)
; SGPRBlocks: 2
; VGPRBlocks: 1
; NumSGPRsForWavesPerEU: 24
; NumVGPRsForWavesPerEU: 14
; AccumOffset: 16
; Occupancy: 8
; WaveLimiterHint : 0
; COMPUTE_PGM_RSRC2:SCRATCH_EN: 0
; COMPUTE_PGM_RSRC2:USER_SGPR: 6
; COMPUTE_PGM_RSRC2:TRAP_HANDLER: 0
; COMPUTE_PGM_RSRC2:TGID_X_EN: 1
; COMPUTE_PGM_RSRC2:TGID_Y_EN: 1
; COMPUTE_PGM_RSRC2:TGID_Z_EN: 1
; COMPUTE_PGM_RSRC2:TIDIG_COMP_CNT: 1
; COMPUTE_PGM_RSRC3_GFX90A:ACCUM_OFFSET: 3
; COMPUTE_PGM_RSRC3_GFX90A:TG_SPLIT: 0
	.section	.text._ZN9rocsolver6v33100L17syevj_diag_rotateILb0EddPdEEvbiiT2_iilPT0_Pii,"axG",@progbits,_ZN9rocsolver6v33100L17syevj_diag_rotateILb0EddPdEEvbiiT2_iilPT0_Pii,comdat
	.globl	_ZN9rocsolver6v33100L17syevj_diag_rotateILb0EddPdEEvbiiT2_iilPT0_Pii ; -- Begin function _ZN9rocsolver6v33100L17syevj_diag_rotateILb0EddPdEEvbiiT2_iilPT0_Pii
	.p2align	8
	.type	_ZN9rocsolver6v33100L17syevj_diag_rotateILb0EddPdEEvbiiT2_iilPT0_Pii,@function
_ZN9rocsolver6v33100L17syevj_diag_rotateILb0EddPdEEvbiiT2_iilPT0_Pii: ; @_ZN9rocsolver6v33100L17syevj_diag_rotateILb0EddPdEEvbiiT2_iilPT0_Pii
; %bb.0:
	s_load_dwordx4 s[36:39], s[4:5], 0x0
	s_add_u32 flat_scratch_lo, s6, s11
	s_addc_u32 flat_scratch_hi, s7, 0
	s_add_u32 s0, s0, s11
	s_addc_u32 s1, s1, 0
	s_waitcnt lgkmcnt(0)
	s_abs_i32 s27, s37
	v_mov_b32_e32 v41, v0
	v_cvt_f32_u32_e32 v0, s27
	s_mul_i32 s46, s37, s37
	s_mov_b32 s26, s10
	s_mov_b64 s[28:29], s[4:5]
	v_rcp_iflag_f32_e32 v0, v0
	s_mov_b32 s34, s9
	s_mov_b32 s35, s8
	s_cmpk_lt_u32 s46, 0x2001
	v_mul_f32_e32 v0, 0x4f7ffffe, v0
	v_cvt_u32_f32_e32 v0, v0
	s_mov_b64 s[4:5], -1
	s_mov_b32 s32, 0
	v_readfirstlane_b32 s39, v0
	s_cbranch_scc1 .LBB49_2
; %bb.1:
	s_add_u32 s8, s28, 64
	s_addc_u32 s9, s29, 0
	s_getpc_b64 s[4:5]
	s_add_u32 s4, s4, __PRETTY_FUNCTION__._ZN9rocsolver6v33100L17syevj_diag_rotateILb0EddPdEEvbiiT2_iilPT0_Pii@rel32@lo+4
	s_addc_u32 s5, s5, __PRETTY_FUNCTION__._ZN9rocsolver6v33100L17syevj_diag_rotateILb0EddPdEEvbiiT2_iilPT0_Pii@rel32@hi+12
	v_mov_b32_e32 v0, s4
	v_mov_b32_e32 v1, s5
	s_getpc_b64 s[6:7]
	s_add_u32 s6, s6, __assert_fail@rel32@lo+4
	s_addc_u32 s7, s7, __assert_fail@rel32@hi+12
	s_swappc_b64 s[30:31], s[6:7]
	s_mov_b64 s[4:5], 0
	; divergent unreachable
.LBB49_2:
	s_andn2_b64 vcc, exec, s[4:5]
	s_cbranch_vccnz .LBB49_35
; %bb.3:
	s_load_dword s33, s[28:29], 0x38
	s_waitcnt lgkmcnt(0)
	s_cmp_ge_u32 s26, s33
	s_cbranch_scc1 .LBB49_35
; %bb.4:
	s_sub_i32 s4, 0, s27
	s_mul_i32 s4, s4, s39
	s_add_i32 s5, s38, -1
	s_mul_hi_u32 s4, s39, s4
	s_abs_i32 s24, s5
	s_add_i32 s39, s39, s4
	s_ashr_i32 s5, s5, 31
	s_ashr_i32 s25, s37, 31
	s_load_dwordx4 s[16:19], s[28:29], 0x40
	s_cmpk_lt_u32 s46, 0x1001
	s_mul_hi_u32 s4, s24, s39
	s_cselect_b64 s[20:21], -1, 0
	s_bitcmp1_b32 s36, 0
	s_cselect_b64 s[22:23], -1, 0
	s_xor_b32 s5, s5, s25
	s_mul_i32 s25, s4, s27
	s_sub_i32 s24, s24, s25
	s_load_dwordx8 s[8:15], s[28:29], 0x10
	s_load_dwordx2 s[6:7], s[28:29], 0x30
	s_waitcnt lgkmcnt(0)
	s_lshr_b32 s36, s19, 16
	s_and_b32 s19, s19, 0xffff
	s_add_i32 s25, s4, 1
	s_sub_i32 s28, s24, s27
	s_cmp_ge_u32 s24, s27
	s_cselect_b32 s4, s25, s4
	s_cselect_b32 s24, s28, s24
	s_add_i32 s25, s4, 1
	s_cmp_ge_u32 s24, s27
	s_cselect_b32 s4, s25, s4
	s_xor_b32 s4, s4, s5
	s_sub_i32 s47, s4, s5
	s_lshl_b32 s4, s46, 3
	s_add_i32 s48, s47, 1
	s_add_i32 s49, s4, 0
	s_mov_b64 s[4:5], src_shared_base
	s_ashr_i32 s41, s10, 31
	s_cmp_lt_u32 s35, s48
	s_mul_i32 s4, s47, s37
	s_cselect_b64 s[28:29], -1, 0
	s_sub_i32 s51, s38, s4
	s_cmp_lt_u32 s34, s48
	s_cselect_b64 s[30:31], -1, 0
	s_ashr_i32 s53, s11, 31
	s_mov_b32 s40, s10
	s_add_u32 s55, s6, 4
	s_addc_u32 s56, s7, 0
	s_lshl_b64 s[6:7], s[40:41], 3
	v_and_b32_e32 v0, 0x3ff, v41
	v_bfe_u32 v1, v41, 10, 10
	s_add_u32 s57, s8, s6
	s_addc_u32 s58, s9, s7
	v_mad_u64_u32 v[2:3], s[6:7], v1, s37, v[0:1]
	v_mad_u32_u24 v6, v1, s19, v0
	s_mul_i32 s52, s36, s19
	s_mul_i32 s6, s37, s36
	s_mov_b32 s25, 0
	s_mov_b32 s50, s5
	v_cmp_gt_u32_e64 s[4:5], s46, v6
	s_mov_b32 s54, s11
	v_lshl_add_u32 v7, v6, 3, s49
	s_lshl_b32 s59, s52, 3
	s_mul_i32 s60, s34, s37
	s_mul_i32 s61, s17, s37
	v_lshl_add_u32 v8, v2, 3, 0
	s_lshl_b32 s62, s6, 3
	s_lshl_b32 s63, s19, 3
	v_lshl_add_u32 v9, v0, 3, 0
	s_lshl_b32 s64, s37, 3
	v_mov_b32_e32 v3, 0
	s_branch .LBB49_6
.LBB49_5:                               ;   in Loop: Header=BB49_6 Depth=1
	s_add_i32 s26, s26, s18
	s_cmp_lt_u32 s26, s33
	s_cbranch_scc0 .LBB49_35
.LBB49_6:                               ; =>This Loop Header: Depth=1
                                        ;     Child Loop BB49_10 Depth 2
                                        ;       Child Loop BB49_13 Depth 3
                                        ;       Child Loop BB49_19 Depth 3
                                        ;         Child Loop BB49_23 Depth 4
                                        ;           Child Loop BB49_25 Depth 5
                                        ;         Child Loop BB49_29 Depth 4
                                        ;           Child Loop BB49_32 Depth 5
                                        ;             Child Loop BB49_34 Depth 6
	s_mov_b32 s27, s25
	s_lshl_b64 s[6:7], s[26:27], 2
	s_add_u32 s6, s55, s6
	s_addc_u32 s7, s56, s7
	global_load_dword v2, v3, s[6:7]
	s_waitcnt vmcnt(0)
	v_cmp_ne_u32_e32 vcc, 0, v2
	s_cbranch_vccnz .LBB49_5
; %bb.7:                                ;   in Loop: Header=BB49_6 Depth=1
	s_andn2_b64 vcc, exec, s[28:29]
	s_cbranch_vccnz .LBB49_5
; %bb.8:                                ;   in Loop: Header=BB49_6 Depth=1
	s_mul_i32 s6, s26, s13
	s_mul_hi_u32 s7, s26, s12
	s_add_i32 s7, s7, s6
	s_mul_i32 s6, s26, s12
	s_lshl_b64 s[6:7], s[6:7], 3
	s_add_u32 s27, s57, s6
	s_addc_u32 s65, s58, s7
	s_mul_i32 s66, s26, s48
	s_mov_b32 s67, s35
	s_branch .LBB49_10
.LBB49_9:                               ;   in Loop: Header=BB49_10 Depth=2
	s_add_i32 s67, s67, s16
	s_cmp_ge_u32 s67, s48
	s_cbranch_scc1 .LBB49_5
.LBB49_10:                              ;   Parent Loop BB49_6 Depth=1
                                        ; =>  This Loop Header: Depth=2
                                        ;       Child Loop BB49_13 Depth 3
                                        ;       Child Loop BB49_19 Depth 3
                                        ;         Child Loop BB49_23 Depth 4
                                        ;           Child Loop BB49_25 Depth 5
                                        ;         Child Loop BB49_29 Depth 4
                                        ;           Child Loop BB49_32 Depth 5
                                        ;             Child Loop BB49_34 Depth 6
	s_add_i32 s6, s67, s66
	s_mul_i32 s24, s6, s46
	s_lshl_b64 s[6:7], s[24:25], 3
	s_add_u32 s10, s14, s6
	s_addc_u32 s11, s15, s7
	s_andn2_b64 vcc, exec, s[20:21]
	s_cbranch_vccnz .LBB49_15
; %bb.11:                               ;   in Loop: Header=BB49_10 Depth=2
	s_barrier
	s_and_saveexec_b64 s[6:7], s[4:5]
	s_cbranch_execz .LBB49_14
; %bb.12:                               ;   in Loop: Header=BB49_10 Depth=2
	s_mov_b64 s[8:9], 0
	v_mov_b32_e32 v4, s11
	v_mov_b32_e32 v5, v7
	;; [unrolled: 1-line block ×3, first 2 shown]
.LBB49_13:                              ;   Parent Loop BB49_6 Depth=1
                                        ;     Parent Loop BB49_10 Depth=2
                                        ; =>    This Inner Loop Header: Depth=3
	v_lshlrev_b64 v[10:11], 3, v[2:3]
	v_add_co_u32_e32 v10, vcc, s10, v10
	v_addc_co_u32_e32 v11, vcc, v4, v11, vcc
	global_load_dwordx2 v[10:11], v[10:11], off
	v_add_u32_e32 v2, s52, v2
	v_cmp_le_u32_e32 vcc, s46, v2
	s_or_b64 s[8:9], vcc, s[8:9]
	s_waitcnt vmcnt(0)
	ds_write_b64 v5, v[10:11]
	v_add_u32_e32 v5, s59, v5
	s_andn2_b64 exec, exec, s[8:9]
	s_cbranch_execnz .LBB49_13
.LBB49_14:                              ;   in Loop: Header=BB49_10 Depth=2
	s_or_b64 exec, exec, s[6:7]
	s_waitcnt lgkmcnt(0)
	s_barrier
.LBB49_15:                              ;   in Loop: Header=BB49_10 Depth=2
	s_andn2_b64 vcc, exec, s[30:31]
	s_cbranch_vccnz .LBB49_9
; %bb.16:                               ;   in Loop: Header=BB49_10 Depth=2
	s_and_b64 s[6:7], s[20:21], exec
	s_cselect_b32 s8, s50, s11
	s_cselect_b32 s24, s49, s10
	s_cmp_eq_u32 s47, s67
	s_cselect_b32 s68, s51, s37
	s_cmp_gt_i32 s68, 0
	s_mul_i32 s69, s67, s37
	v_cmp_gt_u32_e64 s[6:7], s68, v1
	s_cselect_b64 s[10:11], -1, 0
	v_mov_b32_e32 v10, s8
	s_mov_b32 s70, s60
	s_mov_b32 s71, s34
	s_branch .LBB49_19
.LBB49_17:                              ;   in Loop: Header=BB49_19 Depth=3
	s_or_b64 exec, exec, s[38:39]
	s_barrier
.LBB49_18:                              ;   in Loop: Header=BB49_19 Depth=3
	s_add_i32 s71, s71, s17
	s_add_i32 s70, s70, s61
	s_cmp_ge_u32 s71, s48
	s_cbranch_scc1 .LBB49_9
.LBB49_19:                              ;   Parent Loop BB49_6 Depth=1
                                        ;     Parent Loop BB49_10 Depth=2
                                        ; =>    This Loop Header: Depth=3
                                        ;         Child Loop BB49_23 Depth 4
                                        ;           Child Loop BB49_25 Depth 5
                                        ;         Child Loop BB49_29 Depth 4
                                        ;           Child Loop BB49_32 Depth 5
                                        ;             Child Loop BB49_34 Depth 6
	s_cmp_eq_u32 s67, s71
	s_cselect_b64 s[8:9], -1, 0
	s_and_b64 s[8:9], s[8:9], s[22:23]
	s_and_b64 vcc, exec, s[8:9]
	s_cbranch_vccnz .LBB49_18
; %bb.20:                               ;   in Loop: Header=BB49_19 Depth=3
	s_cmp_eq_u32 s47, s71
	s_cselect_b32 s72, s51, s37
	s_barrier
	s_and_saveexec_b64 s[38:39], s[6:7]
	s_cbranch_execz .LBB49_26
; %bb.21:                               ;   in Loop: Header=BB49_19 Depth=3
	v_cmp_gt_u32_e32 vcc, s72, v0
	s_mov_b64 s[40:41], 0
	v_mov_b32_e32 v4, v8
	v_mov_b32_e32 v5, v1
	s_branch .LBB49_23
.LBB49_22:                              ;   in Loop: Header=BB49_23 Depth=4
	s_or_b64 exec, exec, s[42:43]
	v_add_u32_e32 v5, s36, v5
	v_cmp_le_u32_e64 s[8:9], s68, v5
	s_or_b64 s[40:41], s[8:9], s[40:41]
	v_add_u32_e32 v4, s62, v4
	s_andn2_b64 exec, exec, s[40:41]
	s_cbranch_execz .LBB49_26
.LBB49_23:                              ;   Parent Loop BB49_6 Depth=1
                                        ;     Parent Loop BB49_10 Depth=2
                                        ;       Parent Loop BB49_19 Depth=3
                                        ; =>      This Loop Header: Depth=4
                                        ;           Child Loop BB49_25 Depth 5
	s_and_saveexec_b64 s[42:43], vcc
	s_cbranch_execz .LBB49_22
; %bb.24:                               ;   in Loop: Header=BB49_23 Depth=4
	v_add_u32_e32 v11, s69, v5
	v_mad_u64_u32 v[12:13], s[8:9], v11, s54, 0
	v_mov_b32_e32 v2, v13
	v_mad_u64_u32 v[14:15], s[8:9], v11, s53, v[2:3]
	v_mov_b32_e32 v13, v14
	v_lshlrev_b64 v[12:13], 3, v[12:13]
	v_mov_b32_e32 v2, s65
	v_add_co_u32_e64 v11, s[8:9], s27, v12
	v_addc_co_u32_e64 v12, s[8:9], v2, v13, s[8:9]
	s_mov_b64 s[44:45], 0
	v_mov_b32_e32 v13, v4
	v_mov_b32_e32 v14, v0
.LBB49_25:                              ;   Parent Loop BB49_6 Depth=1
                                        ;     Parent Loop BB49_10 Depth=2
                                        ;       Parent Loop BB49_19 Depth=3
                                        ;         Parent Loop BB49_23 Depth=4
                                        ; =>        This Inner Loop Header: Depth=5
	v_add_u32_e32 v2, s70, v14
	v_lshlrev_b64 v[16:17], 3, v[2:3]
	v_add_co_u32_e64 v16, s[8:9], v11, v16
	v_addc_co_u32_e64 v17, s[8:9], v12, v17, s[8:9]
	global_load_dwordx2 v[16:17], v[16:17], off
	v_add_u32_e32 v14, s19, v14
	v_cmp_le_u32_e64 s[8:9], s72, v14
	s_or_b64 s[44:45], s[8:9], s[44:45]
	s_waitcnt vmcnt(0)
	ds_write_b64 v13, v[16:17]
	v_add_u32_e32 v13, s63, v13
	s_andn2_b64 exec, exec, s[44:45]
	s_cbranch_execnz .LBB49_25
	s_branch .LBB49_22
.LBB49_26:                              ;   in Loop: Header=BB49_19 Depth=3
	s_or_b64 exec, exec, s[38:39]
	s_waitcnt lgkmcnt(0)
	s_barrier
	s_and_saveexec_b64 s[38:39], s[6:7]
	s_cbranch_execz .LBB49_17
; %bb.27:                               ;   in Loop: Header=BB49_19 Depth=3
	s_mul_i32 s73, s71, s37
	v_cmp_gt_u32_e64 s[8:9], s72, v0
	s_mov_b64 s[40:41], 0
	v_mov_b32_e32 v11, v1
	s_branch .LBB49_29
.LBB49_28:                              ;   in Loop: Header=BB49_29 Depth=4
	s_or_b64 exec, exec, s[42:43]
	v_add_u32_e32 v11, s36, v11
	v_cmp_le_u32_e32 vcc, s68, v11
	s_or_b64 s[40:41], vcc, s[40:41]
	s_andn2_b64 exec, exec, s[40:41]
	s_cbranch_execz .LBB49_17
.LBB49_29:                              ;   Parent Loop BB49_6 Depth=1
                                        ;     Parent Loop BB49_10 Depth=2
                                        ;       Parent Loop BB49_19 Depth=3
                                        ; =>      This Loop Header: Depth=4
                                        ;           Child Loop BB49_32 Depth 5
                                        ;             Child Loop BB49_34 Depth 6
	s_and_saveexec_b64 s[42:43], s[8:9]
	s_cbranch_execz .LBB49_28
; %bb.30:                               ;   in Loop: Header=BB49_29 Depth=4
	v_add_u32_e32 v12, s69, v11
	v_mad_u64_u32 v[4:5], s[44:45], v12, s54, 0
	v_mov_b32_e32 v2, v5
	v_mad_u64_u32 v[12:13], s[44:45], v12, s53, v[2:3]
	v_mov_b32_e32 v5, v12
	v_lshlrev_b64 v[4:5], 3, v[4:5]
	v_mov_b32_e32 v2, s65
	v_add_co_u32_e32 v12, vcc, s27, v4
	v_addc_co_u32_e32 v13, vcc, v2, v5, vcc
	s_mov_b64 s[44:45], 0
	v_mov_b32_e32 v14, v9
	v_mov_b32_e32 v15, v0
	s_branch .LBB49_32
.LBB49_31:                              ;   in Loop: Header=BB49_32 Depth=5
	v_add_u32_e32 v2, s73, v15
	v_lshlrev_b64 v[16:17], 3, v[2:3]
	v_add_co_u32_e32 v16, vcc, v12, v16
	v_addc_co_u32_e32 v17, vcc, v13, v17, vcc
	v_add_u32_e32 v15, s19, v15
	v_cmp_le_u32_e32 vcc, s72, v15
	s_or_b64 s[44:45], vcc, s[44:45]
	v_add_u32_e32 v14, s63, v14
	global_store_dwordx2 v[16:17], v[4:5], off
	s_andn2_b64 exec, exec, s[44:45]
	s_cbranch_execz .LBB49_28
.LBB49_32:                              ;   Parent Loop BB49_6 Depth=1
                                        ;     Parent Loop BB49_10 Depth=2
                                        ;       Parent Loop BB49_19 Depth=3
                                        ;         Parent Loop BB49_29 Depth=4
                                        ; =>        This Loop Header: Depth=5
                                        ;             Child Loop BB49_34 Depth 6
	v_pk_mov_b32 v[4:5], 0, 0
	s_andn2_b64 vcc, exec, s[10:11]
	s_cbranch_vccnz .LBB49_31
; %bb.33:                               ;   in Loop: Header=BB49_32 Depth=5
	v_mov_b32_e32 v16, v14
	v_mov_b32_e32 v2, v11
	s_mov_b32 s74, s68
.LBB49_34:                              ;   Parent Loop BB49_6 Depth=1
                                        ;     Parent Loop BB49_10 Depth=2
                                        ;       Parent Loop BB49_19 Depth=3
                                        ;         Parent Loop BB49_29 Depth=4
                                        ;           Parent Loop BB49_32 Depth=5
                                        ; =>          This Inner Loop Header: Depth=6
	v_lshlrev_b64 v[18:19], 3, v[2:3]
	v_add_co_u32_e32 v18, vcc, s24, v18
	v_addc_co_u32_e32 v19, vcc, v10, v19, vcc
	flat_load_dwordx2 v[18:19], v[18:19]
	ds_read_b64 v[20:21], v16
	s_add_i32 s74, s74, -1
	v_add_u32_e32 v2, s37, v2
	v_add_u32_e32 v16, s64, v16
	s_cmp_eq_u32 s74, 0
	s_waitcnt vmcnt(0) lgkmcnt(0)
	v_fmac_f64_e32 v[4:5], v[20:21], v[18:19]
	s_cbranch_scc0 .LBB49_34
	s_branch .LBB49_31
.LBB49_35:
	s_endpgm
	.section	.rodata,"a",@progbits
	.p2align	6, 0x0
	.amdhsa_kernel _ZN9rocsolver6v33100L17syevj_diag_rotateILb0EddPdEEvbiiT2_iilPT0_Pii
		.amdhsa_group_segment_fixed_size 0
		.amdhsa_private_segment_fixed_size 64
		.amdhsa_kernarg_size 320
		.amdhsa_user_sgpr_count 8
		.amdhsa_user_sgpr_private_segment_buffer 1
		.amdhsa_user_sgpr_dispatch_ptr 0
		.amdhsa_user_sgpr_queue_ptr 0
		.amdhsa_user_sgpr_kernarg_segment_ptr 1
		.amdhsa_user_sgpr_dispatch_id 0
		.amdhsa_user_sgpr_flat_scratch_init 1
		.amdhsa_user_sgpr_kernarg_preload_length 0
		.amdhsa_user_sgpr_kernarg_preload_offset 0
		.amdhsa_user_sgpr_private_segment_size 0
		.amdhsa_uses_dynamic_stack 0
		.amdhsa_system_sgpr_private_segment_wavefront_offset 1
		.amdhsa_system_sgpr_workgroup_id_x 1
		.amdhsa_system_sgpr_workgroup_id_y 1
		.amdhsa_system_sgpr_workgroup_id_z 1
		.amdhsa_system_sgpr_workgroup_info 0
		.amdhsa_system_vgpr_workitem_id 1
		.amdhsa_next_free_vgpr 42
		.amdhsa_next_free_sgpr 75
		.amdhsa_accum_offset 44
		.amdhsa_reserve_vcc 1
		.amdhsa_reserve_flat_scratch 1
		.amdhsa_float_round_mode_32 0
		.amdhsa_float_round_mode_16_64 0
		.amdhsa_float_denorm_mode_32 3
		.amdhsa_float_denorm_mode_16_64 3
		.amdhsa_dx10_clamp 1
		.amdhsa_ieee_mode 1
		.amdhsa_fp16_overflow 0
		.amdhsa_tg_split 0
		.amdhsa_exception_fp_ieee_invalid_op 0
		.amdhsa_exception_fp_denorm_src 0
		.amdhsa_exception_fp_ieee_div_zero 0
		.amdhsa_exception_fp_ieee_overflow 0
		.amdhsa_exception_fp_ieee_underflow 0
		.amdhsa_exception_fp_ieee_inexact 0
		.amdhsa_exception_int_div_zero 0
	.end_amdhsa_kernel
	.section	.text._ZN9rocsolver6v33100L17syevj_diag_rotateILb0EddPdEEvbiiT2_iilPT0_Pii,"axG",@progbits,_ZN9rocsolver6v33100L17syevj_diag_rotateILb0EddPdEEvbiiT2_iilPT0_Pii,comdat
.Lfunc_end49:
	.size	_ZN9rocsolver6v33100L17syevj_diag_rotateILb0EddPdEEvbiiT2_iilPT0_Pii, .Lfunc_end49-_ZN9rocsolver6v33100L17syevj_diag_rotateILb0EddPdEEvbiiT2_iilPT0_Pii
                                        ; -- End function
	.section	.AMDGPU.csdata,"",@progbits
; Kernel info:
; codeLenInByte = 1380
; NumSgprs: 81
; NumVgprs: 42
; NumAgprs: 0
; TotalNumVgprs: 42
; ScratchSize: 64
; MemoryBound: 0
; FloatMode: 240
; IeeeMode: 1
; LDSByteSize: 0 bytes/workgroup (compile time only)
; SGPRBlocks: 10
; VGPRBlocks: 5
; NumSGPRsForWavesPerEU: 81
; NumVGPRsForWavesPerEU: 42
; AccumOffset: 44
; Occupancy: 8
; WaveLimiterHint : 1
; COMPUTE_PGM_RSRC2:SCRATCH_EN: 1
; COMPUTE_PGM_RSRC2:USER_SGPR: 8
; COMPUTE_PGM_RSRC2:TRAP_HANDLER: 0
; COMPUTE_PGM_RSRC2:TGID_X_EN: 1
; COMPUTE_PGM_RSRC2:TGID_Y_EN: 1
; COMPUTE_PGM_RSRC2:TGID_Z_EN: 1
; COMPUTE_PGM_RSRC2:TIDIG_COMP_CNT: 1
; COMPUTE_PGM_RSRC3_GFX90A:ACCUM_OFFSET: 10
; COMPUTE_PGM_RSRC3_GFX90A:TG_SPLIT: 0
	.section	.text._ZN9rocsolver6v33100L17syevj_diag_rotateILb1EddPdEEvbiiT2_iilPT0_Pii,"axG",@progbits,_ZN9rocsolver6v33100L17syevj_diag_rotateILb1EddPdEEvbiiT2_iilPT0_Pii,comdat
	.globl	_ZN9rocsolver6v33100L17syevj_diag_rotateILb1EddPdEEvbiiT2_iilPT0_Pii ; -- Begin function _ZN9rocsolver6v33100L17syevj_diag_rotateILb1EddPdEEvbiiT2_iilPT0_Pii
	.p2align	8
	.type	_ZN9rocsolver6v33100L17syevj_diag_rotateILb1EddPdEEvbiiT2_iilPT0_Pii,@function
_ZN9rocsolver6v33100L17syevj_diag_rotateILb1EddPdEEvbiiT2_iilPT0_Pii: ; @_ZN9rocsolver6v33100L17syevj_diag_rotateILb1EddPdEEvbiiT2_iilPT0_Pii
; %bb.0:
	s_load_dwordx4 s[36:39], s[4:5], 0x0
	s_add_u32 flat_scratch_lo, s6, s11
	s_addc_u32 flat_scratch_hi, s7, 0
	s_add_u32 s0, s0, s11
	s_addc_u32 s1, s1, 0
	s_waitcnt lgkmcnt(0)
	s_abs_i32 s27, s37
	v_mov_b32_e32 v41, v0
	v_cvt_f32_u32_e32 v0, s27
	s_mul_i32 s46, s37, s37
	s_mov_b32 s26, s10
	s_mov_b64 s[28:29], s[4:5]
	v_rcp_iflag_f32_e32 v0, v0
	s_mov_b32 s34, s9
	s_mov_b32 s35, s8
	s_cmpk_lt_u32 s46, 0x2001
	v_mul_f32_e32 v0, 0x4f7ffffe, v0
	v_cvt_u32_f32_e32 v0, v0
	s_mov_b64 s[4:5], -1
	s_mov_b32 s32, 0
	v_readfirstlane_b32 s39, v0
	s_cbranch_scc1 .LBB50_2
; %bb.1:
	s_add_u32 s8, s28, 64
	s_addc_u32 s9, s29, 0
	s_getpc_b64 s[4:5]
	s_add_u32 s4, s4, __PRETTY_FUNCTION__._ZN9rocsolver6v33100L17syevj_diag_rotateILb1EddPdEEvbiiT2_iilPT0_Pii@rel32@lo+4
	s_addc_u32 s5, s5, __PRETTY_FUNCTION__._ZN9rocsolver6v33100L17syevj_diag_rotateILb1EddPdEEvbiiT2_iilPT0_Pii@rel32@hi+12
	v_mov_b32_e32 v0, s4
	v_mov_b32_e32 v1, s5
	s_getpc_b64 s[6:7]
	s_add_u32 s6, s6, __assert_fail@rel32@lo+4
	s_addc_u32 s7, s7, __assert_fail@rel32@hi+12
	s_swappc_b64 s[30:31], s[6:7]
	s_mov_b64 s[4:5], 0
	; divergent unreachable
.LBB50_2:
	s_andn2_b64 vcc, exec, s[4:5]
	s_cbranch_vccnz .LBB50_35
; %bb.3:
	s_load_dword s33, s[28:29], 0x38
	s_waitcnt lgkmcnt(0)
	s_cmp_ge_u32 s26, s33
	s_cbranch_scc1 .LBB50_35
; %bb.4:
	s_sub_i32 s4, 0, s27
	s_mul_i32 s4, s4, s39
	s_add_i32 s5, s38, -1
	s_mul_hi_u32 s4, s39, s4
	s_abs_i32 s24, s5
	s_add_i32 s39, s39, s4
	s_ashr_i32 s5, s5, 31
	s_ashr_i32 s25, s37, 31
	s_load_dwordx4 s[16:19], s[28:29], 0x40
	s_cmpk_lt_u32 s46, 0x1001
	s_mul_hi_u32 s4, s24, s39
	s_cselect_b64 s[20:21], -1, 0
	s_bitcmp1_b32 s36, 0
	s_cselect_b64 s[22:23], -1, 0
	s_xor_b32 s5, s5, s25
	s_mul_i32 s25, s4, s27
	s_sub_i32 s24, s24, s25
	s_load_dwordx8 s[8:15], s[28:29], 0x10
	s_load_dwordx2 s[6:7], s[28:29], 0x30
	s_waitcnt lgkmcnt(0)
	s_lshr_b32 s36, s19, 16
	s_and_b32 s19, s19, 0xffff
	s_add_i32 s25, s4, 1
	s_sub_i32 s28, s24, s27
	s_cmp_ge_u32 s24, s27
	s_cselect_b32 s4, s25, s4
	s_cselect_b32 s24, s28, s24
	s_add_i32 s25, s4, 1
	s_cmp_ge_u32 s24, s27
	s_cselect_b32 s4, s25, s4
	s_xor_b32 s4, s4, s5
	s_sub_i32 s47, s4, s5
	s_lshl_b32 s4, s46, 3
	s_add_i32 s48, s47, 1
	s_add_i32 s49, s4, 0
	s_mov_b64 s[4:5], src_shared_base
	s_ashr_i32 s41, s10, 31
	s_cmp_lt_u32 s35, s48
	s_mul_i32 s4, s47, s37
	s_cselect_b64 s[28:29], -1, 0
	s_sub_i32 s51, s38, s4
	s_cmp_lt_u32 s34, s48
	s_cselect_b64 s[30:31], -1, 0
	s_ashr_i32 s53, s11, 31
	v_bfe_u32 v5, v41, 10, 10
	s_mov_b32 s40, s10
	s_add_u32 s55, s6, 4
	v_and_b32_e32 v4, 0x3ff, v41
	s_addc_u32 s56, s7, 0
	s_lshl_b64 s[6:7], s[40:41], 3
	v_mul_lo_u32 v0, v5, s37
	v_mad_u32_u24 v6, v5, s19, v4
	s_mul_i32 s52, s36, s19
	s_add_u32 s57, s8, s6
	v_add_u32_e32 v1, v4, v0
	s_mul_i32 s6, s37, s36
	s_mov_b32 s25, 0
	s_mov_b32 s50, s5
	v_cmp_gt_u32_e64 s[4:5], s46, v6
	s_mov_b32 s54, s11
	s_addc_u32 s58, s9, s7
	v_lshl_add_u32 v7, v6, 3, s49
	s_lshl_b32 s59, s52, 3
	s_mul_i32 s60, s35, s37
	s_mul_i32 s61, s16, s37
	v_lshl_add_u32 v8, v1, 3, 0
	s_lshl_b32 s62, s6, 3
	s_lshl_b32 s63, s19, 3
	v_lshl_add_u32 v9, v0, 3, 0
	v_mov_b32_e32 v1, 0
	s_branch .LBB50_6
.LBB50_5:                               ;   in Loop: Header=BB50_6 Depth=1
	s_add_i32 s26, s26, s18
	s_cmp_lt_u32 s26, s33
	s_cbranch_scc0 .LBB50_35
.LBB50_6:                               ; =>This Loop Header: Depth=1
                                        ;     Child Loop BB50_10 Depth 2
                                        ;       Child Loop BB50_13 Depth 3
                                        ;       Child Loop BB50_19 Depth 3
                                        ;         Child Loop BB50_23 Depth 4
                                        ;           Child Loop BB50_25 Depth 5
                                        ;         Child Loop BB50_29 Depth 4
                                        ;           Child Loop BB50_32 Depth 5
                                        ;             Child Loop BB50_34 Depth 6
	s_mov_b32 s27, s25
	s_lshl_b64 s[6:7], s[26:27], 2
	s_add_u32 s6, s55, s6
	s_addc_u32 s7, s56, s7
	global_load_dword v0, v1, s[6:7]
	s_waitcnt vmcnt(0)
	v_cmp_ne_u32_e32 vcc, 0, v0
	s_cbranch_vccnz .LBB50_5
; %bb.7:                                ;   in Loop: Header=BB50_6 Depth=1
	s_andn2_b64 vcc, exec, s[28:29]
	s_cbranch_vccnz .LBB50_5
; %bb.8:                                ;   in Loop: Header=BB50_6 Depth=1
	s_mul_i32 s6, s26, s13
	s_mul_hi_u32 s7, s26, s12
	s_add_i32 s7, s7, s6
	s_mul_i32 s6, s26, s12
	s_lshl_b64 s[6:7], s[6:7], 3
	s_add_u32 s27, s57, s6
	s_addc_u32 s64, s58, s7
	s_mul_i32 s65, s26, s48
	s_mov_b32 s66, s60
	s_mov_b32 s67, s35
	s_branch .LBB50_10
.LBB50_9:                               ;   in Loop: Header=BB50_10 Depth=2
	s_add_i32 s67, s67, s16
	s_add_i32 s66, s66, s61
	s_cmp_ge_u32 s67, s48
	s_cbranch_scc1 .LBB50_5
.LBB50_10:                              ;   Parent Loop BB50_6 Depth=1
                                        ; =>  This Loop Header: Depth=2
                                        ;       Child Loop BB50_13 Depth 3
                                        ;       Child Loop BB50_19 Depth 3
                                        ;         Child Loop BB50_23 Depth 4
                                        ;           Child Loop BB50_25 Depth 5
                                        ;         Child Loop BB50_29 Depth 4
                                        ;           Child Loop BB50_32 Depth 5
                                        ;             Child Loop BB50_34 Depth 6
	s_add_i32 s6, s67, s65
	s_mul_i32 s24, s6, s46
	s_lshl_b64 s[6:7], s[24:25], 3
	s_add_u32 s10, s14, s6
	s_addc_u32 s11, s15, s7
	s_andn2_b64 vcc, exec, s[20:21]
	s_cbranch_vccnz .LBB50_15
; %bb.11:                               ;   in Loop: Header=BB50_10 Depth=2
	s_barrier
	s_and_saveexec_b64 s[6:7], s[4:5]
	s_cbranch_execz .LBB50_14
; %bb.12:                               ;   in Loop: Header=BB50_10 Depth=2
	s_mov_b64 s[8:9], 0
	v_mov_b32_e32 v2, s11
	v_mov_b32_e32 v3, v7
	;; [unrolled: 1-line block ×3, first 2 shown]
.LBB50_13:                              ;   Parent Loop BB50_6 Depth=1
                                        ;     Parent Loop BB50_10 Depth=2
                                        ; =>    This Inner Loop Header: Depth=3
	v_lshlrev_b64 v[10:11], 3, v[0:1]
	v_add_co_u32_e32 v10, vcc, s10, v10
	v_addc_co_u32_e32 v11, vcc, v2, v11, vcc
	global_load_dwordx2 v[10:11], v[10:11], off
	v_add_u32_e32 v0, s52, v0
	v_cmp_le_u32_e32 vcc, s46, v0
	s_or_b64 s[8:9], vcc, s[8:9]
	s_waitcnt vmcnt(0)
	ds_write_b64 v3, v[10:11]
	v_add_u32_e32 v3, s59, v3
	s_andn2_b64 exec, exec, s[8:9]
	s_cbranch_execnz .LBB50_13
.LBB50_14:                              ;   in Loop: Header=BB50_10 Depth=2
	s_or_b64 exec, exec, s[6:7]
	s_waitcnt lgkmcnt(0)
	s_barrier
.LBB50_15:                              ;   in Loop: Header=BB50_10 Depth=2
	s_andn2_b64 vcc, exec, s[30:31]
	s_cbranch_vccnz .LBB50_9
; %bb.16:                               ;   in Loop: Header=BB50_10 Depth=2
	s_and_b64 s[6:7], s[20:21], exec
	s_cselect_b32 s24, s50, s11
	s_cselect_b32 s68, s49, s10
	s_cmp_eq_u32 s47, s67
	s_cselect_b32 s69, s51, s37
	s_cmp_gt_i32 s69, 0
	s_mul_i32 s70, s67, s37
	v_cmp_gt_u32_e64 s[6:7], s69, v4
	s_cselect_b64 s[10:11], -1, 0
	s_mov_b32 s71, s34
	s_branch .LBB50_19
.LBB50_17:                              ;   in Loop: Header=BB50_19 Depth=3
	s_or_b64 exec, exec, s[8:9]
	s_barrier
.LBB50_18:                              ;   in Loop: Header=BB50_19 Depth=3
	s_add_i32 s71, s71, s17
	s_cmp_ge_u32 s71, s48
	s_cbranch_scc1 .LBB50_9
.LBB50_19:                              ;   Parent Loop BB50_6 Depth=1
                                        ;     Parent Loop BB50_10 Depth=2
                                        ; =>    This Loop Header: Depth=3
                                        ;         Child Loop BB50_23 Depth 4
                                        ;           Child Loop BB50_25 Depth 5
                                        ;         Child Loop BB50_29 Depth 4
                                        ;           Child Loop BB50_32 Depth 5
                                        ;             Child Loop BB50_34 Depth 6
	s_cmp_eq_u32 s67, s71
	s_cselect_b64 s[8:9], -1, 0
	s_and_b64 s[8:9], s[8:9], s[22:23]
	s_and_b64 vcc, exec, s[8:9]
	s_cbranch_vccnz .LBB50_18
; %bb.20:                               ;   in Loop: Header=BB50_19 Depth=3
	s_cmp_eq_u32 s47, s71
	s_cselect_b32 s73, s51, s37
	s_mul_i32 s72, s71, s37
	v_cmp_gt_u32_e32 vcc, s73, v5
	s_barrier
	s_and_saveexec_b64 s[38:39], vcc
	s_cbranch_execz .LBB50_26
; %bb.21:                               ;   in Loop: Header=BB50_19 Depth=3
	s_mov_b64 s[40:41], 0
	v_mov_b32_e32 v2, v8
	v_mov_b32_e32 v3, v5
	s_branch .LBB50_23
.LBB50_22:                              ;   in Loop: Header=BB50_23 Depth=4
	s_or_b64 exec, exec, s[42:43]
	v_add_u32_e32 v3, s36, v3
	v_cmp_le_u32_e64 s[8:9], s73, v3
	s_or_b64 s[40:41], s[8:9], s[40:41]
	v_add_u32_e32 v2, s62, v2
	s_andn2_b64 exec, exec, s[40:41]
	s_cbranch_execz .LBB50_26
.LBB50_23:                              ;   Parent Loop BB50_6 Depth=1
                                        ;     Parent Loop BB50_10 Depth=2
                                        ;       Parent Loop BB50_19 Depth=3
                                        ; =>      This Loop Header: Depth=4
                                        ;           Child Loop BB50_25 Depth 5
	s_and_saveexec_b64 s[42:43], s[6:7]
	s_cbranch_execz .LBB50_22
; %bb.24:                               ;   in Loop: Header=BB50_23 Depth=4
	v_add_u32_e32 v12, s72, v3
	v_mad_u64_u32 v[10:11], s[8:9], v12, s54, 0
	v_mov_b32_e32 v0, v11
	v_mad_u64_u32 v[12:13], s[8:9], v12, s53, v[0:1]
	v_mov_b32_e32 v11, v12
	v_lshlrev_b64 v[10:11], 3, v[10:11]
	v_mov_b32_e32 v0, s64
	v_add_co_u32_e64 v10, s[8:9], s27, v10
	v_addc_co_u32_e64 v11, s[8:9], v0, v11, s[8:9]
	s_mov_b64 s[44:45], 0
	v_mov_b32_e32 v12, v2
	v_mov_b32_e32 v13, v4
.LBB50_25:                              ;   Parent Loop BB50_6 Depth=1
                                        ;     Parent Loop BB50_10 Depth=2
                                        ;       Parent Loop BB50_19 Depth=3
                                        ;         Parent Loop BB50_23 Depth=4
                                        ; =>        This Inner Loop Header: Depth=5
	v_add_u32_e32 v0, s66, v13
	v_lshlrev_b64 v[14:15], 3, v[0:1]
	v_add_co_u32_e64 v14, s[8:9], v10, v14
	v_addc_co_u32_e64 v15, s[8:9], v11, v15, s[8:9]
	global_load_dwordx2 v[14:15], v[14:15], off
	v_add_u32_e32 v13, s19, v13
	v_cmp_le_u32_e64 s[8:9], s69, v13
	s_or_b64 s[44:45], s[8:9], s[44:45]
	s_waitcnt vmcnt(0)
	ds_write_b64 v12, v[14:15]
	v_add_u32_e32 v12, s63, v12
	s_andn2_b64 exec, exec, s[44:45]
	s_cbranch_execnz .LBB50_25
	s_branch .LBB50_22
.LBB50_26:                              ;   in Loop: Header=BB50_19 Depth=3
	s_or_b64 exec, exec, s[38:39]
	s_waitcnt lgkmcnt(0)
	s_barrier
	s_and_saveexec_b64 s[8:9], vcc
	s_cbranch_execz .LBB50_17
; %bb.27:                               ;   in Loop: Header=BB50_19 Depth=3
	s_mov_b64 s[38:39], 0
	v_mov_b32_e32 v10, v9
	v_mov_b32_e32 v11, v5
	s_branch .LBB50_29
.LBB50_28:                              ;   in Loop: Header=BB50_29 Depth=4
	s_or_b64 exec, exec, s[40:41]
	v_add_u32_e32 v11, s36, v11
	v_cmp_le_u32_e32 vcc, s73, v11
	s_or_b64 s[38:39], vcc, s[38:39]
	v_add_u32_e32 v10, s62, v10
	s_andn2_b64 exec, exec, s[38:39]
	s_cbranch_execz .LBB50_17
.LBB50_29:                              ;   Parent Loop BB50_6 Depth=1
                                        ;     Parent Loop BB50_10 Depth=2
                                        ;       Parent Loop BB50_19 Depth=3
                                        ; =>      This Loop Header: Depth=4
                                        ;           Child Loop BB50_32 Depth 5
                                        ;             Child Loop BB50_34 Depth 6
	s_and_saveexec_b64 s[40:41], s[6:7]
	s_cbranch_execz .LBB50_28
; %bb.30:                               ;   in Loop: Header=BB50_29 Depth=4
	v_add_u32_e32 v12, s72, v11
	v_mad_u64_u32 v[2:3], s[42:43], v12, s54, 0
	v_mov_b32_e32 v0, v3
	v_mad_u64_u32 v[12:13], s[42:43], v12, s53, v[0:1]
	v_mov_b32_e32 v3, v12
	v_lshlrev_b64 v[2:3], 3, v[2:3]
	v_mov_b32_e32 v0, s64
	v_add_co_u32_e32 v12, vcc, s27, v2
	v_addc_co_u32_e32 v13, vcc, v0, v3, vcc
	s_mov_b64 s[42:43], 0
	v_mov_b32_e32 v14, v4
	s_branch .LBB50_32
.LBB50_31:                              ;   in Loop: Header=BB50_32 Depth=5
	v_add_u32_e32 v0, s70, v14
	v_lshlrev_b64 v[16:17], 3, v[0:1]
	v_add_co_u32_e32 v16, vcc, v12, v16
	v_addc_co_u32_e32 v17, vcc, v13, v17, vcc
	v_add_u32_e32 v14, s19, v14
	v_cmp_le_u32_e32 vcc, s69, v14
	s_or_b64 s[42:43], vcc, s[42:43]
	global_store_dwordx2 v[16:17], v[2:3], off
	s_andn2_b64 exec, exec, s[42:43]
	s_cbranch_execz .LBB50_28
.LBB50_32:                              ;   Parent Loop BB50_6 Depth=1
                                        ;     Parent Loop BB50_10 Depth=2
                                        ;       Parent Loop BB50_19 Depth=3
                                        ;         Parent Loop BB50_29 Depth=4
                                        ; =>        This Loop Header: Depth=5
                                        ;             Child Loop BB50_34 Depth 6
	v_pk_mov_b32 v[2:3], 0, 0
	s_andn2_b64 vcc, exec, s[10:11]
	s_cbranch_vccnz .LBB50_31
; %bb.33:                               ;   in Loop: Header=BB50_32 Depth=5
	v_mov_b32_e32 v15, v10
	v_mov_b32_e32 v0, v14
	s_mov_b32 s44, s69
.LBB50_34:                              ;   Parent Loop BB50_6 Depth=1
                                        ;     Parent Loop BB50_10 Depth=2
                                        ;       Parent Loop BB50_19 Depth=3
                                        ;         Parent Loop BB50_29 Depth=4
                                        ;           Parent Loop BB50_32 Depth=5
                                        ; =>          This Inner Loop Header: Depth=6
	v_lshlrev_b64 v[16:17], 3, v[0:1]
	v_mov_b32_e32 v18, s24
	v_add_co_u32_e32 v16, vcc, s68, v16
	v_addc_co_u32_e32 v17, vcc, v18, v17, vcc
	flat_load_dwordx2 v[16:17], v[16:17]
	ds_read_b64 v[18:19], v15
	s_add_i32 s44, s44, -1
	v_add_u32_e32 v0, s37, v0
	v_add_u32_e32 v15, 8, v15
	s_cmp_eq_u32 s44, 0
	s_waitcnt vmcnt(0) lgkmcnt(0)
	v_fmac_f64_e32 v[2:3], v[16:17], v[18:19]
	s_cbranch_scc0 .LBB50_34
	s_branch .LBB50_31
.LBB50_35:
	s_endpgm
	.section	.rodata,"a",@progbits
	.p2align	6, 0x0
	.amdhsa_kernel _ZN9rocsolver6v33100L17syevj_diag_rotateILb1EddPdEEvbiiT2_iilPT0_Pii
		.amdhsa_group_segment_fixed_size 0
		.amdhsa_private_segment_fixed_size 64
		.amdhsa_kernarg_size 320
		.amdhsa_user_sgpr_count 8
		.amdhsa_user_sgpr_private_segment_buffer 1
		.amdhsa_user_sgpr_dispatch_ptr 0
		.amdhsa_user_sgpr_queue_ptr 0
		.amdhsa_user_sgpr_kernarg_segment_ptr 1
		.amdhsa_user_sgpr_dispatch_id 0
		.amdhsa_user_sgpr_flat_scratch_init 1
		.amdhsa_user_sgpr_kernarg_preload_length 0
		.amdhsa_user_sgpr_kernarg_preload_offset 0
		.amdhsa_user_sgpr_private_segment_size 0
		.amdhsa_uses_dynamic_stack 0
		.amdhsa_system_sgpr_private_segment_wavefront_offset 1
		.amdhsa_system_sgpr_workgroup_id_x 1
		.amdhsa_system_sgpr_workgroup_id_y 1
		.amdhsa_system_sgpr_workgroup_id_z 1
		.amdhsa_system_sgpr_workgroup_info 0
		.amdhsa_system_vgpr_workitem_id 1
		.amdhsa_next_free_vgpr 42
		.amdhsa_next_free_sgpr 74
		.amdhsa_accum_offset 44
		.amdhsa_reserve_vcc 1
		.amdhsa_reserve_flat_scratch 1
		.amdhsa_float_round_mode_32 0
		.amdhsa_float_round_mode_16_64 0
		.amdhsa_float_denorm_mode_32 3
		.amdhsa_float_denorm_mode_16_64 3
		.amdhsa_dx10_clamp 1
		.amdhsa_ieee_mode 1
		.amdhsa_fp16_overflow 0
		.amdhsa_tg_split 0
		.amdhsa_exception_fp_ieee_invalid_op 0
		.amdhsa_exception_fp_denorm_src 0
		.amdhsa_exception_fp_ieee_div_zero 0
		.amdhsa_exception_fp_ieee_overflow 0
		.amdhsa_exception_fp_ieee_underflow 0
		.amdhsa_exception_fp_ieee_inexact 0
		.amdhsa_exception_int_div_zero 0
	.end_amdhsa_kernel
	.section	.text._ZN9rocsolver6v33100L17syevj_diag_rotateILb1EddPdEEvbiiT2_iilPT0_Pii,"axG",@progbits,_ZN9rocsolver6v33100L17syevj_diag_rotateILb1EddPdEEvbiiT2_iilPT0_Pii,comdat
.Lfunc_end50:
	.size	_ZN9rocsolver6v33100L17syevj_diag_rotateILb1EddPdEEvbiiT2_iilPT0_Pii, .Lfunc_end50-_ZN9rocsolver6v33100L17syevj_diag_rotateILb1EddPdEEvbiiT2_iilPT0_Pii
                                        ; -- End function
	.section	.AMDGPU.csdata,"",@progbits
; Kernel info:
; codeLenInByte = 1372
; NumSgprs: 80
; NumVgprs: 42
; NumAgprs: 0
; TotalNumVgprs: 42
; ScratchSize: 64
; MemoryBound: 0
; FloatMode: 240
; IeeeMode: 1
; LDSByteSize: 0 bytes/workgroup (compile time only)
; SGPRBlocks: 9
; VGPRBlocks: 5
; NumSGPRsForWavesPerEU: 80
; NumVGPRsForWavesPerEU: 42
; AccumOffset: 44
; Occupancy: 8
; WaveLimiterHint : 1
; COMPUTE_PGM_RSRC2:SCRATCH_EN: 1
; COMPUTE_PGM_RSRC2:USER_SGPR: 8
; COMPUTE_PGM_RSRC2:TRAP_HANDLER: 0
; COMPUTE_PGM_RSRC2:TGID_X_EN: 1
; COMPUTE_PGM_RSRC2:TGID_Y_EN: 1
; COMPUTE_PGM_RSRC2:TGID_Z_EN: 1
; COMPUTE_PGM_RSRC2:TIDIG_COMP_CNT: 1
; COMPUTE_PGM_RSRC3_GFX90A:ACCUM_OFFSET: 10
; COMPUTE_PGM_RSRC3_GFX90A:TG_SPLIT: 0
	.section	.text._ZN9rocsolver6v33100L21syevj_offd_kernel_orgIddPdEEviiT1_iilT0_PT_PiS7_S7_,"axG",@progbits,_ZN9rocsolver6v33100L21syevj_offd_kernel_orgIddPdEEviiT1_iilT0_PT_PiS7_S7_,comdat
	.globl	_ZN9rocsolver6v33100L21syevj_offd_kernel_orgIddPdEEviiT1_iilT0_PT_PiS7_S7_ ; -- Begin function _ZN9rocsolver6v33100L21syevj_offd_kernel_orgIddPdEEviiT1_iilT0_PT_PiS7_S7_
	.p2align	8
	.type	_ZN9rocsolver6v33100L21syevj_offd_kernel_orgIddPdEEviiT1_iilT0_PT_PiS7_S7_,@function
_ZN9rocsolver6v33100L21syevj_offd_kernel_orgIddPdEEviiT1_iilT0_PT_PiS7_S7_: ; @_ZN9rocsolver6v33100L21syevj_offd_kernel_orgIddPdEEviiT1_iilT0_PT_PiS7_S7_
; %bb.0:
	s_load_dwordx4 s[0:3], s[4:5], 0x38
	s_mov_b32 s24, s7
	s_ashr_i32 s25, s7, 31
	s_lshl_b64 s[8:9], s[24:25], 2
	s_mov_b32 s7, 0
	s_waitcnt lgkmcnt(0)
	s_add_u32 s2, s2, s8
	s_addc_u32 s3, s3, s9
	s_load_dword s2, s[2:3], 0x4
	s_waitcnt lgkmcnt(0)
	s_cmp_lg_u32 s2, 0
	s_cbranch_scc1 .LBB51_39
; %bb.1:
	s_load_dwordx8 s[8:15], s[4:5], 0x18
	s_lshl_b64 s[16:17], s[6:7], 2
	s_waitcnt lgkmcnt(0)
	s_add_u32 s2, s14, s16
	s_addc_u32 s3, s15, s17
	s_add_u32 s0, s0, s16
	s_load_dword s2, s[2:3], 0x0
	s_addc_u32 s1, s1, s17
	s_load_dword s3, s[0:1], 0x0
	s_load_dwordx2 s[16:17], s[4:5], 0x0
	s_waitcnt lgkmcnt(0)
	s_max_i32 s34, s2, s3
	s_cmp_ge_i32 s34, s16
	s_cbranch_scc1 .LBB51_39
; %bb.2:
	s_load_dword s7, s[4:5], 0x54
	s_add_u32 s0, s4, 0x48
	s_addc_u32 s1, s5, 0
	s_min_i32 s2, s2, s3
	v_bfe_u32 v8, v0, 10, 10
	s_waitcnt lgkmcnt(0)
	s_and_b32 s16, s7, 0xffff
	s_mul_i32 s2, s2, s16
	v_add_u32_e32 v1, s2, v8
	v_cmp_gt_i32_e32 vcc, s17, v1
	s_and_saveexec_b64 s[14:15], vcc
	s_cbranch_execz .LBB51_39
; %bb.3:
	s_cmp_eq_u64 s[12:13], 0
	s_mov_b64 s[18:19], 0
	s_cbranch_scc1 .LBB51_5
; %bb.4:
	s_load_dword s0, s[0:1], 0x0
	s_waitcnt lgkmcnt(0)
	s_mul_i32 s0, s0, s24
	s_add_i32 s0, s0, s6
	s_mul_i32 s0, s0, s16
	s_mul_i32 s0, s0, s16
	s_lshl_b32 s0, s0, 2
	s_ashr_i32 s1, s0, 31
	s_lshl_b64 s[0:1], s[0:1], 3
	s_add_u32 s18, s12, s0
	s_addc_u32 s19, s13, s1
.LBB51_5:
	s_lshl_b32 s6, s16, 1
	v_and_b32_e32 v0, 0x3ff, v0
	v_add_u32_e32 v12, s16, v8
	s_cmp_lg_u64 s[18:19], 0
	v_mul_u32_u24_e32 v7, s6, v8
	s_cselect_b64 s[20:21], -1, 0
	s_cmp_eq_u64 s[18:19], 0
	v_mad_u32_u24 v2, v12, s6, v0
	v_add_lshl_u32 v10, v7, v0, 3
	s_cbranch_scc1 .LBB51_7
; %bb.6:
	v_mov_b32_e32 v3, 0x3ff00000
	v_cmp_eq_u32_e32 vcc, v0, v8
	v_mov_b32_e32 v4, 0
	v_cndmask_b32_e32 v5, 0, v3, vcc
	v_mov_b32_e32 v9, s19
	v_add_co_u32_e32 v14, vcc, s18, v10
	v_addc_co_u32_e32 v15, vcc, 0, v9, vcc
	v_mov_b32_e32 v3, v4
	s_mov_b32 s0, 0
	flat_store_dwordx2 v[14:15], v[4:5]
	v_lshlrev_b64 v[14:15], 3, v[2:3]
	v_add_u32_e32 v6, s16, v0
	v_add_co_u32_e32 v14, vcc, s18, v14
	s_mov_b32 s1, s0
	v_addc_co_u32_e32 v15, vcc, v9, v15, vcc
	v_pk_mov_b32 v[16:17], s[0:1], s[0:1] op_sel:[0,1]
	v_add_lshl_u32 v3, v7, v6, 3
	flat_store_dwordx2 v[14:15], v[16:17]
	v_add_co_u32_e32 v14, vcc, s18, v3
	v_addc_co_u32_e32 v15, vcc, 0, v9, vcc
	flat_store_dwordx2 v[14:15], v[16:17]
	v_mad_u32_u24 v14, v12, s6, v6
	v_mov_b32_e32 v15, v4
	v_lshlrev_b64 v[14:15], 3, v[14:15]
	v_add_co_u32_e32 v14, vcc, s18, v14
	v_addc_co_u32_e32 v15, vcc, v9, v15, vcc
	flat_store_dwordx2 v[14:15], v[4:5]
.LBB51_7:
	s_cmp_eq_u32 s16, 0
	s_mov_b32 s22, 0
	s_cbranch_scc1 .LBB51_39
; %bb.8:
	s_mov_b32 s0, 0
	s_mov_b32 s1, 0x100000
	v_pk_mov_b32 v[4:5], s[0:1], s[0:1] op_sel:[0,1]
	v_div_scale_f64 v[14:15], s[12:13], s[10:11], s[10:11], v[4:5]
	s_load_dwordx4 s[12:15], s[4:5], 0x8
	v_rcp_f64_e32 v[16:17], v[14:15]
	s_mul_i32 s3, s24, s9
	s_mul_hi_u32 s4, s24, s8
	v_pk_mov_b32 v[18:19], s[10:11], s[10:11] op_sel:[0,1]
	s_add_i32 s3, s4, s3
	s_mul_i32 s4, s25, s8
	v_div_scale_f64 v[18:19], vcc, s[0:1], v[18:19], s[0:1]
	s_lshl_b32 s0, s16, 3
	s_add_i32 s5, s3, s4
	s_mul_i32 s4, s24, s8
	s_add_i32 s7, s0, 0
	s_waitcnt lgkmcnt(0)
	s_ashr_i32 s1, s14, 31
	s_lshl_b64 s[4:5], s[4:5], 3
	v_fma_f64 v[20:21], -v[14:15], v[16:17], 1.0
	s_mov_b32 s0, s14
	s_add_u32 s3, s12, s4
	v_fmac_f64_e32 v[16:17], v[16:17], v[20:21]
	s_addc_u32 s4, s13, s5
	s_lshl_b64 s[0:1], s[0:1], 3
	v_add_u32_e32 v6, s2, v0
	v_fma_f64 v[20:21], -v[14:15], v[16:17], 1.0
	s_add_u32 s14, s3, s0
	s_mul_i32 s34, s34, s16
	v_mul_lo_u32 v39, v6, s15
	v_fmac_f64_e32 v[16:17], v[16:17], v[20:21]
	s_addc_u32 s33, s4, s1
	v_add_u32_e32 v38, s34, v8
	v_cmp_eq_u32_e64 s[0:1], 0, v8
	v_add_u32_e32 v8, v39, v6
	v_mul_f64 v[20:21], v[18:19], v[16:17]
	v_ashrrev_i32_e32 v9, 31, v8
	v_fma_f64 v[14:15], -v[14:15], v[20:21], v[18:19]
	v_lshlrev_b64 v[8:9], 3, v[8:9]
	v_div_fmas_f64 v[14:15], v[14:15], v[16:17], v[20:21]
	v_mov_b32_e32 v3, s33
	v_add_co_u32_e32 v8, vcc, s14, v8
	v_addc_co_u32_e32 v9, vcc, v3, v9, vcc
	v_lshlrev_b32_e32 v3, 3, v0
	v_div_fixup_f64 v[4:5], v[14:15], s[10:11], v[4:5]
	v_add_u32_e32 v40, 0, v3
	v_add_u32_e32 v41, s7, v3
	v_mov_b32_e32 v3, 0
	v_mov_b32_e32 v14, s19
	v_add_co_u32_e32 v10, vcc, s18, v10
	v_addc_co_u32_e32 v11, vcc, 0, v14, vcc
	v_mul_u32_u24_e32 v42, s6, v12
	v_lshlrev_b64 v[12:13], 3, v[2:3]
	v_add_co_u32_e32 v12, vcc, s18, v12
	v_addc_co_u32_e32 v13, vcc, v14, v13, vcc
	v_add_u32_e32 v14, v39, v1
	v_ashrrev_i32_e32 v15, 31, v14
	v_lshlrev_b64 v[14:15], 3, v[14:15]
	v_add_u32_e32 v16, v39, v38
	v_mov_b32_e32 v2, s33
	v_add_co_u32_e32 v14, vcc, s14, v14
	v_ashrrev_i32_e32 v17, 31, v16
	v_mul_lo_u32 v43, v1, s15
	v_addc_co_u32_e32 v15, vcc, v2, v15, vcc
	v_lshlrev_b64 v[16:17], 3, v[16:17]
	v_add_u32_e32 v18, v43, v6
	v_cvt_f32_u32_e32 v21, s16
	v_add_co_u32_e32 v16, vcc, s14, v16
	v_ashrrev_i32_e32 v19, 31, v18
	v_addc_co_u32_e32 v17, vcc, v2, v17, vcc
	v_lshlrev_b64 v[18:19], 3, v[18:19]
	v_add_co_u32_e32 v18, vcc, s14, v18
	v_addc_co_u32_e32 v19, vcc, v2, v19, vcc
	v_rcp_iflag_f32_e32 v2, v21
	v_mul_lo_u32 v44, v38, s15
	v_add_u32_e32 v20, v44, v6
	v_ashrrev_i32_e32 v21, 31, v20
	v_mul_f32_e32 v2, 0x4f7ffffe, v2
	v_cvt_u32_f32_e32 v2, v2
	v_lshlrev_b64 v[20:21], 3, v[20:21]
	v_mov_b32_e32 v22, s33
	v_add_co_u32_e32 v20, vcc, s14, v20
	s_sub_i32 s6, 0, s16
	v_addc_co_u32_e32 v21, vcc, v22, v21, vcc
	v_mul_lo_u32 v22, s6, v2
	v_mul_hi_u32 v22, v2, v22
	v_cmp_gt_i32_e64 s[2:3], s17, v6
	v_add_u32_e32 v45, v2, v22
	s_mov_b32 s12, 0
	v_cmp_gt_i32_e64 s[4:5], s17, v38
	s_and_b64 s[10:11], s[0:1], s[2:3]
	v_mad_u64_u32 v[22:23], s[6:7], v0, v45, 0
	s_movk_i32 s35, 0x204
	s_brev_b32 s13, 8
	v_mov_b32_e32 v46, 0x260
	v_mov_b32_e32 v47, 0x7ff80000
	;; [unrolled: 1-line block ×6, first 2 shown]
	s_mov_b32 s36, s16
                                        ; implicit-def: $vgpr24_vgpr25
                                        ; implicit-def: $vgpr30_vgpr31
                                        ; implicit-def: $vgpr26_vgpr27
	s_branch .LBB51_10
.LBB51_9:                               ;   in Loop: Header=BB51_10 Depth=1
	s_or_b64 exec, exec, s[6:7]
	s_add_i32 s36, s36, -1
	v_add_co_u32_e32 v22, vcc, v22, v45
	v_add_u32_e32 v0, 1, v0
	s_cmp_lg_u32 s36, 0
	v_addc_co_u32_e32 v23, vcc, 0, v23, vcc
	s_cbranch_scc0 .LBB51_39
.LBB51_10:                              ; =>This Inner Loop Header: Depth=1
	v_mul_lo_u32 v2, s16, v23
	v_sub_u32_e32 v2, v0, v2
	v_not_b32_e32 v28, v23
	v_mad_u64_u32 v[28:29], s[6:7], s16, v28, v[0:1]
	v_cmp_le_u32_e32 vcc, s16, v2
	v_cndmask_b32_e32 v2, v2, v28, vcc
	v_subrev_u32_e32 v28, s16, v2
	v_cmp_le_u32_e32 vcc, s16, v2
	v_cndmask_b32_e32 v2, v2, v28, vcc
	v_add_u32_e32 v52, s34, v2
	v_cmp_gt_i32_e64 s[6:7], s17, v52
	s_and_b64 s[8:9], s[10:11], s[6:7]
	v_mul_lo_u32 v53, v52, s15
	s_and_saveexec_b64 s[24:25], s[8:9]
	s_cbranch_execz .LBB51_26
; %bb.11:                               ;   in Loop: Header=BB51_10 Depth=1
	v_add_u32_e32 v26, v53, v6
	v_ashrrev_i32_e32 v27, 31, v26
	v_lshlrev_b64 v[26:27], 3, v[26:27]
	v_mov_b32_e32 v28, s33
	v_add_co_u32_e32 v26, vcc, s14, v26
	v_addc_co_u32_e32 v27, vcc, v28, v27, vcc
	global_load_dwordx2 v[28:29], v[26:27], off
	v_pk_mov_b32 v[30:31], 0, 0
	s_waitcnt vmcnt(0)
	v_mul_f64 v[26:27], v[28:29], v[28:29]
	v_cmp_nlt_f64_e32 vcc, v[26:27], v[4:5]
	v_mov_b32_e32 v26, 0
	v_mov_b32_e32 v27, 0x3ff00000
	s_and_saveexec_b64 s[26:27], vcc
	s_cbranch_execz .LBB51_25
; %bb.12:                               ;   in Loop: Header=BB51_10 Depth=1
	v_add_u32_e32 v26, v53, v52
	v_ashrrev_i32_e32 v27, 31, v26
	v_lshlrev_b64 v[26:27], 3, v[26:27]
	v_mov_b32_e32 v30, s33
	v_add_co_u32_e32 v26, vcc, s14, v26
	v_addc_co_u32_e32 v27, vcc, v30, v27, vcc
	global_load_dwordx2 v[32:33], v[26:27], off
	global_load_dwordx2 v[34:35], v[8:9], off
	v_add_f64 v[30:31], |v[28:29]|, |v[28:29]|
	s_waitcnt vmcnt(0)
	v_add_f64 v[32:33], v[32:33], -v[34:35]
	v_max_f64 v[26:27], |v[32:33]|, |v[30:31]|
	v_frexp_exp_i32_f64_e32 v34, v[26:27]
	v_sub_u32_e32 v35, 0, v34
	v_ldexp_f64 v[36:37], |v[30:31]|, v35
	v_ldexp_f64 v[26:27], |v[32:33]|, v35
	v_mul_f64 v[36:37], v[36:37], v[36:37]
	v_fmac_f64_e32 v[36:37], v[26:27], v[26:27]
	v_rsq_f64_e32 v[26:27], v[36:37]
	v_cmp_eq_f64_e64 s[8:9], 0, v[36:37]
	v_cmp_ngt_f64_e32 vcc, 0, v[32:33]
	v_cmp_class_f64_e64 s[28:29], v[32:33], s35
	v_mul_f64 v[54:55], v[36:37], v[26:27]
	v_mul_f64 v[26:27], v[26:27], 0.5
	v_fma_f64 v[56:57], -v[26:27], v[54:55], 0.5
	v_fmac_f64_e32 v[54:55], v[54:55], v[56:57]
	v_fmac_f64_e32 v[26:27], v[26:27], v[56:57]
	v_fma_f64 v[56:57], -v[54:55], v[54:55], v[36:37]
	v_fmac_f64_e32 v[54:55], v[56:57], v[26:27]
	v_cndmask_b32_e64 v27, v55, v37, s[8:9]
	v_cndmask_b32_e64 v26, v54, v36, s[8:9]
	v_cmp_class_f64_e64 s[8:9], v[30:31], s35
                                        ; implicit-def: $vgpr36_vgpr37
	s_and_saveexec_b64 s[30:31], vcc
	s_xor_b64 s[30:31], exec, s[30:31]
; %bb.13:                               ;   in Loop: Header=BB51_10 Depth=1
	v_ldexp_f64 v[26:27], v[26:27], v34
	v_cmp_o_f64_e32 vcc, v[32:33], v[30:31]
	v_cndmask_b32_e32 v26, 0, v26, vcc
	v_cndmask_b32_e32 v27, v47, v27, vcc
	s_or_b64 vcc, s[8:9], s[28:29]
	v_cndmask_b32_e32 v37, v27, v48, vcc
	v_cndmask_b32_e64 v36, v26, 0, vcc
                                        ; implicit-def: $vgpr26_vgpr27
                                        ; implicit-def: $vgpr34
; %bb.14:                               ;   in Loop: Header=BB51_10 Depth=1
	s_andn2_saveexec_b64 s[30:31], s[30:31]
; %bb.15:                               ;   in Loop: Header=BB51_10 Depth=1
	v_ldexp_f64 v[26:27], -v[26:27], v34
	v_cmp_o_f64_e32 vcc, v[30:31], v[30:31]
	v_cndmask_b32_e32 v26, 0, v26, vcc
	v_cndmask_b32_e32 v27, v49, v27, vcc
	s_or_b64 vcc, s[8:9], s[28:29]
	v_cndmask_b32_e32 v37, v27, v50, vcc
	v_cndmask_b32_e64 v36, v26, 0, vcc
; %bb.16:                               ;   in Loop: Header=BB51_10 Depth=1
	s_or_b64 exec, exec, s[30:31]
	v_mov_b32_e32 v26, 0
	v_cmp_neq_f64_e32 vcc, 0, v[30:31]
	v_mov_b32_e32 v27, 0x3ff00000
	v_pk_mov_b32 v[34:35], 0, 0
	s_and_saveexec_b64 s[8:9], vcc
	s_cbranch_execz .LBB51_24
; %bb.17:                               ;   in Loop: Header=BB51_10 Depth=1
	v_add_f64 v[32:33], v[32:33], v[36:37]
	v_mov_b32_e32 v34, 0
	v_cmp_neq_f64_e32 vcc, 0, v[32:33]
	v_mov_b32_e32 v35, 0x3ff00000
	v_pk_mov_b32 v[26:27], 0, 0
	s_and_saveexec_b64 s[28:29], vcc
	s_cbranch_execz .LBB51_23
; %bb.18:                               ;   in Loop: Header=BB51_10 Depth=1
	v_cmp_ngt_f64_e64 s[30:31], |v[30:31]|, |v[32:33]|
                                        ; implicit-def: $vgpr34_vgpr35
                                        ; implicit-def: $vgpr26_vgpr27
	s_and_saveexec_b64 s[38:39], s[30:31]
	s_xor_b64 s[30:31], exec, s[38:39]
	s_cbranch_execz .LBB51_20
; %bb.19:                               ;   in Loop: Header=BB51_10 Depth=1
	v_div_scale_f64 v[26:27], s[38:39], v[32:33], v[32:33], -v[30:31]
	v_rcp_f64_e32 v[34:35], v[26:27]
	v_div_scale_f64 v[36:37], vcc, -v[30:31], v[32:33], -v[30:31]
	v_fma_f64 v[54:55], -v[26:27], v[34:35], 1.0
	v_fmac_f64_e32 v[34:35], v[34:35], v[54:55]
	v_fma_f64 v[54:55], -v[26:27], v[34:35], 1.0
	v_fmac_f64_e32 v[34:35], v[34:35], v[54:55]
	v_mul_f64 v[54:55], v[36:37], v[34:35]
	v_fma_f64 v[26:27], -v[26:27], v[54:55], v[36:37]
	v_div_fmas_f64 v[26:27], v[26:27], v[34:35], v[54:55]
	v_div_fixup_f64 v[30:31], v[26:27], v[32:33], -v[30:31]
	v_fma_f64 v[26:27], v[30:31], v[30:31], 1.0
	v_cmp_gt_f64_e32 vcc, s[12:13], v[26:27]
	v_cndmask_b32_e64 v32, 0, 1, vcc
	v_lshlrev_b32_e32 v32, 8, v32
	v_ldexp_f64 v[26:27], v[26:27], v32
	v_rsq_f64_e32 v[32:33], v[26:27]
	v_mul_f64 v[34:35], v[26:27], v[32:33]
	v_mul_f64 v[32:33], v[32:33], 0.5
	v_fma_f64 v[36:37], -v[32:33], v[34:35], 0.5
	v_fmac_f64_e32 v[34:35], v[34:35], v[36:37]
	v_fma_f64 v[54:55], -v[34:35], v[34:35], v[26:27]
	v_fmac_f64_e32 v[32:33], v[32:33], v[36:37]
	v_fmac_f64_e32 v[34:35], v[54:55], v[32:33]
	v_fma_f64 v[36:37], -v[34:35], v[34:35], v[26:27]
	v_fmac_f64_e32 v[34:35], v[36:37], v[32:33]
	v_cndmask_b32_e32 v32, 0, v51, vcc
	v_ldexp_f64 v[32:33], v[34:35], v32
	v_cmp_class_f64_e32 vcc, v[26:27], v46
	v_cndmask_b32_e32 v27, v33, v27, vcc
	v_cndmask_b32_e32 v26, v32, v26, vcc
	v_div_scale_f64 v[32:33], s[38:39], v[26:27], v[26:27], 1.0
	v_rcp_f64_e32 v[34:35], v[32:33]
	v_fma_f64 v[36:37], -v[32:33], v[34:35], 1.0
	v_fmac_f64_e32 v[34:35], v[34:35], v[36:37]
	v_fma_f64 v[36:37], -v[32:33], v[34:35], 1.0
	v_fmac_f64_e32 v[34:35], v[34:35], v[36:37]
	v_div_scale_f64 v[36:37], vcc, 1.0, v[26:27], 1.0
	v_mul_f64 v[54:55], v[36:37], v[34:35]
	v_fma_f64 v[32:33], -v[32:33], v[54:55], v[36:37]
	s_nop 1
	v_div_fmas_f64 v[32:33], v[32:33], v[34:35], v[54:55]
	v_div_fixup_f64 v[26:27], v[32:33], v[26:27], 1.0
	v_mul_f64 v[34:35], v[30:31], v[26:27]
                                        ; implicit-def: $vgpr30_vgpr31
                                        ; implicit-def: $vgpr32_vgpr33
.LBB51_20:                              ;   in Loop: Header=BB51_10 Depth=1
	s_andn2_saveexec_b64 s[30:31], s[30:31]
	s_cbranch_execz .LBB51_22
; %bb.21:                               ;   in Loop: Header=BB51_10 Depth=1
	v_div_scale_f64 v[26:27], s[38:39], v[30:31], v[30:31], -v[32:33]
	v_rcp_f64_e32 v[34:35], v[26:27]
	v_div_scale_f64 v[36:37], vcc, -v[32:33], v[30:31], -v[32:33]
	v_fma_f64 v[54:55], -v[26:27], v[34:35], 1.0
	v_fmac_f64_e32 v[34:35], v[34:35], v[54:55]
	v_fma_f64 v[54:55], -v[26:27], v[34:35], 1.0
	v_fmac_f64_e32 v[34:35], v[34:35], v[54:55]
	v_mul_f64 v[54:55], v[36:37], v[34:35]
	v_fma_f64 v[26:27], -v[26:27], v[54:55], v[36:37]
	v_div_fmas_f64 v[26:27], v[26:27], v[34:35], v[54:55]
	v_div_fixup_f64 v[26:27], v[26:27], v[30:31], -v[32:33]
	v_fma_f64 v[30:31], v[26:27], v[26:27], 1.0
	v_cmp_gt_f64_e32 vcc, s[12:13], v[30:31]
	v_cndmask_b32_e64 v32, 0, 1, vcc
	v_lshlrev_b32_e32 v32, 8, v32
	v_ldexp_f64 v[30:31], v[30:31], v32
	v_rsq_f64_e32 v[32:33], v[30:31]
	v_mul_f64 v[34:35], v[30:31], v[32:33]
	v_mul_f64 v[32:33], v[32:33], 0.5
	v_fma_f64 v[36:37], -v[32:33], v[34:35], 0.5
	v_fmac_f64_e32 v[34:35], v[34:35], v[36:37]
	v_fma_f64 v[54:55], -v[34:35], v[34:35], v[30:31]
	v_fmac_f64_e32 v[32:33], v[32:33], v[36:37]
	v_fmac_f64_e32 v[34:35], v[54:55], v[32:33]
	v_fma_f64 v[36:37], -v[34:35], v[34:35], v[30:31]
	v_fmac_f64_e32 v[34:35], v[36:37], v[32:33]
	v_cndmask_b32_e32 v32, 0, v51, vcc
	v_ldexp_f64 v[32:33], v[34:35], v32
	v_cmp_class_f64_e32 vcc, v[30:31], v46
	v_cndmask_b32_e32 v31, v33, v31, vcc
	v_cndmask_b32_e32 v30, v32, v30, vcc
	v_div_scale_f64 v[32:33], s[38:39], v[30:31], v[30:31], 1.0
	v_rcp_f64_e32 v[34:35], v[32:33]
	v_fma_f64 v[36:37], -v[32:33], v[34:35], 1.0
	v_fmac_f64_e32 v[34:35], v[34:35], v[36:37]
	v_fma_f64 v[36:37], -v[32:33], v[34:35], 1.0
	v_fmac_f64_e32 v[34:35], v[34:35], v[36:37]
	v_div_scale_f64 v[36:37], vcc, 1.0, v[30:31], 1.0
	v_mul_f64 v[54:55], v[36:37], v[34:35]
	v_fma_f64 v[32:33], -v[32:33], v[54:55], v[36:37]
	s_nop 1
	v_div_fmas_f64 v[32:33], v[32:33], v[34:35], v[54:55]
	v_div_fixup_f64 v[34:35], v[32:33], v[30:31], 1.0
	v_mul_f64 v[26:27], v[26:27], v[34:35]
.LBB51_22:                              ;   in Loop: Header=BB51_10 Depth=1
	s_or_b64 exec, exec, s[30:31]
.LBB51_23:                              ;   in Loop: Header=BB51_10 Depth=1
	s_or_b64 exec, exec, s[28:29]
.LBB51_24:                              ;   in Loop: Header=BB51_10 Depth=1
	s_or_b64 exec, exec, s[8:9]
	v_mul_f64 v[30:31], v[28:29], v[34:35]
	v_and_b32_e32 v33, 0x7fffffff, v29
	v_mov_b32_e32 v32, v28
	v_div_scale_f64 v[34:35], s[8:9], v[32:33], v[32:33], v[30:31]
	v_rcp_f64_e32 v[36:37], v[34:35]
	v_div_scale_f64 v[32:33], vcc, v[30:31], v[32:33], v[30:31]
	v_fma_f64 v[54:55], -v[34:35], v[36:37], 1.0
	v_fmac_f64_e32 v[36:37], v[36:37], v[54:55]
	v_fma_f64 v[54:55], -v[34:35], v[36:37], 1.0
	v_fmac_f64_e32 v[36:37], v[36:37], v[54:55]
	v_mul_f64 v[54:55], v[32:33], v[36:37]
	v_fma_f64 v[32:33], -v[34:35], v[54:55], v[32:33]
	v_div_fmas_f64 v[32:33], v[32:33], v[36:37], v[54:55]
	v_div_fixup_f64 v[30:31], v[32:33], |v[28:29]|, v[30:31]
.LBB51_25:                              ;   in Loop: Header=BB51_10 Depth=1
	s_or_b64 exec, exec, s[26:27]
	ds_write_b64 v40, v[26:27]
	ds_write_b64 v41, v[30:31]
.LBB51_26:                              ;   in Loop: Header=BB51_10 Depth=1
	s_or_b64 exec, exec, s[24:25]
	s_and_b64 s[8:9], s[2:3], s[6:7]
	s_waitcnt lgkmcnt(0)
	s_barrier
	s_and_saveexec_b64 s[24:25], s[8:9]
	s_cbranch_execz .LBB51_34
; %bb.27:                               ;   in Loop: Header=BB51_10 Depth=1
	ds_read_b64 v[26:27], v40
	ds_read_b64 v[24:25], v41
	s_andn2_b64 vcc, exec, s[20:21]
	s_cbranch_vccnz .LBB51_31
; %bb.28:                               ;   in Loop: Header=BB51_10 Depth=1
	v_add_u32_e32 v28, s16, v2
	v_add_u32_e32 v2, v28, v7
	v_lshlrev_b64 v[30:31], 3, v[2:3]
	v_mov_b32_e32 v2, s19
	v_add_co_u32_e32 v30, vcc, s18, v30
	v_addc_co_u32_e32 v31, vcc, v2, v31, vcc
	flat_load_dwordx2 v[32:33], v[10:11]
	flat_load_dwordx2 v[34:35], v[30:31]
	s_waitcnt vmcnt(0) lgkmcnt(0)
	v_mul_f64 v[36:37], v[24:25], v[32:33]
	v_mul_f64 v[54:55], v[24:25], v[34:35]
	v_fmac_f64_e32 v[54:55], v[26:27], v[32:33]
	v_fma_f64 v[34:35], v[26:27], v[34:35], -v[36:37]
	flat_store_dwordx2 v[10:11], v[54:55]
	flat_store_dwordx2 v[30:31], v[34:35]
	s_and_saveexec_b64 s[26:27], s[4:5]
	s_cbranch_execz .LBB51_30
; %bb.29:                               ;   in Loop: Header=BB51_10 Depth=1
	v_add_u32_e32 v2, v28, v42
	v_lshlrev_b64 v[28:29], 3, v[2:3]
	v_mov_b32_e32 v2, s19
	v_add_co_u32_e32 v28, vcc, s18, v28
	v_addc_co_u32_e32 v29, vcc, v2, v29, vcc
	flat_load_dwordx2 v[30:31], v[12:13]
	flat_load_dwordx2 v[32:33], v[28:29]
	s_waitcnt vmcnt(0) lgkmcnt(0)
	v_mul_f64 v[34:35], v[24:25], v[30:31]
	v_mul_f64 v[36:37], v[24:25], v[32:33]
	v_fmac_f64_e32 v[36:37], v[26:27], v[30:31]
	v_fma_f64 v[32:33], v[26:27], v[32:33], -v[34:35]
	flat_store_dwordx2 v[12:13], v[36:37]
	flat_store_dwordx2 v[28:29], v[32:33]
.LBB51_30:                              ;   in Loop: Header=BB51_10 Depth=1
	s_or_b64 exec, exec, s[26:27]
.LBB51_31:                              ;   in Loop: Header=BB51_10 Depth=1
	v_add_u32_e32 v28, v53, v1
	v_ashrrev_i32_e32 v29, 31, v28
	v_lshlrev_b64 v[28:29], 3, v[28:29]
	v_mov_b32_e32 v2, s33
	v_add_co_u32_e32 v28, vcc, s14, v28
	v_addc_co_u32_e32 v29, vcc, v2, v29, vcc
	global_load_dwordx2 v[30:31], v[14:15], off
	global_load_dwordx2 v[32:33], v[28:29], off
	s_waitcnt vmcnt(0) lgkmcnt(0)
	v_mul_f64 v[34:35], v[24:25], v[30:31]
	v_mul_f64 v[36:37], v[24:25], v[32:33]
	v_fmac_f64_e32 v[36:37], v[26:27], v[30:31]
	v_fma_f64 v[32:33], v[26:27], v[32:33], -v[34:35]
	global_store_dwordx2 v[14:15], v[36:37], off
	global_store_dwordx2 v[28:29], v[32:33], off
	s_and_saveexec_b64 s[26:27], s[4:5]
	s_cbranch_execz .LBB51_33
; %bb.32:                               ;   in Loop: Header=BB51_10 Depth=1
	v_add_u32_e32 v28, v53, v38
	v_ashrrev_i32_e32 v29, 31, v28
	v_lshlrev_b64 v[28:29], 3, v[28:29]
	v_mov_b32_e32 v2, s33
	v_add_co_u32_e32 v28, vcc, s14, v28
	v_addc_co_u32_e32 v29, vcc, v2, v29, vcc
	global_load_dwordx2 v[30:31], v[16:17], off
	global_load_dwordx2 v[32:33], v[28:29], off
	s_waitcnt vmcnt(1)
	v_mul_f64 v[34:35], v[24:25], v[30:31]
	s_waitcnt vmcnt(0)
	v_mul_f64 v[36:37], v[24:25], v[32:33]
	v_fmac_f64_e32 v[36:37], v[26:27], v[30:31]
	v_fma_f64 v[32:33], v[26:27], v[32:33], -v[34:35]
	global_store_dwordx2 v[16:17], v[36:37], off
	global_store_dwordx2 v[28:29], v[32:33], off
.LBB51_33:                              ;   in Loop: Header=BB51_10 Depth=1
	s_or_b64 exec, exec, s[26:27]
	v_pk_mov_b32 v[30:31], v[24:25], v[24:25] op_sel:[0,1]
.LBB51_34:                              ;   in Loop: Header=BB51_10 Depth=1
	s_or_b64 exec, exec, s[24:25]
	s_barrier
	s_and_saveexec_b64 s[24:25], s[8:9]
	s_cbranch_execz .LBB51_37
; %bb.35:                               ;   in Loop: Header=BB51_10 Depth=1
	v_add_u32_e32 v28, v52, v43
	v_ashrrev_i32_e32 v29, 31, v28
	v_lshlrev_b64 v[28:29], 3, v[28:29]
	v_mov_b32_e32 v2, s33
	v_add_co_u32_e32 v28, vcc, s14, v28
	v_addc_co_u32_e32 v29, vcc, v2, v29, vcc
	global_load_dwordx2 v[32:33], v[18:19], off
	global_load_dwordx2 v[34:35], v[28:29], off
	s_waitcnt vmcnt(0)
	v_mul_f64 v[36:37], v[24:25], v[32:33]
	v_mul_f64 v[54:55], v[30:31], v[34:35]
	v_fmac_f64_e32 v[54:55], v[26:27], v[32:33]
	v_fma_f64 v[34:35], v[26:27], v[34:35], -v[36:37]
	global_store_dwordx2 v[18:19], v[54:55], off
	global_store_dwordx2 v[28:29], v[34:35], off
	s_and_b64 exec, exec, s[4:5]
	s_cbranch_execz .LBB51_37
; %bb.36:                               ;   in Loop: Header=BB51_10 Depth=1
	v_add_u32_e32 v28, v52, v44
	v_ashrrev_i32_e32 v29, 31, v28
	v_lshlrev_b64 v[28:29], 3, v[28:29]
	v_mov_b32_e32 v2, s33
	v_add_co_u32_e32 v28, vcc, s14, v28
	v_addc_co_u32_e32 v29, vcc, v2, v29, vcc
	global_load_dwordx2 v[32:33], v[20:21], off
	global_load_dwordx2 v[34:35], v[28:29], off
	s_waitcnt vmcnt(1)
	v_mul_f64 v[36:37], v[24:25], v[32:33]
	s_waitcnt vmcnt(0)
	v_mul_f64 v[54:55], v[30:31], v[34:35]
	v_fmac_f64_e32 v[54:55], v[26:27], v[32:33]
	v_fma_f64 v[34:35], v[26:27], v[34:35], -v[36:37]
	global_store_dwordx2 v[20:21], v[54:55], off
	global_store_dwordx2 v[28:29], v[34:35], off
.LBB51_37:                              ;   in Loop: Header=BB51_10 Depth=1
	s_or_b64 exec, exec, s[24:25]
	s_and_b64 s[8:9], s[0:1], s[6:7]
	s_barrier
	s_and_saveexec_b64 s[6:7], s[8:9]
	s_cbranch_execz .LBB51_9
; %bb.38:                               ;   in Loop: Header=BB51_10 Depth=1
	v_mad_u64_u32 v[28:29], s[8:9], v52, s15, v[6:7]
	v_ashrrev_i32_e32 v29, 31, v28
	v_lshlrev_b64 v[28:29], 3, v[28:29]
	v_mov_b32_e32 v2, s33
	v_add_co_u32_e32 v28, vcc, s14, v28
	s_mov_b32 s23, s22
	v_addc_co_u32_e32 v29, vcc, v2, v29, vcc
	v_pk_mov_b32 v[32:33], s[22:23], s[22:23] op_sel:[0,1]
	global_store_dwordx2 v[28:29], v[32:33], off
	v_add_u32_e32 v28, v52, v39
	v_ashrrev_i32_e32 v29, 31, v28
	v_lshlrev_b64 v[28:29], 3, v[28:29]
	v_add_co_u32_e32 v28, vcc, s14, v28
	v_addc_co_u32_e32 v29, vcc, v2, v29, vcc
	global_store_dwordx2 v[28:29], v[32:33], off
	s_branch .LBB51_9
.LBB51_39:
	s_endpgm
	.section	.rodata,"a",@progbits
	.p2align	6, 0x0
	.amdhsa_kernel _ZN9rocsolver6v33100L21syevj_offd_kernel_orgIddPdEEviiT1_iilT0_PT_PiS7_S7_
		.amdhsa_group_segment_fixed_size 0
		.amdhsa_private_segment_fixed_size 0
		.amdhsa_kernarg_size 328
		.amdhsa_user_sgpr_count 6
		.amdhsa_user_sgpr_private_segment_buffer 1
		.amdhsa_user_sgpr_dispatch_ptr 0
		.amdhsa_user_sgpr_queue_ptr 0
		.amdhsa_user_sgpr_kernarg_segment_ptr 1
		.amdhsa_user_sgpr_dispatch_id 0
		.amdhsa_user_sgpr_flat_scratch_init 0
		.amdhsa_user_sgpr_kernarg_preload_length 0
		.amdhsa_user_sgpr_kernarg_preload_offset 0
		.amdhsa_user_sgpr_private_segment_size 0
		.amdhsa_uses_dynamic_stack 0
		.amdhsa_system_sgpr_private_segment_wavefront_offset 0
		.amdhsa_system_sgpr_workgroup_id_x 1
		.amdhsa_system_sgpr_workgroup_id_y 0
		.amdhsa_system_sgpr_workgroup_id_z 1
		.amdhsa_system_sgpr_workgroup_info 0
		.amdhsa_system_vgpr_workitem_id 1
		.amdhsa_next_free_vgpr 58
		.amdhsa_next_free_sgpr 40
		.amdhsa_accum_offset 60
		.amdhsa_reserve_vcc 1
		.amdhsa_reserve_flat_scratch 0
		.amdhsa_float_round_mode_32 0
		.amdhsa_float_round_mode_16_64 0
		.amdhsa_float_denorm_mode_32 3
		.amdhsa_float_denorm_mode_16_64 3
		.amdhsa_dx10_clamp 1
		.amdhsa_ieee_mode 1
		.amdhsa_fp16_overflow 0
		.amdhsa_tg_split 0
		.amdhsa_exception_fp_ieee_invalid_op 0
		.amdhsa_exception_fp_denorm_src 0
		.amdhsa_exception_fp_ieee_div_zero 0
		.amdhsa_exception_fp_ieee_overflow 0
		.amdhsa_exception_fp_ieee_underflow 0
		.amdhsa_exception_fp_ieee_inexact 0
		.amdhsa_exception_int_div_zero 0
	.end_amdhsa_kernel
	.section	.text._ZN9rocsolver6v33100L21syevj_offd_kernel_orgIddPdEEviiT1_iilT0_PT_PiS7_S7_,"axG",@progbits,_ZN9rocsolver6v33100L21syevj_offd_kernel_orgIddPdEEviiT1_iilT0_PT_PiS7_S7_,comdat
.Lfunc_end51:
	.size	_ZN9rocsolver6v33100L21syevj_offd_kernel_orgIddPdEEviiT1_iilT0_PT_PiS7_S7_, .Lfunc_end51-_ZN9rocsolver6v33100L21syevj_offd_kernel_orgIddPdEEviiT1_iilT0_PT_PiS7_S7_
                                        ; -- End function
	.section	.AMDGPU.csdata,"",@progbits
; Kernel info:
; codeLenInByte = 3040
; NumSgprs: 44
; NumVgprs: 58
; NumAgprs: 0
; TotalNumVgprs: 58
; ScratchSize: 0
; MemoryBound: 0
; FloatMode: 240
; IeeeMode: 1
; LDSByteSize: 0 bytes/workgroup (compile time only)
; SGPRBlocks: 5
; VGPRBlocks: 7
; NumSGPRsForWavesPerEU: 44
; NumVGPRsForWavesPerEU: 58
; AccumOffset: 60
; Occupancy: 8
; WaveLimiterHint : 0
; COMPUTE_PGM_RSRC2:SCRATCH_EN: 0
; COMPUTE_PGM_RSRC2:USER_SGPR: 6
; COMPUTE_PGM_RSRC2:TRAP_HANDLER: 0
; COMPUTE_PGM_RSRC2:TGID_X_EN: 1
; COMPUTE_PGM_RSRC2:TGID_Y_EN: 0
; COMPUTE_PGM_RSRC2:TGID_Z_EN: 1
; COMPUTE_PGM_RSRC2:TIDIG_COMP_CNT: 1
; COMPUTE_PGM_RSRC3_GFX90A:ACCUM_OFFSET: 14
; COMPUTE_PGM_RSRC3_GFX90A:TG_SPLIT: 0
	.section	.text._ZN9rocsolver6v33100L17syevj_offd_kernelIddPdEEviiT1_iilT0_PT_PiS7_S7_i,"axG",@progbits,_ZN9rocsolver6v33100L17syevj_offd_kernelIddPdEEviiT1_iilT0_PT_PiS7_S7_i,comdat
	.globl	_ZN9rocsolver6v33100L17syevj_offd_kernelIddPdEEviiT1_iilT0_PT_PiS7_S7_i ; -- Begin function _ZN9rocsolver6v33100L17syevj_offd_kernelIddPdEEviiT1_iilT0_PT_PiS7_S7_i
	.p2align	8
	.type	_ZN9rocsolver6v33100L17syevj_offd_kernelIddPdEEviiT1_iilT0_PT_PiS7_S7_i,@function
_ZN9rocsolver6v33100L17syevj_offd_kernelIddPdEEviiT1_iilT0_PT_PiS7_S7_i: ; @_ZN9rocsolver6v33100L17syevj_offd_kernelIddPdEEviiT1_iilT0_PT_PiS7_S7_i
; %bb.0:
	s_mov_b32 s24, s7
	s_load_dwordx2 s[26:27], s[4:5], 0x0
	s_load_dword s7, s[4:5], 0x48
	s_waitcnt lgkmcnt(0)
	s_abs_i32 s0, s26
	v_cvt_f32_u32_e32 v1, s0
	s_cmp_ge_u32 s24, s7
	v_rcp_iflag_f32_e32 v1, v1
	v_mul_f32_e32 v1, 0x4f7ffffe, v1
	v_cvt_u32_f32_e32 v1, v1
	v_readfirstlane_b32 s1, v1
	s_cbranch_scc1 .LBB52_82
; %bb.1:
	s_sub_i32 s8, 0, s0
	s_mul_i32 s8, s8, s1
	s_add_i32 s2, s27, -1
	s_mul_hi_u32 s8, s1, s8
	s_ashr_i32 s20, s2, 31
	s_abs_i32 s2, s2
	s_add_i32 s1, s1, s8
	s_mul_hi_u32 s1, s2, s1
	s_mul_i32 s21, s1, s0
	s_ashr_i32 s3, s26, 31
	s_sub_i32 s2, s2, s21
	s_xor_b32 s20, s20, s3
	s_add_i32 s21, s1, 1
	s_sub_i32 s22, s2, s0
	s_cmp_ge_u32 s2, s0
	s_cselect_b32 s1, s21, s1
	s_cselect_b32 s2, s22, s2
	s_add_i32 s21, s1, 1
	s_cmp_ge_u32 s2, s0
	s_cselect_b32 s0, s21, s1
	s_xor_b32 s0, s0, s20
	s_sub_i32 s33, s0, s20
	s_add_i32 s0, s33, 1
	s_lshr_b32 s1, s0, 31
	s_add_i32 s1, s0, s1
	s_and_b32 s1, s1, -2
	s_sub_i32 s1, s0, s1
	s_add_i32 s0, s1, s0
	s_lshr_b32 s1, s0, 31
	s_add_i32 s0, s0, s1
	s_lshl_b32 s65, s26, 3
	s_load_dwordx4 s[8:11], s[4:5], 0x8
	s_load_dwordx8 s[12:19], s[4:5], 0x18
	s_ashr_i32 s62, s0, 1
	s_load_dwordx2 s[30:31], s[4:5], 0x58
	s_load_dwordx4 s[20:23], s[4:5], 0x38
	s_load_dword s63, s[4:5], 0x50
	s_add_i32 s0, s65, 0
	s_mov_b32 s2, s26
	s_add_i32 s66, s0, s65
	s_mov_b64 s[0:1], src_shared_base
	s_lshl_b32 s68, s26, 1
	s_mov_b32 s67, s1
	s_lshl_b64 s[0:1], s[2:3], 4
	s_mul_hi_i32 s3, s68, s68
	s_mul_i32 s2, s68, s68
	s_waitcnt lgkmcnt(0)
	s_lshr_b32 s64, s31, 16
	s_and_b32 s31, s31, 0xffff
	s_lshl_b64 s[2:3], s[2:3], 3
	s_add_u32 s0, s2, s0
	s_mul_i32 s2, s26, s26
	v_and_b32_e32 v16, 0x3ff, v0
	v_bfe_u32 v17, v0, 10, 10
	s_addc_u32 s1, s3, s1
	v_mov_b32_e32 v0, 0x10000
	s_lshl_b32 s69, s2, 2
	s_mov_b32 s2, 0
	v_mov_b32_e32 v1, 0
	s_mov_b32 s3, 0x100000
	v_cmp_gt_u64_e64 s[0:1], s[0:1], v[0:1]
	v_pk_mov_b32 v[0:1], s[2:3], s[2:3] op_sel:[0,1]
	v_div_scale_f64 v[2:3], s[4:5], s[14:15], s[14:15], v[0:1]
	v_rcp_f64_e32 v[4:5], v[2:3]
	s_ashr_i32 s39, s10, 31
	s_mov_b32 s38, s10
	s_cmp_lt_u32 s6, s62
	v_fma_f64 v[6:7], -v[2:3], v[4:5], 1.0
	v_fmac_f64_e32 v[4:5], v[4:5], v[6:7]
	v_fma_f64 v[6:7], -v[2:3], v[4:5], 1.0
	v_fmac_f64_e32 v[4:5], v[4:5], v[6:7]
	v_pk_mov_b32 v[6:7], s[14:15], s[14:15] op_sel:[0,1]
	v_div_scale_f64 v[6:7], vcc, s[2:3], v[6:7], s[2:3]
	v_mul_f64 v[8:9], v[6:7], v[4:5]
	v_fma_f64 v[2:3], -v[2:3], v[8:9], v[6:7]
	s_mul_i32 s10, s33, s26
	s_nop 0
	v_div_fmas_f64 v[2:3], v[2:3], v[4:5], v[8:9]
	v_div_fixup_f64 v[0:1], v[2:3], s[14:15], v[0:1]
	v_cvt_f32_u32_e32 v2, s26
	s_cselect_b64 s[34:35], -1, 0
	s_sub_i32 s70, s27, s10
	s_cmp_lg_u64 s[16:17], 0
	v_rcp_iflag_f32_e32 v2, v2
	s_cselect_b64 s[36:37], -1, 0
	s_cmp_gt_i32 s26, 0
	s_cselect_b64 s[14:15], -1, 0
	s_ashr_i32 s71, s11, 31
	v_mul_f32_e32 v2, 0x4f7ffffe, v2
	s_add_u32 s73, s22, 4
	v_cvt_u32_f32_e32 v2, v2
	s_mov_b32 s72, s11
	s_addc_u32 s74, s23, 0
	s_lshl_b64 s[10:11], s[38:39], 3
	s_add_u32 s75, s8, s10
	s_addc_u32 s76, s9, s11
	s_sub_i32 s77, 0, s26
	v_mul_lo_u32 v3, s77, v2
	v_mul_hi_u32 v3, v2, v3
	v_add_u32_e32 v18, v2, v3
	v_mul_lo_u32 v2, v17, s26
	v_lshlrev_b32_e32 v19, 1, v2
	v_add_u32_e32 v2, s26, v17
	s_mul_i32 s8, s26, s64
	v_mul_lo_u32 v2, s26, v2
	s_mov_b32 s22, 0
	s_mov_b32 s28, 0
	v_cmp_gt_u32_e64 s[2:3], s26, v17
	v_cmp_gt_u32_e64 s[4:5], s26, v16
	v_mov_b32_e32 v3, 0
	s_lshl_b32 s78, s8, 1
	v_lshl_add_u32 v20, v16, 3, 0
	s_lshl_b32 s79, s31, 3
	v_add_u32_e32 v21, v16, v19
	v_lshl_add_u32 v22, v2, 1, v16
	s_movk_i32 s80, 0x204
	s_brev_b32 s23, 8
	v_mov_b32_e32 v23, 0x260
	v_mov_b32_e32 v24, 0x3ff00000
	;; [unrolled: 1-line block ×7, first 2 shown]
	s_branch .LBB52_3
.LBB52_2:                               ;   in Loop: Header=BB52_3 Depth=1
	s_add_i32 s24, s24, s30
	s_cmp_ge_u32 s24, s7
	s_cbranch_scc1 .LBB52_82
.LBB52_3:                               ; =>This Loop Header: Depth=1
                                        ;     Child Loop BB52_8 Depth 2
                                        ;       Child Loop BB52_16 Depth 3
                                        ;         Child Loop BB52_18 Depth 4
                                        ;       Child Loop BB52_23 Depth 3
                                        ;         Child Loop BB52_26 Depth 4
                                        ;           Child Loop BB52_33 Depth 5
                                        ;         Child Loop BB52_48 Depth 4
                                        ;           Child Loop BB52_51 Depth 5
                                        ;         Child Loop BB52_61 Depth 4
                                        ;           Child Loop BB52_64 Depth 5
                                        ;         Child Loop BB52_70 Depth 4
                                        ;           Child Loop BB52_73 Depth 5
                                        ;       Child Loop BB52_79 Depth 3
                                        ;         Child Loop BB52_81 Depth 4
	s_mov_b32 s25, s28
	s_lshl_b64 s[8:9], s[24:25], 2
	s_add_u32 s8, s73, s8
	s_addc_u32 s9, s74, s9
	global_load_dword v2, v3, s[8:9]
	s_waitcnt vmcnt(0)
	v_cmp_ne_u32_e32 vcc, 0, v2
	s_cbranch_vccnz .LBB52_2
; %bb.4:                                ;   in Loop: Header=BB52_3 Depth=1
	s_andn2_b64 vcc, exec, s[34:35]
	s_cbranch_vccnz .LBB52_2
; %bb.5:                                ;   in Loop: Header=BB52_3 Depth=1
	s_mul_i32 s8, s24, s13
	s_mul_hi_u32 s9, s24, s12
	s_add_i32 s9, s9, s8
	s_mul_i32 s8, s24, s12
	s_lshl_b64 s[8:9], s[8:9], 3
	s_add_u32 s25, s75, s8
	s_addc_u32 s81, s76, s9
	s_mul_i32 s82, s24, s62
	s_mov_b32 s38, s6
	s_branch .LBB52_8
.LBB52_6:                               ;   in Loop: Header=BB52_8 Depth=2
	s_or_b64 exec, exec, s[42:43]
	s_waitcnt lgkmcnt(0)
	s_barrier
.LBB52_7:                               ;   in Loop: Header=BB52_8 Depth=2
	s_add_i32 s38, s38, s63
	s_cmp_lt_u32 s38, s62
	s_cbranch_scc0 .LBB52_2
.LBB52_8:                               ;   Parent Loop BB52_3 Depth=1
                                        ; =>  This Loop Header: Depth=2
                                        ;       Child Loop BB52_16 Depth 3
                                        ;         Child Loop BB52_18 Depth 4
                                        ;       Child Loop BB52_23 Depth 3
                                        ;         Child Loop BB52_26 Depth 4
                                        ;           Child Loop BB52_33 Depth 5
                                        ;         Child Loop BB52_48 Depth 4
                                        ;           Child Loop BB52_51 Depth 5
	;; [unrolled: 2-line block ×4, first 2 shown]
                                        ;       Child Loop BB52_79 Depth 3
                                        ;         Child Loop BB52_81 Depth 4
	s_mov_b32 s39, s28
	s_lshl_b64 s[8:9], s[38:39], 2
	s_add_u32 s10, s18, s8
	s_addc_u32 s11, s19, s9
	s_add_u32 s8, s20, s8
	s_addc_u32 s9, s21, s9
	global_load_dword v2, v3, s[10:11]
	global_load_dword v4, v3, s[8:9]
	s_waitcnt vmcnt(0)
	v_readfirstlane_b32 s8, v2
	s_waitcnt vmcnt(0)
	v_readfirstlane_b32 s9, v4
	s_max_i32 s84, s8, s9
	s_cmp_gt_i32 s84, s33
	s_cbranch_scc1 .LBB52_7
; %bb.9:                                ;   in Loop: Header=BB52_8 Depth=2
	s_andn2_b64 vcc, exec, s[36:37]
	s_cbranch_vccnz .LBB52_11
; %bb.10:                               ;   in Loop: Header=BB52_8 Depth=2
	s_add_i32 s8, s38, s82
	s_mul_i32 s8, s69, s8
	s_mov_b32 s9, s28
	s_lshl_b64 s[8:9], s[8:9], 3
	s_add_u32 s40, s16, s8
	s_addc_u32 s41, s17, s9
	s_branch .LBB52_12
.LBB52_11:                              ;   in Loop: Header=BB52_8 Depth=2
	s_mov_b64 s[40:41], 0
.LBB52_12:                              ;   in Loop: Header=BB52_8 Depth=2
	v_min_i32_e32 v4, v4, v2
	v_mov_b32_e32 v2, s26
	v_mov_b32_e32 v5, s70
	v_cmp_eq_u32_e32 vcc, s33, v4
	s_cmp_eq_u32 s33, s84
	v_cndmask_b32_e32 v2, v2, v5, vcc
	s_cselect_b32 s8, s70, s26
	v_add_u32_e32 v30, s8, v2
	s_and_b64 s[8:9], s[0:1], exec
	s_cselect_b32 s39, s41, s67
	s_cselect_b32 s83, s40, s66
	s_cmp_eq_u64 s[40:41], 0
	s_cselect_b64 s[42:43], -1, 0
	s_cmp_lg_u64 s[40:41], 0
	s_cselect_b64 s[44:45], -1, 0
	s_and_b64 vcc, exec, s[42:43]
	s_cbranch_vccnz .LBB52_20
; %bb.13:                               ;   in Loop: Header=BB52_8 Depth=2
	v_cmp_lt_u32_e32 vcc, v17, v30
	s_barrier
	s_and_saveexec_b64 s[46:47], vcc
	s_cbranch_execz .LBB52_19
; %bb.14:                               ;   in Loop: Header=BB52_8 Depth=2
	v_cmp_lt_u32_e32 vcc, v16, v30
	s_mov_b64 s[48:49], 0
	v_mov_b32_e32 v5, v19
	v_mov_b32_e32 v6, v17
	s_branch .LBB52_16
.LBB52_15:                              ;   in Loop: Header=BB52_16 Depth=3
	s_or_b64 exec, exec, s[50:51]
	v_add_u32_e32 v6, s64, v6
	v_cmp_ge_u32_e64 s[8:9], v6, v30
	s_or_b64 s[48:49], s[8:9], s[48:49]
	v_add_u32_e32 v5, s78, v5
	s_andn2_b64 exec, exec, s[48:49]
	s_cbranch_execz .LBB52_19
.LBB52_16:                              ;   Parent Loop BB52_3 Depth=1
                                        ;     Parent Loop BB52_8 Depth=2
                                        ; =>    This Loop Header: Depth=3
                                        ;         Child Loop BB52_18 Depth 4
	s_and_saveexec_b64 s[50:51], vcc
	s_cbranch_execz .LBB52_15
; %bb.17:                               ;   in Loop: Header=BB52_16 Depth=3
	s_mov_b64 s[52:53], 0
	v_mov_b32_e32 v7, v16
.LBB52_18:                              ;   Parent Loop BB52_3 Depth=1
                                        ;     Parent Loop BB52_8 Depth=2
                                        ;       Parent Loop BB52_16 Depth=3
                                        ; =>      This Inner Loop Header: Depth=4
	v_add_u32_e32 v2, v5, v7
	v_cmp_eq_u32_e64 s[8:9], v6, v7
	v_add_u32_e32 v7, s31, v7
	v_lshlrev_b64 v[10:11], 3, v[2:3]
	v_cndmask_b32_e64 v9, 0, v24, s[8:9]
	v_mov_b32_e32 v12, s39
	v_cmp_ge_u32_e64 s[8:9], v7, v30
	v_add_co_u32_e64 v10, s[10:11], s83, v10
	v_mov_b32_e32 v8, v3
	v_addc_co_u32_e64 v11, s[10:11], v12, v11, s[10:11]
	s_or_b64 s[52:53], s[8:9], s[52:53]
	flat_store_dwordx2 v[10:11], v[8:9]
	s_andn2_b64 exec, exec, s[52:53]
	s_cbranch_execnz .LBB52_18
	s_branch .LBB52_15
.LBB52_19:                              ;   in Loop: Header=BB52_8 Depth=2
	s_or_b64 exec, exec, s[46:47]
	s_waitcnt lgkmcnt(0)
	s_barrier
.LBB52_20:                              ;   in Loop: Header=BB52_8 Depth=2
	s_andn2_b64 vcc, exec, s[14:15]
	s_cbranch_vccnz .LBB52_75
; %bb.21:                               ;   in Loop: Header=BB52_8 Depth=2
	v_mul_lo_u32 v31, v4, s26
	s_mul_i32 s84, s84, s26
	v_add_u32_e32 v32, v16, v31
	s_mov_b32 s85, 0
	v_mov_b32_e32 v33, v16
	s_branch .LBB52_23
.LBB52_22:                              ;   in Loop: Header=BB52_23 Depth=3
	s_or_b64 exec, exec, s[10:11]
	s_add_i32 s85, s85, 1
	s_cmp_eq_u32 s85, s26
	v_add_u32_e32 v33, 1, v33
	s_cbranch_scc1 .LBB52_75
.LBB52_23:                              ;   Parent Loop BB52_3 Depth=1
                                        ;     Parent Loop BB52_8 Depth=2
                                        ; =>    This Loop Header: Depth=3
                                        ;         Child Loop BB52_26 Depth 4
                                        ;           Child Loop BB52_33 Depth 5
                                        ;         Child Loop BB52_48 Depth 4
                                        ;           Child Loop BB52_51 Depth 5
	;; [unrolled: 2-line block ×4, first 2 shown]
	s_and_saveexec_b64 s[46:47], s[2:3]
	s_cbranch_execz .LBB52_45
; %bb.24:                               ;   in Loop: Header=BB52_23 Depth=3
	s_mov_b64 s[48:49], 0
	v_mov_b32_e32 v34, v17
	s_branch .LBB52_26
.LBB52_25:                              ;   in Loop: Header=BB52_26 Depth=4
	s_or_b64 exec, exec, s[50:51]
	v_add_u32_e32 v34, s64, v34
	v_cmp_le_u32_e32 vcc, s26, v34
	s_or_b64 s[48:49], vcc, s[48:49]
	s_andn2_b64 exec, exec, s[48:49]
	s_cbranch_execz .LBB52_45
.LBB52_26:                              ;   Parent Loop BB52_3 Depth=1
                                        ;     Parent Loop BB52_8 Depth=2
                                        ;       Parent Loop BB52_23 Depth=3
                                        ; =>      This Loop Header: Depth=4
                                        ;           Child Loop BB52_33 Depth 5
	s_and_saveexec_b64 s[50:51], s[4:5]
	s_cbranch_execz .LBB52_25
; %bb.27:                               ;   in Loop: Header=BB52_26 Depth=4
	s_mov_b32 s29, 0
	v_cmp_eq_u32_e64 s[8:9], 0, v34
	s_mov_b64 s[52:53], 0
	v_mov_b32_e32 v35, v20
	v_mov_b32_e32 v36, v33
	s_branch .LBB52_33
.LBB52_28:                              ;   in Loop: Header=BB52_33 Depth=5
	s_or_b64 exec, exec, s[60:61]
.LBB52_29:                              ;   in Loop: Header=BB52_33 Depth=5
	s_or_b64 exec, exec, s[58:59]
.LBB52_30:                              ;   in Loop: Header=BB52_33 Depth=5
	s_or_b64 exec, exec, s[10:11]
	v_mul_f64 v[6:7], v[4:5], v[12:13]
	v_and_b32_e32 v9, 0x7fffffff, v5
	v_mov_b32_e32 v8, v4
	v_div_scale_f64 v[12:13], s[10:11], v[8:9], v[8:9], v[6:7]
	v_rcp_f64_e32 v[14:15], v[12:13]
	v_div_scale_f64 v[8:9], vcc, v[6:7], v[8:9], v[6:7]
	v_fma_f64 v[38:39], -v[12:13], v[14:15], 1.0
	v_fmac_f64_e32 v[14:15], v[14:15], v[38:39]
	v_fma_f64 v[38:39], -v[12:13], v[14:15], 1.0
	v_fmac_f64_e32 v[14:15], v[14:15], v[38:39]
	v_mul_f64 v[38:39], v[8:9], v[14:15]
	v_fma_f64 v[8:9], -v[12:13], v[38:39], v[8:9]
	v_div_fmas_f64 v[8:9], v[8:9], v[14:15], v[38:39]
	v_div_fixup_f64 v[12:13], v[8:9], |v[4:5]|, v[6:7]
.LBB52_31:                              ;   in Loop: Header=BB52_33 Depth=5
	s_or_b64 exec, exec, s[56:57]
	v_add_u32_e32 v2, s65, v35
	ds_write_b64 v35, v[10:11]
	ds_write_b64 v2, v[12:13]
.LBB52_32:                              ;   in Loop: Header=BB52_33 Depth=5
	s_or_b64 exec, exec, s[54:55]
	s_add_i32 s29, s29, s31
	v_add_u32_e32 v2, s29, v16
	v_cmp_le_u32_e32 vcc, s26, v2
	v_add_u32_e32 v36, s31, v36
	s_or_b64 s[52:53], vcc, s[52:53]
	v_add_u32_e32 v35, s79, v35
	s_andn2_b64 exec, exec, s[52:53]
	s_cbranch_execz .LBB52_25
.LBB52_33:                              ;   Parent Loop BB52_3 Depth=1
                                        ;     Parent Loop BB52_8 Depth=2
                                        ;       Parent Loop BB52_23 Depth=3
                                        ;         Parent Loop BB52_26 Depth=4
                                        ; =>        This Inner Loop Header: Depth=5
	v_mul_hi_u32 v2, v18, v36
	v_mul_lo_u32 v4, s26, v2
	v_sub_u32_e32 v4, s85, v4
	v_not_b32_e32 v2, v2
	v_add_u32_e32 v6, s29, v16
	v_mul_lo_u32 v5, s26, v2
	v_add_u32_e32 v4, v6, v4
	v_add3_u32 v5, s85, v5, v6
	v_cmp_le_u32_e32 vcc, s26, v4
	v_cndmask_b32_e32 v4, v4, v5, vcc
	v_subrev_u32_e32 v5, s26, v4
	v_cmp_le_u32_e32 vcc, s26, v4
	v_add_u32_e32 v2, s29, v32
	v_cndmask_b32_e32 v4, v4, v5, vcc
	v_add_u32_e32 v6, s84, v4
	v_cmp_gt_u32_e32 vcc, s27, v2
	s_and_b64 s[10:11], s[8:9], vcc
	v_cmp_gt_u32_e32 vcc, s27, v6
	s_and_b64 s[10:11], s[10:11], vcc
	s_and_saveexec_b64 s[54:55], s[10:11]
	s_cbranch_execz .LBB52_32
; %bb.34:                               ;   in Loop: Header=BB52_33 Depth=5
	v_mad_u64_u32 v[4:5], s[10:11], v6, s72, 0
	v_mov_b32_e32 v8, v5
	v_mad_u64_u32 v[8:9], s[10:11], v6, s71, v[8:9]
	v_mov_b32_e32 v5, v8
	v_lshlrev_b64 v[4:5], 3, v[4:5]
	v_mov_b32_e32 v7, s81
	v_add_co_u32_e32 v14, vcc, s25, v4
	v_addc_co_u32_e32 v15, vcc, v7, v5, vcc
	v_lshlrev_b64 v[8:9], 3, v[2:3]
	v_add_co_u32_e32 v4, vcc, v14, v8
	v_addc_co_u32_e32 v5, vcc, v15, v9, vcc
	global_load_dwordx2 v[4:5], v[4:5], off
	v_pk_mov_b32 v[12:13], 0, 0
	s_waitcnt vmcnt(0)
	v_mul_f64 v[10:11], v[4:5], v[4:5]
	v_cmp_nlt_f64_e32 vcc, v[10:11], v[0:1]
	v_mov_b32_e32 v10, 0
	v_mov_b32_e32 v11, 0x3ff00000
	s_and_saveexec_b64 s[56:57], vcc
	s_cbranch_execz .LBB52_31
; %bb.35:                               ;   in Loop: Header=BB52_33 Depth=5
	v_mad_u64_u32 v[10:11], s[10:11], v2, s72, 0
	v_mov_b32_e32 v7, v3
	v_mov_b32_e32 v12, v11
	v_lshlrev_b64 v[6:7], 3, v[6:7]
	v_mad_u64_u32 v[12:13], s[10:11], v2, s71, v[12:13]
	v_add_co_u32_e32 v6, vcc, v14, v6
	v_mov_b32_e32 v11, v12
	v_addc_co_u32_e32 v7, vcc, v15, v7, vcc
	v_lshlrev_b64 v[10:11], 3, v[10:11]
	v_mov_b32_e32 v2, s81
	v_add_co_u32_e32 v10, vcc, s25, v10
	v_addc_co_u32_e32 v2, vcc, v2, v11, vcc
	v_add_co_u32_e32 v8, vcc, v10, v8
	v_addc_co_u32_e32 v9, vcc, v2, v9, vcc
	global_load_dwordx2 v[10:11], v[6:7], off
	s_nop 0
	global_load_dwordx2 v[8:9], v[8:9], off
	v_add_f64 v[6:7], |v[4:5]|, |v[4:5]|
	s_waitcnt vmcnt(0)
	v_add_f64 v[8:9], v[10:11], -v[8:9]
	v_max_f64 v[10:11], |v[8:9]|, |v[6:7]|
	v_frexp_exp_i32_f64_e32 v2, v[10:11]
	v_sub_u32_e32 v12, 0, v2
	v_ldexp_f64 v[10:11], |v[8:9]|, v12
	v_ldexp_f64 v[12:13], |v[6:7]|, v12
	v_mul_f64 v[12:13], v[12:13], v[12:13]
	v_fmac_f64_e32 v[12:13], v[10:11], v[10:11]
	v_rsq_f64_e32 v[10:11], v[12:13]
	v_cmp_eq_f64_e64 s[10:11], 0, v[12:13]
	v_cmp_ngt_f64_e32 vcc, 0, v[8:9]
	v_cmp_class_f64_e64 s[58:59], v[8:9], s80
	v_mul_f64 v[14:15], v[12:13], v[10:11]
	v_mul_f64 v[10:11], v[10:11], 0.5
	v_fma_f64 v[38:39], -v[10:11], v[14:15], 0.5
	v_fmac_f64_e32 v[14:15], v[14:15], v[38:39]
	v_fmac_f64_e32 v[10:11], v[10:11], v[38:39]
	v_fma_f64 v[38:39], -v[14:15], v[14:15], v[12:13]
	v_fmac_f64_e32 v[14:15], v[38:39], v[10:11]
	v_cndmask_b32_e64 v11, v15, v13, s[10:11]
	v_cndmask_b32_e64 v10, v14, v12, s[10:11]
	v_cmp_class_f64_e64 s[10:11], v[6:7], s80
                                        ; implicit-def: $vgpr14_vgpr15
	s_and_saveexec_b64 s[60:61], vcc
	s_xor_b64 s[60:61], exec, s[60:61]
; %bb.36:                               ;   in Loop: Header=BB52_33 Depth=5
	v_ldexp_f64 v[10:11], v[10:11], v2
	v_cmp_o_f64_e32 vcc, v[8:9], v[6:7]
	v_cndmask_b32_e32 v2, 0, v10, vcc
	v_cndmask_b32_e32 v10, v25, v11, vcc
	s_or_b64 vcc, s[10:11], s[58:59]
	v_cndmask_b32_e32 v15, v10, v26, vcc
	v_cndmask_b32_e64 v14, v2, 0, vcc
                                        ; implicit-def: $vgpr10_vgpr11
                                        ; implicit-def: $vgpr2
; %bb.37:                               ;   in Loop: Header=BB52_33 Depth=5
	s_andn2_saveexec_b64 s[60:61], s[60:61]
; %bb.38:                               ;   in Loop: Header=BB52_33 Depth=5
	v_ldexp_f64 v[10:11], -v[10:11], v2
	v_cmp_o_f64_e32 vcc, v[6:7], v[6:7]
	v_cndmask_b32_e32 v2, 0, v10, vcc
	v_cndmask_b32_e32 v10, v27, v11, vcc
	s_or_b64 vcc, s[10:11], s[58:59]
	v_cndmask_b32_e32 v15, v10, v28, vcc
	v_cndmask_b32_e64 v14, v2, 0, vcc
; %bb.39:                               ;   in Loop: Header=BB52_33 Depth=5
	s_or_b64 exec, exec, s[60:61]
	v_mov_b32_e32 v10, 0
	v_cmp_neq_f64_e32 vcc, 0, v[6:7]
	v_pk_mov_b32 v[12:13], 0, 0
	v_mov_b32_e32 v11, 0x3ff00000
	s_and_saveexec_b64 s[10:11], vcc
	s_cbranch_execz .LBB52_30
; %bb.40:                               ;   in Loop: Header=BB52_33 Depth=5
	v_add_f64 v[8:9], v[8:9], v[14:15]
	v_mov_b32_e32 v12, 0
	v_cmp_neq_f64_e32 vcc, 0, v[8:9]
	v_pk_mov_b32 v[10:11], 0, 0
	v_mov_b32_e32 v13, 0x3ff00000
	s_and_saveexec_b64 s[58:59], vcc
	s_cbranch_execz .LBB52_29
; %bb.41:                               ;   in Loop: Header=BB52_33 Depth=5
	v_cmp_ngt_f64_e64 s[60:61], |v[6:7]|, |v[8:9]|
                                        ; implicit-def: $vgpr10_vgpr11
                                        ; implicit-def: $vgpr12_vgpr13
	s_and_saveexec_b64 s[86:87], s[60:61]
	s_xor_b64 s[60:61], exec, s[86:87]
	s_cbranch_execz .LBB52_43
; %bb.42:                               ;   in Loop: Header=BB52_33 Depth=5
	v_div_scale_f64 v[10:11], s[86:87], v[8:9], v[8:9], -v[6:7]
	v_rcp_f64_e32 v[12:13], v[10:11]
	v_div_scale_f64 v[14:15], vcc, -v[6:7], v[8:9], -v[6:7]
	v_fma_f64 v[38:39], -v[10:11], v[12:13], 1.0
	v_fmac_f64_e32 v[12:13], v[12:13], v[38:39]
	v_fma_f64 v[38:39], -v[10:11], v[12:13], 1.0
	v_fmac_f64_e32 v[12:13], v[12:13], v[38:39]
	v_mul_f64 v[38:39], v[14:15], v[12:13]
	v_fma_f64 v[10:11], -v[10:11], v[38:39], v[14:15]
	v_div_fmas_f64 v[10:11], v[10:11], v[12:13], v[38:39]
	v_div_fixup_f64 v[6:7], v[10:11], v[8:9], -v[6:7]
	v_fma_f64 v[8:9], v[6:7], v[6:7], 1.0
	v_cmp_gt_f64_e32 vcc, s[22:23], v[8:9]
	v_cndmask_b32_e64 v2, 0, 1, vcc
	v_lshlrev_b32_e32 v2, 8, v2
	v_ldexp_f64 v[8:9], v[8:9], v2
	v_rsq_f64_e32 v[10:11], v[8:9]
	v_cndmask_b32_e32 v2, 0, v29, vcc
	v_cmp_class_f64_e32 vcc, v[8:9], v23
	v_mul_f64 v[12:13], v[8:9], v[10:11]
	v_mul_f64 v[10:11], v[10:11], 0.5
	v_fma_f64 v[14:15], -v[10:11], v[12:13], 0.5
	v_fmac_f64_e32 v[12:13], v[12:13], v[14:15]
	v_fma_f64 v[38:39], -v[12:13], v[12:13], v[8:9]
	v_fmac_f64_e32 v[10:11], v[10:11], v[14:15]
	v_fmac_f64_e32 v[12:13], v[38:39], v[10:11]
	v_fma_f64 v[14:15], -v[12:13], v[12:13], v[8:9]
	v_fmac_f64_e32 v[12:13], v[14:15], v[10:11]
	v_ldexp_f64 v[10:11], v[12:13], v2
	v_cndmask_b32_e32 v9, v11, v9, vcc
	v_cndmask_b32_e32 v8, v10, v8, vcc
	v_div_scale_f64 v[10:11], s[86:87], v[8:9], v[8:9], 1.0
	v_rcp_f64_e32 v[12:13], v[10:11]
	v_fma_f64 v[14:15], -v[10:11], v[12:13], 1.0
	v_fmac_f64_e32 v[12:13], v[12:13], v[14:15]
	v_fma_f64 v[14:15], -v[10:11], v[12:13], 1.0
	v_fmac_f64_e32 v[12:13], v[12:13], v[14:15]
	v_div_scale_f64 v[14:15], vcc, 1.0, v[8:9], 1.0
	v_mul_f64 v[38:39], v[14:15], v[12:13]
	v_fma_f64 v[10:11], -v[10:11], v[38:39], v[14:15]
	s_nop 1
	v_div_fmas_f64 v[10:11], v[10:11], v[12:13], v[38:39]
	v_div_fixup_f64 v[10:11], v[10:11], v[8:9], 1.0
	v_mul_f64 v[12:13], v[6:7], v[10:11]
                                        ; implicit-def: $vgpr6_vgpr7
                                        ; implicit-def: $vgpr8_vgpr9
.LBB52_43:                              ;   in Loop: Header=BB52_33 Depth=5
	s_andn2_saveexec_b64 s[60:61], s[60:61]
	s_cbranch_execz .LBB52_28
; %bb.44:                               ;   in Loop: Header=BB52_33 Depth=5
	v_div_scale_f64 v[10:11], s[86:87], v[6:7], v[6:7], -v[8:9]
	v_rcp_f64_e32 v[12:13], v[10:11]
	v_div_scale_f64 v[14:15], vcc, -v[8:9], v[6:7], -v[8:9]
	v_fma_f64 v[38:39], -v[10:11], v[12:13], 1.0
	v_fmac_f64_e32 v[12:13], v[12:13], v[38:39]
	v_fma_f64 v[38:39], -v[10:11], v[12:13], 1.0
	v_fmac_f64_e32 v[12:13], v[12:13], v[38:39]
	v_mul_f64 v[38:39], v[14:15], v[12:13]
	v_fma_f64 v[10:11], -v[10:11], v[38:39], v[14:15]
	v_div_fmas_f64 v[10:11], v[10:11], v[12:13], v[38:39]
	v_div_fixup_f64 v[6:7], v[10:11], v[6:7], -v[8:9]
	v_fma_f64 v[8:9], v[6:7], v[6:7], 1.0
	v_cmp_gt_f64_e32 vcc, s[22:23], v[8:9]
	v_cndmask_b32_e64 v2, 0, 1, vcc
	v_lshlrev_b32_e32 v2, 8, v2
	v_ldexp_f64 v[8:9], v[8:9], v2
	v_rsq_f64_e32 v[10:11], v[8:9]
	v_cndmask_b32_e32 v2, 0, v29, vcc
	v_cmp_class_f64_e32 vcc, v[8:9], v23
	v_mul_f64 v[12:13], v[8:9], v[10:11]
	v_mul_f64 v[10:11], v[10:11], 0.5
	v_fma_f64 v[14:15], -v[10:11], v[12:13], 0.5
	v_fmac_f64_e32 v[12:13], v[12:13], v[14:15]
	v_fma_f64 v[38:39], -v[12:13], v[12:13], v[8:9]
	v_fmac_f64_e32 v[10:11], v[10:11], v[14:15]
	v_fmac_f64_e32 v[12:13], v[38:39], v[10:11]
	v_fma_f64 v[14:15], -v[12:13], v[12:13], v[8:9]
	v_fmac_f64_e32 v[12:13], v[14:15], v[10:11]
	v_ldexp_f64 v[10:11], v[12:13], v2
	v_cndmask_b32_e32 v9, v11, v9, vcc
	v_cndmask_b32_e32 v8, v10, v8, vcc
	v_div_scale_f64 v[10:11], s[86:87], v[8:9], v[8:9], 1.0
	v_rcp_f64_e32 v[12:13], v[10:11]
	v_fma_f64 v[14:15], -v[10:11], v[12:13], 1.0
	v_fmac_f64_e32 v[12:13], v[12:13], v[14:15]
	v_fma_f64 v[14:15], -v[10:11], v[12:13], 1.0
	v_fmac_f64_e32 v[12:13], v[12:13], v[14:15]
	v_div_scale_f64 v[14:15], vcc, 1.0, v[8:9], 1.0
	v_mul_f64 v[38:39], v[14:15], v[12:13]
	v_fma_f64 v[10:11], -v[10:11], v[38:39], v[14:15]
	s_nop 1
	v_div_fmas_f64 v[10:11], v[10:11], v[12:13], v[38:39]
	v_div_fixup_f64 v[12:13], v[10:11], v[8:9], 1.0
	v_mul_f64 v[10:11], v[6:7], v[12:13]
	s_branch .LBB52_28
.LBB52_45:                              ;   in Loop: Header=BB52_23 Depth=3
	s_or_b64 exec, exec, s[46:47]
	s_waitcnt lgkmcnt(0)
	s_barrier
	s_and_saveexec_b64 s[10:11], s[2:3]
	s_cbranch_execz .LBB52_58
; %bb.46:                               ;   in Loop: Header=BB52_23 Depth=3
	s_mov_b64 s[46:47], 0
	v_mov_b32_e32 v12, v22
	v_mov_b32_e32 v13, v21
	;; [unrolled: 1-line block ×3, first 2 shown]
	s_branch .LBB52_48
.LBB52_47:                              ;   in Loop: Header=BB52_48 Depth=4
	s_or_b64 exec, exec, s[48:49]
	v_add_u32_e32 v14, s64, v14
	v_cmp_le_u32_e32 vcc, s26, v14
	v_add_u32_e32 v13, s78, v13
	s_or_b64 s[46:47], vcc, s[46:47]
	v_add_u32_e32 v12, s78, v12
	s_andn2_b64 exec, exec, s[46:47]
	s_cbranch_execz .LBB52_58
.LBB52_48:                              ;   Parent Loop BB52_3 Depth=1
                                        ;     Parent Loop BB52_8 Depth=2
                                        ;       Parent Loop BB52_23 Depth=3
                                        ; =>      This Loop Header: Depth=4
                                        ;           Child Loop BB52_51 Depth 5
	s_and_saveexec_b64 s[48:49], s[4:5]
	s_cbranch_execz .LBB52_47
; %bb.49:                               ;   in Loop: Header=BB52_48 Depth=4
	v_add_u32_e32 v2, v14, v31
	v_add_u32_e32 v6, s84, v14
	;; [unrolled: 1-line block ×3, first 2 shown]
	v_mov_b32_e32 v7, v3
	v_mul_lo_u32 v15, v14, s68
	v_cmp_gt_u32_e64 s[8:9], s27, v6
	v_mul_lo_u32 v34, v4, s68
	s_mov_b32 s29, 0
	s_mov_b64 s[50:51], 0
	v_lshlrev_b64 v[4:5], 3, v[2:3]
	v_lshlrev_b64 v[6:7], 3, v[6:7]
	v_mov_b32_e32 v35, v20
	v_mov_b32_e32 v36, v33
	s_branch .LBB52_51
.LBB52_50:                              ;   in Loop: Header=BB52_51 Depth=5
	s_or_b64 exec, exec, s[52:53]
	s_add_i32 s29, s29, s31
	v_add_u32_e32 v2, s29, v16
	v_cmp_le_u32_e32 vcc, s26, v2
	v_add_u32_e32 v36, s31, v36
	s_or_b64 s[50:51], vcc, s[50:51]
	v_add_u32_e32 v35, s79, v35
	s_andn2_b64 exec, exec, s[50:51]
	s_cbranch_execz .LBB52_47
.LBB52_51:                              ;   Parent Loop BB52_3 Depth=1
                                        ;     Parent Loop BB52_8 Depth=2
                                        ;       Parent Loop BB52_23 Depth=3
                                        ;         Parent Loop BB52_48 Depth=4
                                        ; =>        This Inner Loop Header: Depth=5
	v_mul_hi_u32 v2, v18, v36
	v_mul_lo_u32 v8, s26, v2
	v_sub_u32_e32 v8, s85, v8
	v_not_b32_e32 v2, v2
	v_add_u32_e32 v9, s29, v16
	v_mul_lo_u32 v2, s26, v2
	v_add_u32_e32 v8, v9, v8
	v_add3_u32 v2, s85, v2, v9
	v_cmp_le_u32_e32 vcc, s26, v8
	v_cndmask_b32_e32 v2, v8, v2, vcc
	v_subrev_u32_e32 v8, s26, v2
	v_cmp_le_u32_e32 vcc, s26, v2
	v_cndmask_b32_e32 v2, v2, v8, vcc
	v_add_u32_e32 v38, s29, v32
	v_add_u32_e32 v37, s84, v2
	v_max_u32_e32 v8, v38, v37
	v_cmp_gt_u32_e32 vcc, s27, v8
	s_and_saveexec_b64 s[52:53], vcc
	s_cbranch_execz .LBB52_50
; %bb.52:                               ;   in Loop: Header=BB52_51 Depth=5
	v_add_u32_e32 v10, s65, v35
	ds_read_b64 v[8:9], v35
	ds_read_b64 v[10:11], v10
	s_andn2_b64 vcc, exec, s[44:45]
	s_cbranch_vccnz .LBB52_56
; %bb.53:                               ;   in Loop: Header=BB52_51 Depth=5
	v_add_u32_e32 v39, s26, v2
	v_add_u32_e32 v2, s29, v13
	v_lshlrev_b64 v[40:41], 3, v[2:3]
	v_mov_b32_e32 v2, s39
	v_add_co_u32_e32 v40, vcc, s83, v40
	v_addc_co_u32_e32 v41, vcc, v2, v41, vcc
	v_add_u32_e32 v2, v39, v15
	v_lshlrev_b64 v[42:43], 3, v[2:3]
	v_mov_b32_e32 v2, s39
	v_add_co_u32_e32 v42, vcc, s83, v42
	v_addc_co_u32_e32 v43, vcc, v2, v43, vcc
	flat_load_dwordx2 v[44:45], v[40:41]
	flat_load_dwordx2 v[46:47], v[42:43]
	s_waitcnt vmcnt(0) lgkmcnt(0)
	v_mul_f64 v[48:49], v[10:11], v[44:45]
	v_mul_f64 v[50:51], v[10:11], v[46:47]
	v_fmac_f64_e32 v[50:51], v[8:9], v[44:45]
	v_fma_f64 v[46:47], v[8:9], v[46:47], -v[48:49]
	flat_store_dwordx2 v[40:41], v[50:51]
	flat_store_dwordx2 v[42:43], v[46:47]
	s_and_saveexec_b64 s[54:55], s[8:9]
	s_cbranch_execz .LBB52_55
; %bb.54:                               ;   in Loop: Header=BB52_51 Depth=5
	v_add_u32_e32 v2, s29, v12
	v_lshlrev_b64 v[40:41], 3, v[2:3]
	v_mov_b32_e32 v2, s39
	v_add_co_u32_e32 v40, vcc, s83, v40
	v_addc_co_u32_e32 v41, vcc, v2, v41, vcc
	v_add_u32_e32 v2, v39, v34
	v_lshlrev_b64 v[42:43], 3, v[2:3]
	v_mov_b32_e32 v2, s39
	v_add_co_u32_e32 v42, vcc, s83, v42
	v_addc_co_u32_e32 v43, vcc, v2, v43, vcc
	flat_load_dwordx2 v[44:45], v[40:41]
	flat_load_dwordx2 v[46:47], v[42:43]
	s_waitcnt vmcnt(0) lgkmcnt(0)
	v_mul_f64 v[48:49], v[10:11], v[44:45]
	v_mul_f64 v[50:51], v[10:11], v[46:47]
	v_fmac_f64_e32 v[50:51], v[8:9], v[44:45]
	v_fma_f64 v[46:47], v[8:9], v[46:47], -v[48:49]
	flat_store_dwordx2 v[40:41], v[50:51]
	flat_store_dwordx2 v[42:43], v[46:47]
.LBB52_55:                              ;   in Loop: Header=BB52_51 Depth=5
	s_or_b64 exec, exec, s[54:55]
.LBB52_56:                              ;   in Loop: Header=BB52_51 Depth=5
	v_mad_u64_u32 v[40:41], s[54:55], v38, s72, 0
	v_mov_b32_e32 v2, v41
	v_mad_u64_u32 v[38:39], s[54:55], v38, s71, v[2:3]
	v_mov_b32_e32 v41, v38
	v_lshlrev_b64 v[38:39], 3, v[40:41]
	v_mad_u64_u32 v[42:43], s[54:55], v37, s72, 0
	v_mov_b32_e32 v40, s81
	v_add_co_u32_e32 v2, vcc, s25, v38
	v_mov_b32_e32 v44, v43
	v_addc_co_u32_e32 v38, vcc, v40, v39, vcc
	v_mad_u64_u32 v[44:45], s[54:55], v37, s71, v[44:45]
	v_add_co_u32_e32 v40, vcc, v2, v4
	v_mov_b32_e32 v43, v44
	v_addc_co_u32_e32 v41, vcc, v38, v5, vcc
	v_lshlrev_b64 v[42:43], 3, v[42:43]
	v_mov_b32_e32 v39, s81
	v_add_co_u32_e32 v37, vcc, s25, v42
	v_addc_co_u32_e32 v39, vcc, v39, v43, vcc
	v_add_co_u32_e32 v42, vcc, v37, v4
	v_addc_co_u32_e32 v43, vcc, v39, v5, vcc
	global_load_dwordx2 v[44:45], v[42:43], off
	global_load_dwordx2 v[46:47], v[40:41], off
	s_waitcnt vmcnt(0) lgkmcnt(0)
	v_mul_f64 v[48:49], v[10:11], v[44:45]
	v_mul_f64 v[50:51], v[10:11], v[46:47]
	v_fmac_f64_e32 v[48:49], v[8:9], v[46:47]
	v_fma_f64 v[44:45], v[8:9], v[44:45], -v[50:51]
	global_store_dwordx2 v[40:41], v[48:49], off
	global_store_dwordx2 v[42:43], v[44:45], off
	s_and_b64 exec, exec, s[8:9]
	s_cbranch_execz .LBB52_50
; %bb.57:                               ;   in Loop: Header=BB52_51 Depth=5
	v_add_co_u32_e32 v40, vcc, v2, v6
	v_addc_co_u32_e32 v41, vcc, v38, v7, vcc
	v_add_co_u32_e32 v38, vcc, v37, v6
	v_addc_co_u32_e32 v39, vcc, v39, v7, vcc
	global_load_dwordx2 v[42:43], v[38:39], off
	global_load_dwordx2 v[44:45], v[40:41], off
	s_waitcnt vmcnt(1)
	v_mul_f64 v[46:47], v[10:11], v[42:43]
	s_waitcnt vmcnt(0)
	v_mul_f64 v[10:11], v[10:11], v[44:45]
	v_fmac_f64_e32 v[46:47], v[8:9], v[44:45]
	v_fma_f64 v[8:9], v[8:9], v[42:43], -v[10:11]
	global_store_dwordx2 v[40:41], v[46:47], off
	global_store_dwordx2 v[38:39], v[8:9], off
	s_branch .LBB52_50
.LBB52_58:                              ;   in Loop: Header=BB52_23 Depth=3
	s_or_b64 exec, exec, s[10:11]
	s_barrier
	s_and_saveexec_b64 s[10:11], s[2:3]
	s_cbranch_execz .LBB52_67
; %bb.59:                               ;   in Loop: Header=BB52_23 Depth=3
	s_mov_b64 s[46:47], 0
	v_mov_b32_e32 v12, v17
	s_branch .LBB52_61
.LBB52_60:                              ;   in Loop: Header=BB52_61 Depth=4
	s_or_b64 exec, exec, s[48:49]
	v_add_u32_e32 v12, s64, v12
	v_cmp_le_u32_e32 vcc, s26, v12
	s_or_b64 s[46:47], vcc, s[46:47]
	s_andn2_b64 exec, exec, s[46:47]
	s_cbranch_execz .LBB52_67
.LBB52_61:                              ;   Parent Loop BB52_3 Depth=1
                                        ;     Parent Loop BB52_8 Depth=2
                                        ;       Parent Loop BB52_23 Depth=3
                                        ; =>      This Loop Header: Depth=4
                                        ;           Child Loop BB52_64 Depth 5
	s_and_saveexec_b64 s[48:49], s[4:5]
	s_cbranch_execz .LBB52_60
; %bb.62:                               ;   in Loop: Header=BB52_61 Depth=4
	v_add_u32_e32 v6, v12, v31
	v_mad_u64_u32 v[4:5], s[8:9], v6, s72, 0
	v_mov_b32_e32 v2, v5
	v_mad_u64_u32 v[6:7], s[8:9], v6, s71, v[2:3]
	v_mov_b32_e32 v5, v6
	v_lshlrev_b64 v[4:5], 3, v[4:5]
	v_add_u32_e32 v8, s84, v12
	v_mov_b32_e32 v2, s81
	v_add_co_u32_e32 v13, vcc, s25, v4
	v_addc_co_u32_e32 v14, vcc, v2, v5, vcc
	v_mad_u64_u32 v[4:5], s[8:9], v8, s72, 0
	v_mov_b32_e32 v2, v5
	v_mad_u64_u32 v[6:7], s[8:9], v8, s71, v[2:3]
	v_mov_b32_e32 v5, v6
	v_lshlrev_b64 v[4:5], 3, v[4:5]
	v_mov_b32_e32 v2, s81
	v_add_co_u32_e64 v15, s[8:9], s25, v4
	v_cmp_gt_u32_e32 vcc, s27, v8
	v_addc_co_u32_e64 v34, s[8:9], v2, v5, s[8:9]
	s_mov_b32 s29, 0
	s_mov_b64 s[50:51], 0
	v_mov_b32_e32 v35, v20
	v_mov_b32_e32 v36, v33
	s_branch .LBB52_64
.LBB52_63:                              ;   in Loop: Header=BB52_64 Depth=5
	s_or_b64 exec, exec, s[52:53]
	s_add_i32 s29, s29, s31
	v_add_u32_e32 v2, s29, v16
	v_cmp_le_u32_e64 s[8:9], s26, v2
	v_add_u32_e32 v36, s31, v36
	s_or_b64 s[50:51], s[8:9], s[50:51]
	v_add_u32_e32 v35, s79, v35
	s_andn2_b64 exec, exec, s[50:51]
	s_cbranch_execz .LBB52_60
.LBB52_64:                              ;   Parent Loop BB52_3 Depth=1
                                        ;     Parent Loop BB52_8 Depth=2
                                        ;       Parent Loop BB52_23 Depth=3
                                        ;         Parent Loop BB52_61 Depth=4
                                        ; =>        This Inner Loop Header: Depth=5
	v_mul_hi_u32 v2, v18, v36
	v_mul_lo_u32 v4, s26, v2
	v_sub_u32_e32 v4, s85, v4
	v_not_b32_e32 v2, v2
	v_add_u32_e32 v6, s29, v16
	v_mul_lo_u32 v5, s26, v2
	v_add_u32_e32 v4, v6, v4
	v_add3_u32 v5, s85, v5, v6
	v_cmp_le_u32_e64 s[8:9], s26, v4
	v_cndmask_b32_e64 v4, v4, v5, s[8:9]
	v_subrev_u32_e32 v5, s26, v4
	v_cmp_le_u32_e64 s[8:9], s26, v4
	v_cndmask_b32_e64 v4, v4, v5, s[8:9]
	v_add_u32_e32 v2, s29, v32
	v_add_u32_e32 v6, s84, v4
	v_max_u32_e32 v4, v2, v6
	v_cmp_gt_u32_e64 s[8:9], s27, v4
	s_and_saveexec_b64 s[52:53], s[8:9]
	s_cbranch_execz .LBB52_63
; %bb.65:                               ;   in Loop: Header=BB52_64 Depth=5
	v_lshlrev_b64 v[4:5], 3, v[2:3]
	v_add_co_u32_e64 v38, s[8:9], v13, v4
	v_mov_b32_e32 v7, v3
	v_addc_co_u32_e64 v39, s[8:9], v14, v5, s[8:9]
	v_lshlrev_b64 v[10:11], 3, v[6:7]
	v_add_co_u32_e64 v40, s[8:9], v13, v10
	v_addc_co_u32_e64 v41, s[8:9], v14, v11, s[8:9]
	global_load_dwordx2 v[42:43], v[38:39], off
	global_load_dwordx2 v[44:45], v[40:41], off
	v_add_u32_e32 v2, s65, v35
	ds_read_b64 v[8:9], v2
	ds_read_b64 v[6:7], v35
	s_waitcnt vmcnt(0) lgkmcnt(0)
	v_mul_f64 v[46:47], v[8:9], v[42:43]
	v_mul_f64 v[48:49], v[8:9], v[44:45]
	v_fmac_f64_e32 v[48:49], v[6:7], v[42:43]
	v_fma_f64 v[44:45], v[6:7], v[44:45], -v[46:47]
	global_store_dwordx2 v[38:39], v[48:49], off
	global_store_dwordx2 v[40:41], v[44:45], off
	s_and_b64 exec, exec, vcc
	s_cbranch_execz .LBB52_63
; %bb.66:                               ;   in Loop: Header=BB52_64 Depth=5
	v_add_co_u32_e64 v4, s[8:9], v15, v4
	v_addc_co_u32_e64 v5, s[8:9], v34, v5, s[8:9]
	v_add_co_u32_e64 v10, s[8:9], v15, v10
	v_addc_co_u32_e64 v11, s[8:9], v34, v11, s[8:9]
	global_load_dwordx2 v[38:39], v[10:11], off
	global_load_dwordx2 v[40:41], v[4:5], off
	s_waitcnt vmcnt(1)
	v_mul_f64 v[42:43], v[8:9], v[38:39]
	s_waitcnt vmcnt(0)
	v_mul_f64 v[8:9], v[8:9], v[40:41]
	v_fmac_f64_e32 v[42:43], v[6:7], v[40:41]
	v_fma_f64 v[6:7], v[6:7], v[38:39], -v[8:9]
	global_store_dwordx2 v[4:5], v[42:43], off
	global_store_dwordx2 v[10:11], v[6:7], off
	s_branch .LBB52_63
.LBB52_67:                              ;   in Loop: Header=BB52_23 Depth=3
	s_or_b64 exec, exec, s[10:11]
	s_barrier
	s_and_saveexec_b64 s[10:11], s[2:3]
	s_cbranch_execz .LBB52_22
; %bb.68:                               ;   in Loop: Header=BB52_23 Depth=3
	s_mov_b64 s[46:47], 0
	v_mov_b32_e32 v6, v17
	s_branch .LBB52_70
.LBB52_69:                              ;   in Loop: Header=BB52_70 Depth=4
	s_or_b64 exec, exec, s[48:49]
	v_add_u32_e32 v6, s64, v6
	v_cmp_le_u32_e32 vcc, s26, v6
	s_or_b64 s[46:47], vcc, s[46:47]
	s_andn2_b64 exec, exec, s[46:47]
	s_cbranch_execz .LBB52_22
.LBB52_70:                              ;   Parent Loop BB52_3 Depth=1
                                        ;     Parent Loop BB52_8 Depth=2
                                        ;       Parent Loop BB52_23 Depth=3
                                        ; =>      This Loop Header: Depth=4
                                        ;           Child Loop BB52_73 Depth 5
	s_and_saveexec_b64 s[48:49], s[4:5]
	s_cbranch_execz .LBB52_69
; %bb.71:                               ;   in Loop: Header=BB52_70 Depth=4
	v_cmp_eq_u32_e32 vcc, 0, v6
	s_mov_b64 s[50:51], 0
	v_mov_b32_e32 v7, v33
	v_mov_b32_e32 v8, v16
	s_branch .LBB52_73
.LBB52_72:                              ;   in Loop: Header=BB52_73 Depth=5
	s_or_b64 exec, exec, s[52:53]
	v_add_u32_e32 v8, s31, v8
	v_cmp_le_u32_e64 s[8:9], s26, v8
	s_or_b64 s[50:51], s[8:9], s[50:51]
	v_add_u32_e32 v7, s31, v7
	s_andn2_b64 exec, exec, s[50:51]
	s_cbranch_execz .LBB52_69
.LBB52_73:                              ;   Parent Loop BB52_3 Depth=1
                                        ;     Parent Loop BB52_8 Depth=2
                                        ;       Parent Loop BB52_23 Depth=3
                                        ;         Parent Loop BB52_70 Depth=4
                                        ; =>        This Inner Loop Header: Depth=5
	v_mul_hi_u32 v4, v18, v7
	v_not_b32_e32 v9, v4
	v_add_u32_e32 v2, s85, v8
	v_mad_u64_u32 v[4:5], s[8:9], s77, v4, v[2:3]
	v_mad_u64_u32 v[10:11], s[8:9], s26, v9, v[2:3]
	v_cmp_le_u32_e64 s[8:9], s26, v4
	v_cndmask_b32_e64 v2, v4, v10, s[8:9]
	v_subrev_u32_e32 v4, s26, v2
	v_cmp_le_u32_e64 s[8:9], s26, v2
	v_cndmask_b32_e64 v2, v2, v4, s[8:9]
	v_add_u32_e32 v4, s84, v2
	v_cmp_gt_u32_e64 s[8:9], s27, v4
	s_and_b64 s[8:9], vcc, s[8:9]
	s_and_saveexec_b64 s[52:53], s[8:9]
	s_cbranch_execz .LBB52_72
; %bb.74:                               ;   in Loop: Header=BB52_73 Depth=5
	v_mad_u64_u32 v[10:11], s[8:9], v4, s72, 0
	v_mov_b32_e32 v12, v11
	v_mad_u64_u32 v[12:13], s[8:9], v4, s71, v[12:13]
	v_mov_b32_e32 v11, v12
	v_lshlrev_b64 v[10:11], 3, v[10:11]
	v_add_u32_e32 v2, v31, v8
	v_mov_b32_e32 v9, s81
	v_add_co_u32_e64 v12, s[8:9], s25, v10
	v_addc_co_u32_e64 v9, s[8:9], v9, v11, s[8:9]
	v_lshlrev_b64 v[10:11], 3, v[2:3]
	v_add_co_u32_e64 v10, s[8:9], v12, v10
	s_mov_b32 s29, s28
	v_addc_co_u32_e64 v11, s[8:9], v9, v11, s[8:9]
	v_pk_mov_b32 v[12:13], s[28:29], s[28:29] op_sel:[0,1]
	global_store_dwordx2 v[10:11], v[12:13], off
	v_mad_u64_u32 v[10:11], s[8:9], v2, s72, 0
	v_mov_b32_e32 v14, v11
	v_mad_u64_u32 v[14:15], s[8:9], v2, s71, v[14:15]
	v_mov_b32_e32 v11, v14
	v_lshlrev_b64 v[10:11], 3, v[10:11]
	v_mov_b32_e32 v5, v3
	v_mov_b32_e32 v2, s81
	v_add_co_u32_e64 v9, s[8:9], s25, v10
	v_addc_co_u32_e64 v2, s[8:9], v2, v11, s[8:9]
	v_lshlrev_b64 v[4:5], 3, v[4:5]
	v_add_co_u32_e64 v4, s[8:9], v9, v4
	v_addc_co_u32_e64 v5, s[8:9], v2, v5, s[8:9]
	global_store_dwordx2 v[4:5], v[12:13], off
	s_branch .LBB52_72
.LBB52_75:                              ;   in Loop: Header=BB52_8 Depth=2
	s_or_b64 s[8:9], s[42:43], s[0:1]
	s_andn2_b64 vcc, exec, s[8:9]
	s_cbranch_vccz .LBB52_7
; %bb.76:                               ;   in Loop: Header=BB52_8 Depth=2
	v_cmp_lt_u32_e32 vcc, v17, v30
	s_barrier
	s_and_saveexec_b64 s[42:43], vcc
	s_cbranch_execz .LBB52_6
; %bb.77:                               ;   in Loop: Header=BB52_8 Depth=2
	v_cmp_lt_u32_e32 vcc, v16, v30
	s_mov_b64 s[44:45], 0
	v_mov_b32_e32 v4, v19
	v_mov_b32_e32 v5, v17
	s_branch .LBB52_79
.LBB52_78:                              ;   in Loop: Header=BB52_79 Depth=3
	s_or_b64 exec, exec, s[46:47]
	v_add_u32_e32 v5, s64, v5
	v_cmp_ge_u32_e64 s[8:9], v5, v30
	s_or_b64 s[44:45], s[8:9], s[44:45]
	v_add_u32_e32 v4, s78, v4
	s_andn2_b64 exec, exec, s[44:45]
	s_cbranch_execz .LBB52_6
.LBB52_79:                              ;   Parent Loop BB52_3 Depth=1
                                        ;     Parent Loop BB52_8 Depth=2
                                        ; =>    This Loop Header: Depth=3
                                        ;         Child Loop BB52_81 Depth 4
	s_and_saveexec_b64 s[46:47], vcc
	s_cbranch_execz .LBB52_78
; %bb.80:                               ;   in Loop: Header=BB52_79 Depth=3
	s_mov_b64 s[48:49], 0
	v_mov_b32_e32 v6, v16
.LBB52_81:                              ;   Parent Loop BB52_3 Depth=1
                                        ;     Parent Loop BB52_8 Depth=2
                                        ;       Parent Loop BB52_79 Depth=3
                                        ; =>      This Inner Loop Header: Depth=4
	v_add_u32_e32 v2, v4, v6
	v_lshlrev_b64 v[8:9], 3, v[2:3]
	v_mov_b32_e32 v7, s39
	v_add_co_u32_e64 v10, s[8:9], s83, v8
	v_addc_co_u32_e64 v11, s[8:9], v7, v9, s[8:9]
	flat_load_dwordx2 v[10:11], v[10:11]
	v_add_u32_e32 v6, s31, v6
	v_mov_b32_e32 v2, s41
	v_cmp_ge_u32_e64 s[8:9], v6, v30
	v_add_co_u32_e64 v8, s[10:11], s40, v8
	v_addc_co_u32_e64 v9, s[10:11], v2, v9, s[10:11]
	s_or_b64 s[48:49], s[8:9], s[48:49]
	s_waitcnt vmcnt(0) lgkmcnt(0)
	flat_store_dwordx2 v[8:9], v[10:11]
	s_andn2_b64 exec, exec, s[48:49]
	s_cbranch_execnz .LBB52_81
	s_branch .LBB52_78
.LBB52_82:
	s_endpgm
	.section	.rodata,"a",@progbits
	.p2align	6, 0x0
	.amdhsa_kernel _ZN9rocsolver6v33100L17syevj_offd_kernelIddPdEEviiT1_iilT0_PT_PiS7_S7_i
		.amdhsa_group_segment_fixed_size 0
		.amdhsa_private_segment_fixed_size 0
		.amdhsa_kernarg_size 336
		.amdhsa_user_sgpr_count 6
		.amdhsa_user_sgpr_private_segment_buffer 1
		.amdhsa_user_sgpr_dispatch_ptr 0
		.amdhsa_user_sgpr_queue_ptr 0
		.amdhsa_user_sgpr_kernarg_segment_ptr 1
		.amdhsa_user_sgpr_dispatch_id 0
		.amdhsa_user_sgpr_flat_scratch_init 0
		.amdhsa_user_sgpr_kernarg_preload_length 0
		.amdhsa_user_sgpr_kernarg_preload_offset 0
		.amdhsa_user_sgpr_private_segment_size 0
		.amdhsa_uses_dynamic_stack 0
		.amdhsa_system_sgpr_private_segment_wavefront_offset 0
		.amdhsa_system_sgpr_workgroup_id_x 1
		.amdhsa_system_sgpr_workgroup_id_y 0
		.amdhsa_system_sgpr_workgroup_id_z 1
		.amdhsa_system_sgpr_workgroup_info 0
		.amdhsa_system_vgpr_workitem_id 1
		.amdhsa_next_free_vgpr 52
		.amdhsa_next_free_sgpr 88
		.amdhsa_accum_offset 52
		.amdhsa_reserve_vcc 1
		.amdhsa_reserve_flat_scratch 0
		.amdhsa_float_round_mode_32 0
		.amdhsa_float_round_mode_16_64 0
		.amdhsa_float_denorm_mode_32 3
		.amdhsa_float_denorm_mode_16_64 3
		.amdhsa_dx10_clamp 1
		.amdhsa_ieee_mode 1
		.amdhsa_fp16_overflow 0
		.amdhsa_tg_split 0
		.amdhsa_exception_fp_ieee_invalid_op 0
		.amdhsa_exception_fp_denorm_src 0
		.amdhsa_exception_fp_ieee_div_zero 0
		.amdhsa_exception_fp_ieee_overflow 0
		.amdhsa_exception_fp_ieee_underflow 0
		.amdhsa_exception_fp_ieee_inexact 0
		.amdhsa_exception_int_div_zero 0
	.end_amdhsa_kernel
	.section	.text._ZN9rocsolver6v33100L17syevj_offd_kernelIddPdEEviiT1_iilT0_PT_PiS7_S7_i,"axG",@progbits,_ZN9rocsolver6v33100L17syevj_offd_kernelIddPdEEviiT1_iilT0_PT_PiS7_S7_i,comdat
.Lfunc_end52:
	.size	_ZN9rocsolver6v33100L17syevj_offd_kernelIddPdEEviiT1_iilT0_PT_PiS7_S7_i, .Lfunc_end52-_ZN9rocsolver6v33100L17syevj_offd_kernelIddPdEEviiT1_iilT0_PT_PiS7_S7_i
                                        ; -- End function
	.section	.AMDGPU.csdata,"",@progbits
; Kernel info:
; codeLenInByte = 4704
; NumSgprs: 92
; NumVgprs: 52
; NumAgprs: 0
; TotalNumVgprs: 52
; ScratchSize: 0
; MemoryBound: 0
; FloatMode: 240
; IeeeMode: 1
; LDSByteSize: 0 bytes/workgroup (compile time only)
; SGPRBlocks: 11
; VGPRBlocks: 6
; NumSGPRsForWavesPerEU: 92
; NumVGPRsForWavesPerEU: 52
; AccumOffset: 52
; Occupancy: 8
; WaveLimiterHint : 1
; COMPUTE_PGM_RSRC2:SCRATCH_EN: 0
; COMPUTE_PGM_RSRC2:USER_SGPR: 6
; COMPUTE_PGM_RSRC2:TRAP_HANDLER: 0
; COMPUTE_PGM_RSRC2:TGID_X_EN: 1
; COMPUTE_PGM_RSRC2:TGID_Y_EN: 0
; COMPUTE_PGM_RSRC2:TGID_Z_EN: 1
; COMPUTE_PGM_RSRC2:TIDIG_COMP_CNT: 1
; COMPUTE_PGM_RSRC3_GFX90A:ACCUM_OFFSET: 12
; COMPUTE_PGM_RSRC3_GFX90A:TG_SPLIT: 0
	.section	.text._ZN9rocsolver6v33100L21syevj_offd_rotate_orgILb0EddPdEEvbiiT2_iilPT0_PiS6_S6_,"axG",@progbits,_ZN9rocsolver6v33100L21syevj_offd_rotate_orgILb0EddPdEEvbiiT2_iilPT0_PiS6_S6_,comdat
	.globl	_ZN9rocsolver6v33100L21syevj_offd_rotate_orgILb0EddPdEEvbiiT2_iilPT0_PiS6_S6_ ; -- Begin function _ZN9rocsolver6v33100L21syevj_offd_rotate_orgILb0EddPdEEvbiiT2_iilPT0_PiS6_S6_
	.p2align	8
	.type	_ZN9rocsolver6v33100L21syevj_offd_rotate_orgILb0EddPdEEvbiiT2_iilPT0_PiS6_S6_,@function
_ZN9rocsolver6v33100L21syevj_offd_rotate_orgILb0EddPdEEvbiiT2_iilPT0_PiS6_S6_: ; @_ZN9rocsolver6v33100L21syevj_offd_rotate_orgILb0EddPdEEvbiiT2_iilPT0_PiS6_S6_
; %bb.0:
	s_load_dwordx2 s[0:1], s[4:5], 0x40
	s_ashr_i32 s9, s8, 31
	s_lshl_b64 s[2:3], s[8:9], 2
	s_waitcnt lgkmcnt(0)
	s_add_u32 s0, s0, s2
	s_addc_u32 s1, s1, s3
	s_load_dword s0, s[0:1], 0x4
	s_waitcnt lgkmcnt(0)
	s_cmp_lg_u32 s0, 0
	s_cbranch_scc0 .LBB53_2
.LBB53_1:
	s_endpgm
.LBB53_2:
	s_load_dwordx8 s[12:19], s[4:5], 0x20
	s_mov_b32 s10, s7
	s_ashr_i32 s7, s6, 31
	s_lshl_b64 s[0:1], s[6:7], 2
	s_waitcnt lgkmcnt(0)
	s_add_u32 s2, s16, s0
	s_addc_u32 s3, s17, s1
	s_add_u32 s0, s18, s0
	s_load_dword s11, s[2:3], 0x0
	s_addc_u32 s1, s19, s1
	s_load_dword s20, s[0:1], 0x0
	s_load_dwordx4 s[16:19], s[4:5], 0x0
	s_waitcnt lgkmcnt(0)
	s_max_i32 s7, s11, s20
	s_cmp_ge_i32 s7, s17
	s_cbranch_scc1 .LBB53_1
; %bb.3:
	s_add_u32 s0, s4, 0x48
	s_addc_u32 s1, s5, 0
	s_bitcmp1_b32 s16, 0
	s_cselect_b64 s[2:3], -1, 0
	s_xor_b64 s[2:3], s[2:3], -1
	s_min_i32 s17, s11, s20
	s_and_b64 vcc, exec, s[2:3]
	s_mov_b32 s16, s10
	s_cbranch_vccnz .LBB53_5
; %bb.4:
	s_lshr_b32 s2, s16, 31
	s_add_i32 s2, s16, s2
	s_ashr_i32 s10, s2, 1
	s_cmp_lg_u32 s10, s17
	s_cselect_b64 s[2:3], -1, 0
	s_cmp_lg_u32 s10, s7
	s_cselect_b64 s[10:11], -1, 0
	s_and_b64 s[2:3], s[2:3], s[10:11]
.LBB53_5:
	s_andn2_b64 vcc, exec, s[2:3]
	s_cbranch_vccnz .LBB53_1
; %bb.6:
	s_load_dword s19, s[0:1], 0xc
	v_and_b32_e32 v8, 0x3ff, v0
	v_bfe_u32 v9, v0, 10, 10
	s_waitcnt lgkmcnt(0)
	s_bfe_u32 s10, s19, 0xf0001
	s_mul_i32 s11, s7, s10
	s_mul_i32 s1, s17, s10
	s_sub_i32 s2, s11, s10
	s_lshr_b32 s0, s19, 16
	v_mov_b32_e32 v0, s2
	v_mov_b32_e32 v1, s1
	v_cmp_gt_u32_e32 vcc, s10, v8
	v_cndmask_b32_e32 v0, v0, v1, vcc
	s_mul_i32 s16, s16, s0
	v_add_u32_e32 v1, v0, v8
	v_add_u32_e32 v0, s16, v9
	v_max_i32_e32 v2, v1, v0
	v_cmp_gt_i32_e32 vcc, s18, v2
	s_and_saveexec_b64 s[0:1], vcc
	s_cbranch_execz .LBB53_1
; %bb.7:
	s_load_dword s20, s[4:5], 0x48
	s_load_dwordx4 s[0:3], s[4:5], 0x10
	s_and_b32 s19, s19, 0xffff
	s_lshl_b32 s4, s10, 1
	v_pk_mov_b32 v[2:3], 0, 0
	s_waitcnt lgkmcnt(0)
	s_mul_i32 s5, s20, s8
	s_ashr_i32 s21, s2, 31
	s_add_i32 s5, s5, s6
	s_mov_b32 s20, s2
	s_mul_i32 s2, s8, s13
	s_mul_hi_u32 s6, s8, s12
	s_add_i32 s2, s6, s2
	s_mul_i32 s6, s9, s12
	s_add_i32 s9, s2, s6
	s_mul_i32 s8, s8, s12
	s_lshl_b64 s[8:9], s[8:9], 3
	s_add_u32 s2, s0, s8
	s_addc_u32 s6, s1, s9
	s_lshl_b64 s[0:1], s[20:21], 3
	s_add_u32 s0, s2, s0
	s_mul_i32 s2, s5, s10
	s_mul_i32 s2, s2, s10
	s_addc_u32 s1, s6, s1
	s_lshl_b32 s8, s2, 2
	s_ashr_i32 s9, s8, 31
	s_lshl_b64 s[8:9], s[8:9], 3
	s_add_u32 s2, s14, s8
	s_addc_u32 s5, s15, s9
	s_cmp_lt_u32 s19, 2
	s_cbranch_scc1 .LBB53_10
; %bb.8:
	s_mul_i32 s6, s3, s17
	s_mul_i32 s6, s6, s10
	s_add_i32 s6, s16, s6
	v_add_u32_e32 v4, s6, v9
	v_pk_mov_b32 v[2:3], 0, 0
	v_mov_b32_e32 v7, 0
	v_mov_b32_e32 v10, s5
	;; [unrolled: 1-line block ×4, first 2 shown]
	s_mov_b32 s6, s10
.LBB53_9:                               ; =>This Inner Loop Header: Depth=1
	v_lshlrev_b64 v[12:13], 3, v[6:7]
	v_ashrrev_i32_e32 v5, 31, v4
	v_add_co_u32_e32 v12, vcc, s2, v12
	v_addc_co_u32_e32 v13, vcc, v10, v13, vcc
	v_lshlrev_b64 v[14:15], 3, v[4:5]
	v_add_co_u32_e32 v14, vcc, s0, v14
	v_addc_co_u32_e32 v15, vcc, v11, v15, vcc
	global_load_dwordx2 v[12:13], v[12:13], off
	s_add_i32 s6, s6, -1
	global_load_dwordx2 v[14:15], v[14:15], off
	v_add_u32_e32 v6, s4, v6
	v_add_u32_e32 v4, s3, v4
	s_cmp_eq_u32 s6, 0
	s_waitcnt vmcnt(0)
	v_fmac_f64_e32 v[2:3], v[12:13], v[14:15]
	s_cbranch_scc0 .LBB53_9
.LBB53_10:
	s_sub_i32 s6, s18, s11
	s_min_i32 s6, s6, s10
	s_cmp_lt_i32 s6, 1
	s_cbranch_scc1 .LBB53_13
; %bb.11:
	s_mul_i32 s7, s3, s7
	s_mul_i32 s7, s7, s10
	s_add_i32 s16, s16, s7
	s_mul_i32 s10, s10, s10
	v_add_u32_e32 v4, s16, v9
	v_lshl_add_u32 v6, s10, 1, v8
	v_mov_b32_e32 v7, 0
	v_mov_b32_e32 v8, s5
	;; [unrolled: 1-line block ×3, first 2 shown]
.LBB53_12:                              ; =>This Inner Loop Header: Depth=1
	v_lshlrev_b64 v[10:11], 3, v[6:7]
	v_ashrrev_i32_e32 v5, 31, v4
	v_add_co_u32_e32 v10, vcc, s2, v10
	v_addc_co_u32_e32 v11, vcc, v8, v11, vcc
	v_lshlrev_b64 v[12:13], 3, v[4:5]
	v_add_co_u32_e32 v12, vcc, s0, v12
	v_addc_co_u32_e32 v13, vcc, v9, v13, vcc
	global_load_dwordx2 v[10:11], v[10:11], off
	s_add_i32 s6, s6, -1
	global_load_dwordx2 v[12:13], v[12:13], off
	v_add_u32_e32 v6, s4, v6
	v_add_u32_e32 v4, s3, v4
	s_cmp_lg_u32 s6, 0
	s_waitcnt vmcnt(0)
	v_fmac_f64_e32 v[2:3], v[10:11], v[12:13]
	s_cbranch_scc1 .LBB53_12
.LBB53_13:
	v_mad_u64_u32 v[0:1], s[2:3], v1, s3, v[0:1]
	v_ashrrev_i32_e32 v1, 31, v0
	v_lshlrev_b64 v[0:1], 3, v[0:1]
	v_mov_b32_e32 v4, s1
	v_add_co_u32_e32 v0, vcc, s0, v0
	v_addc_co_u32_e32 v1, vcc, v4, v1, vcc
	s_barrier
	global_store_dwordx2 v[0:1], v[2:3], off
	s_endpgm
	.section	.rodata,"a",@progbits
	.p2align	6, 0x0
	.amdhsa_kernel _ZN9rocsolver6v33100L21syevj_offd_rotate_orgILb0EddPdEEvbiiT2_iilPT0_PiS6_S6_
		.amdhsa_group_segment_fixed_size 0
		.amdhsa_private_segment_fixed_size 0
		.amdhsa_kernarg_size 328
		.amdhsa_user_sgpr_count 6
		.amdhsa_user_sgpr_private_segment_buffer 1
		.amdhsa_user_sgpr_dispatch_ptr 0
		.amdhsa_user_sgpr_queue_ptr 0
		.amdhsa_user_sgpr_kernarg_segment_ptr 1
		.amdhsa_user_sgpr_dispatch_id 0
		.amdhsa_user_sgpr_flat_scratch_init 0
		.amdhsa_user_sgpr_kernarg_preload_length 0
		.amdhsa_user_sgpr_kernarg_preload_offset 0
		.amdhsa_user_sgpr_private_segment_size 0
		.amdhsa_uses_dynamic_stack 0
		.amdhsa_system_sgpr_private_segment_wavefront_offset 0
		.amdhsa_system_sgpr_workgroup_id_x 1
		.amdhsa_system_sgpr_workgroup_id_y 1
		.amdhsa_system_sgpr_workgroup_id_z 1
		.amdhsa_system_sgpr_workgroup_info 0
		.amdhsa_system_vgpr_workitem_id 1
		.amdhsa_next_free_vgpr 16
		.amdhsa_next_free_sgpr 22
		.amdhsa_accum_offset 16
		.amdhsa_reserve_vcc 1
		.amdhsa_reserve_flat_scratch 0
		.amdhsa_float_round_mode_32 0
		.amdhsa_float_round_mode_16_64 0
		.amdhsa_float_denorm_mode_32 3
		.amdhsa_float_denorm_mode_16_64 3
		.amdhsa_dx10_clamp 1
		.amdhsa_ieee_mode 1
		.amdhsa_fp16_overflow 0
		.amdhsa_tg_split 0
		.amdhsa_exception_fp_ieee_invalid_op 0
		.amdhsa_exception_fp_denorm_src 0
		.amdhsa_exception_fp_ieee_div_zero 0
		.amdhsa_exception_fp_ieee_overflow 0
		.amdhsa_exception_fp_ieee_underflow 0
		.amdhsa_exception_fp_ieee_inexact 0
		.amdhsa_exception_int_div_zero 0
	.end_amdhsa_kernel
	.section	.text._ZN9rocsolver6v33100L21syevj_offd_rotate_orgILb0EddPdEEvbiiT2_iilPT0_PiS6_S6_,"axG",@progbits,_ZN9rocsolver6v33100L21syevj_offd_rotate_orgILb0EddPdEEvbiiT2_iilPT0_PiS6_S6_,comdat
.Lfunc_end53:
	.size	_ZN9rocsolver6v33100L21syevj_offd_rotate_orgILb0EddPdEEvbiiT2_iilPT0_PiS6_S6_, .Lfunc_end53-_ZN9rocsolver6v33100L21syevj_offd_rotate_orgILb0EddPdEEvbiiT2_iilPT0_PiS6_S6_
                                        ; -- End function
	.section	.AMDGPU.csdata,"",@progbits
; Kernel info:
; codeLenInByte = 756
; NumSgprs: 26
; NumVgprs: 16
; NumAgprs: 0
; TotalNumVgprs: 16
; ScratchSize: 0
; MemoryBound: 0
; FloatMode: 240
; IeeeMode: 1
; LDSByteSize: 0 bytes/workgroup (compile time only)
; SGPRBlocks: 3
; VGPRBlocks: 1
; NumSGPRsForWavesPerEU: 26
; NumVGPRsForWavesPerEU: 16
; AccumOffset: 16
; Occupancy: 8
; WaveLimiterHint : 0
; COMPUTE_PGM_RSRC2:SCRATCH_EN: 0
; COMPUTE_PGM_RSRC2:USER_SGPR: 6
; COMPUTE_PGM_RSRC2:TRAP_HANDLER: 0
; COMPUTE_PGM_RSRC2:TGID_X_EN: 1
; COMPUTE_PGM_RSRC2:TGID_Y_EN: 1
; COMPUTE_PGM_RSRC2:TGID_Z_EN: 1
; COMPUTE_PGM_RSRC2:TIDIG_COMP_CNT: 1
; COMPUTE_PGM_RSRC3_GFX90A:ACCUM_OFFSET: 3
; COMPUTE_PGM_RSRC3_GFX90A:TG_SPLIT: 0
	.section	.text._ZN9rocsolver6v33100L17syevj_offd_rotateILb0EddPdEEvbiiT2_iilPT0_PiS6_S6_i,"axG",@progbits,_ZN9rocsolver6v33100L17syevj_offd_rotateILb0EddPdEEvbiiT2_iilPT0_PiS6_S6_i,comdat
	.globl	_ZN9rocsolver6v33100L17syevj_offd_rotateILb0EddPdEEvbiiT2_iilPT0_PiS6_S6_i ; -- Begin function _ZN9rocsolver6v33100L17syevj_offd_rotateILb0EddPdEEvbiiT2_iilPT0_PiS6_S6_i
	.p2align	8
	.type	_ZN9rocsolver6v33100L17syevj_offd_rotateILb0EddPdEEvbiiT2_iilPT0_PiS6_S6_i,@function
_ZN9rocsolver6v33100L17syevj_offd_rotateILb0EddPdEEvbiiT2_iilPT0_PiS6_S6_i: ; @_ZN9rocsolver6v33100L17syevj_offd_rotateILb0EddPdEEvbiiT2_iilPT0_PiS6_S6_i
; %bb.0:
	s_load_dwordx4 s[20:23], s[4:5], 0x0
	s_load_dword s33, s[4:5], 0x48
	s_waitcnt lgkmcnt(0)
	s_abs_i32 s2, s21
	v_cvt_f32_u32_e32 v1, s2
	s_cmp_ge_u32 s8, s33
	v_rcp_iflag_f32_e32 v1, v1
	v_mul_f32_e32 v1, 0x4f7ffffe, v1
	v_cvt_u32_f32_e32 v1, v1
	v_readfirstlane_b32 s0, v1
	s_cbranch_scc1 .LBB54_35
; %bb.1:
	s_add_i32 s1, s22, -1
	s_ashr_i32 s3, s1, 31
	s_abs_i32 s10, s1
	s_sub_i32 s1, 0, s2
	s_mul_i32 s1, s1, s0
	s_mul_hi_u32 s1, s0, s1
	s_ashr_i32 s9, s21, 31
	s_add_i32 s0, s0, s1
	s_bitcmp1_b32 s20, 0
	s_mul_hi_u32 s23, s10, s0
	s_cselect_b64 s[0:1], -1, 0
	v_cndmask_b32_e64 v3, 0, 1, s[0:1]
	s_xor_b64 s[34:35], s[0:1], -1
	s_mul_i32 s1, s23, s2
	s_sub_i32 s1, s10, s1
	s_xor_b32 s0, s3, s9
	s_add_i32 s3, s23, 1
	s_sub_i32 s9, s1, s2
	s_cmp_ge_u32 s1, s2
	s_cselect_b32 s3, s3, s23
	s_cselect_b32 s1, s9, s1
	s_add_i32 s9, s3, 1
	s_cmp_ge_u32 s1, s2
	s_cselect_b32 s1, s9, s3
	s_xor_b32 s1, s1, s0
	s_sub_i32 s20, s1, s0
	s_add_i32 s46, s20, 1
	s_lshr_b32 s0, s46, 31
	s_add_i32 s0, s46, s0
	s_and_b32 s0, s0, -2
	s_load_dwordx4 s[28:31], s[4:5], 0x10
	s_load_dwordx8 s[12:19], s[4:5], 0x20
	s_sub_i32 s0, s46, s0
	s_load_dwordx2 s[2:3], s[4:5], 0x40
	s_load_dwordx4 s[24:27], s[4:5], 0x50
	s_add_i32 s0, s0, s46
	s_lshr_b32 s1, s0, 31
	s_lshl_b32 s49, s21, 1
	s_add_i32 s0, s0, s1
	s_mul_i32 s4, s49, s21
	s_ashr_i32 s47, s0, 1
	s_lshl_b32 s0, s4, 3
	s_waitcnt lgkmcnt(0)
	s_lshr_b32 s48, s27, 16
	s_and_b32 s27, s27, 0xffff
	s_add_i32 s50, s0, 0
	s_mul_i32 s4, s4, 3
	s_cmpk_lt_u32 s4, 0x2001
	s_mul_i32 s9, s21, s21
	s_mov_b64 s[0:1], src_shared_base
	s_cselect_b64 s[36:37], -1, 0
	s_ashr_i32 s5, s30, 31
	s_lshl_b32 s52, s9, 2
	s_cmp_lt_u32 s6, s47
	s_mul_i32 s0, s20, s21
	s_cselect_b64 s[38:39], -1, 0
	s_sub_i32 s53, s22, s0
	s_cmp_lt_u32 s7, s46
	s_cselect_b64 s[22:23], -1, 0
	s_ashr_i32 s55, s31, 31
	s_mov_b32 s4, s30
	s_add_u32 s57, s2, 4
	s_addc_u32 s58, s3, 0
	s_lshl_b64 s[2:3], s[4:5], 3
	s_add_u32 s59, s28, s2
	v_and_b32_e32 v2, 0x3ff, v0
	v_bfe_u32 v6, v0, 10, 10
	s_addc_u32 s60, s29, s3
	s_lshl_b32 s2, s9, 4
	v_mad_u32_u24 v7, v6, s27, v2
	s_mul_i32 s54, s48, s27
	s_add_i32 s2, s2, 0
	s_mov_b32 s11, 0
	s_mov_b32 s51, s1
	v_cmp_gt_u32_e64 s[0:1], s52, v7
	s_mov_b32 s56, s31
	v_lshl_add_u32 v8, v7, 3, s2
	s_lshl_b32 s61, s54, 3
	s_mul_i32 s62, s7, s21
	s_mul_i32 s63, s25, s21
	s_lshl_b32 s64, s48, 3
	s_lshl_b32 s65, s27, 3
	v_lshl_add_u32 v9, v2, 3, 0
	v_mov_b32_e32 v1, 0
	s_branch .LBB54_3
.LBB54_2:                               ;   in Loop: Header=BB54_3 Depth=1
	s_add_i32 s8, s8, s26
	s_cmp_ge_u32 s8, s33
	s_cbranch_scc1 .LBB54_35
.LBB54_3:                               ; =>This Loop Header: Depth=1
                                        ;     Child Loop BB54_7 Depth 2
                                        ;       Child Loop BB54_11 Depth 3
                                        ;       Child Loop BB54_17 Depth 3
                                        ;         Child Loop BB54_23 Depth 4
                                        ;           Child Loop BB54_25 Depth 5
                                        ;         Child Loop BB54_29 Depth 4
                                        ;           Child Loop BB54_32 Depth 5
                                        ;             Child Loop BB54_34 Depth 6
	s_mov_b32 s9, s11
	s_lshl_b64 s[2:3], s[8:9], 2
	s_add_u32 s2, s57, s2
	s_addc_u32 s3, s58, s3
	s_load_dword s2, s[2:3], 0x0
	s_waitcnt lgkmcnt(0)
	s_cmp_lg_u32 s2, 0
	s_cbranch_scc1 .LBB54_2
; %bb.4:                                ;   in Loop: Header=BB54_3 Depth=1
	s_andn2_b64 vcc, exec, s[38:39]
	s_cbranch_vccnz .LBB54_2
; %bb.5:                                ;   in Loop: Header=BB54_3 Depth=1
	s_mul_i32 s2, s8, s13
	s_mul_hi_u32 s3, s8, s12
	s_add_i32 s3, s3, s2
	s_mul_i32 s2, s8, s12
	s_lshl_b64 s[2:3], s[2:3], 3
	s_add_u32 s9, s59, s2
	s_addc_u32 s66, s60, s3
	s_mul_i32 s67, s8, s47
	s_mov_b32 s10, s6
	s_branch .LBB54_7
.LBB54_6:                               ;   in Loop: Header=BB54_7 Depth=2
	s_add_i32 s10, s10, s24
	s_cmp_lt_u32 s10, s47
	s_cbranch_scc0 .LBB54_2
.LBB54_7:                               ;   Parent Loop BB54_3 Depth=1
                                        ; =>  This Loop Header: Depth=2
                                        ;       Child Loop BB54_11 Depth 3
                                        ;       Child Loop BB54_17 Depth 3
                                        ;         Child Loop BB54_23 Depth 4
                                        ;           Child Loop BB54_25 Depth 5
                                        ;         Child Loop BB54_29 Depth 4
                                        ;           Child Loop BB54_32 Depth 5
                                        ;             Child Loop BB54_34 Depth 6
	s_lshl_b64 s[2:3], s[10:11], 2
	s_add_u32 s4, s16, s2
	s_addc_u32 s5, s17, s3
	s_add_u32 s2, s18, s2
	s_addc_u32 s3, s19, s3
	global_load_dword v0, v1, s[2:3]
	global_load_dword v4, v1, s[4:5]
	s_waitcnt vmcnt(1)
	v_readfirstlane_b32 s28, v0
	s_waitcnt vmcnt(0)
	v_readfirstlane_b32 s29, v4
	s_max_i32 s68, s29, s28
	s_cmp_gt_i32 s68, s20
	s_cbranch_scc1 .LBB54_6
; %bb.8:                                ;   in Loop: Header=BB54_7 Depth=2
	s_add_i32 s2, s10, s67
	s_mul_i32 s2, s52, s2
	s_mov_b32 s3, s11
	s_lshl_b64 s[2:3], s[2:3], 3
	s_add_u32 s30, s14, s2
	s_addc_u32 s31, s15, s3
	s_andn2_b64 vcc, exec, s[36:37]
	s_cbranch_vccnz .LBB54_13
; %bb.9:                                ;   in Loop: Header=BB54_7 Depth=2
	s_barrier
	s_and_saveexec_b64 s[2:3], s[0:1]
	s_cbranch_execz .LBB54_12
; %bb.10:                               ;   in Loop: Header=BB54_7 Depth=2
	s_mov_b64 s[4:5], 0
	v_mov_b32_e32 v4, s31
	v_mov_b32_e32 v5, v8
	;; [unrolled: 1-line block ×3, first 2 shown]
.LBB54_11:                              ;   Parent Loop BB54_3 Depth=1
                                        ;     Parent Loop BB54_7 Depth=2
                                        ; =>    This Inner Loop Header: Depth=3
	v_lshlrev_b64 v[10:11], 3, v[0:1]
	v_add_co_u32_e32 v10, vcc, s30, v10
	v_addc_co_u32_e32 v11, vcc, v4, v11, vcc
	global_load_dwordx2 v[10:11], v[10:11], off
	v_add_u32_e32 v0, s54, v0
	v_cmp_le_u32_e32 vcc, s52, v0
	s_or_b64 s[4:5], vcc, s[4:5]
	s_waitcnt vmcnt(0)
	ds_write_b64 v5, v[10:11]
	v_add_u32_e32 v5, s61, v5
	s_andn2_b64 exec, exec, s[4:5]
	s_cbranch_execnz .LBB54_11
.LBB54_12:                              ;   in Loop: Header=BB54_7 Depth=2
	s_or_b64 exec, exec, s[2:3]
	s_waitcnt lgkmcnt(0)
	s_barrier
.LBB54_13:                              ;   in Loop: Header=BB54_7 Depth=2
	s_andn2_b64 vcc, exec, s[22:23]
	s_cbranch_vccnz .LBB54_6
; %bb.14:                               ;   in Loop: Header=BB54_7 Depth=2
	s_min_i32 s69, s28, s29
	s_cmp_eq_u32 s20, s69
	s_cselect_b32 s71, s53, s21
	s_cmp_eq_u32 s20, s68
	s_cselect_b32 s2, s53, s21
	s_add_i32 s72, s71, s2
	s_mul_i32 s4, s68, s21
	s_and_b64 s[2:3], s[36:37], exec
	s_cselect_b32 s5, s51, s31
	s_cselect_b32 s73, s50, s30
	s_sub_i32 s74, s4, s71
	s_cmp_gt_i32 s72, 0
	s_mul_i32 s70, s69, s21
	v_cmp_gt_u32_e64 s[2:3], s72, v6
	s_cselect_b64 s[28:29], -1, 0
	v_mov_b32_e32 v10, s5
	s_mov_b32 s75, s62
	s_mov_b32 s76, s7
	s_branch .LBB54_17
.LBB54_15:                              ;   in Loop: Header=BB54_17 Depth=3
	s_or_b64 exec, exec, s[30:31]
	s_barrier
.LBB54_16:                              ;   in Loop: Header=BB54_17 Depth=3
	s_add_i32 s76, s76, s25
	s_add_i32 s75, s75, s63
	s_cmp_lt_u32 s76, s46
	s_cbranch_scc0 .LBB54_6
.LBB54_17:                              ;   Parent Loop BB54_3 Depth=1
                                        ;     Parent Loop BB54_7 Depth=2
                                        ; =>    This Loop Header: Depth=3
                                        ;         Child Loop BB54_23 Depth 4
                                        ;           Child Loop BB54_25 Depth 5
                                        ;         Child Loop BB54_29 Depth 4
                                        ;           Child Loop BB54_32 Depth 5
                                        ;             Child Loop BB54_34 Depth 6
	v_cmp_ne_u32_e32 vcc, 1, v3
	s_mov_b64 s[4:5], s[34:35]
	s_cbranch_vccz .LBB54_19
; %bb.18:                               ;   in Loop: Header=BB54_17 Depth=3
	s_andn2_b64 vcc, exec, s[4:5]
	s_cbranch_vccnz .LBB54_16
	s_branch .LBB54_20
.LBB54_19:                              ;   in Loop: Header=BB54_17 Depth=3
	s_cmp_lg_u32 s76, s69
	s_cselect_b64 s[4:5], -1, 0
	s_cmp_lg_u32 s76, s68
	s_cselect_b64 s[30:31], -1, 0
	s_and_b64 s[4:5], s[4:5], s[30:31]
	s_andn2_b64 vcc, exec, s[4:5]
	s_cbranch_vccnz .LBB54_16
.LBB54_20:                              ;   in Loop: Header=BB54_17 Depth=3
	s_cmp_eq_u32 s20, s76
	s_cselect_b32 s77, s53, s21
	s_barrier
	s_and_saveexec_b64 s[30:31], s[2:3]
	s_cbranch_execz .LBB54_26
; %bb.21:                               ;   in Loop: Header=BB54_17 Depth=3
	v_mad_u64_u32 v[4:5], s[4:5], v6, s77, v[2:3]
	v_cmp_gt_u32_e32 vcc, s77, v2
	v_lshl_add_u32 v4, v4, 3, 0
	s_mul_i32 s78, s64, s77
	s_mov_b64 s[40:41], 0
	v_mov_b32_e32 v5, v6
	s_branch .LBB54_23
.LBB54_22:                              ;   in Loop: Header=BB54_23 Depth=4
	s_or_b64 exec, exec, s[42:43]
	v_add_u32_e32 v5, s48, v5
	v_cmp_le_u32_e64 s[4:5], s72, v5
	s_or_b64 s[40:41], s[4:5], s[40:41]
	v_add_u32_e32 v4, s78, v4
	s_andn2_b64 exec, exec, s[40:41]
	s_cbranch_execz .LBB54_26
.LBB54_23:                              ;   Parent Loop BB54_3 Depth=1
                                        ;     Parent Loop BB54_7 Depth=2
                                        ;       Parent Loop BB54_17 Depth=3
                                        ; =>      This Loop Header: Depth=4
                                        ;           Child Loop BB54_25 Depth 5
	s_and_saveexec_b64 s[42:43], vcc
	s_cbranch_execz .LBB54_22
; %bb.24:                               ;   in Loop: Header=BB54_23 Depth=4
	v_mov_b32_e32 v0, s74
	v_mov_b32_e32 v11, s70
	v_cmp_gt_u32_e64 s[4:5], s71, v5
	v_cndmask_b32_e64 v0, v0, v11, s[4:5]
	v_add_u32_e32 v11, v5, v0
	v_mad_u64_u32 v[12:13], s[4:5], v11, s56, 0
	v_mov_b32_e32 v0, v13
	v_mad_u64_u32 v[14:15], s[4:5], v11, s55, v[0:1]
	v_mov_b32_e32 v13, v14
	v_lshlrev_b64 v[12:13], 3, v[12:13]
	v_mov_b32_e32 v0, s66
	v_add_co_u32_e64 v11, s[4:5], s9, v12
	v_addc_co_u32_e64 v12, s[4:5], v0, v13, s[4:5]
	s_mov_b64 s[44:45], 0
	v_mov_b32_e32 v13, v4
	v_mov_b32_e32 v14, v2
.LBB54_25:                              ;   Parent Loop BB54_3 Depth=1
                                        ;     Parent Loop BB54_7 Depth=2
                                        ;       Parent Loop BB54_17 Depth=3
                                        ;         Parent Loop BB54_23 Depth=4
                                        ; =>        This Inner Loop Header: Depth=5
	v_add_u32_e32 v0, s75, v14
	v_lshlrev_b64 v[16:17], 3, v[0:1]
	v_add_co_u32_e64 v16, s[4:5], v11, v16
	v_addc_co_u32_e64 v17, s[4:5], v12, v17, s[4:5]
	global_load_dwordx2 v[16:17], v[16:17], off
	v_add_u32_e32 v14, s27, v14
	v_cmp_le_u32_e64 s[4:5], s77, v14
	s_or_b64 s[44:45], s[4:5], s[44:45]
	s_waitcnt vmcnt(0)
	ds_write_b64 v13, v[16:17]
	v_add_u32_e32 v13, s65, v13
	s_andn2_b64 exec, exec, s[44:45]
	s_cbranch_execnz .LBB54_25
	s_branch .LBB54_22
.LBB54_26:                              ;   in Loop: Header=BB54_17 Depth=3
	s_or_b64 exec, exec, s[30:31]
	s_waitcnt lgkmcnt(0)
	s_barrier
	s_and_saveexec_b64 s[30:31], s[2:3]
	s_cbranch_execz .LBB54_15
; %bb.27:                               ;   in Loop: Header=BB54_17 Depth=3
	s_mul_i32 s78, s76, s21
	v_cmp_gt_u32_e64 s[4:5], s77, v2
	s_lshl_b32 s79, s77, 3
	s_mov_b64 s[40:41], 0
	v_mov_b32_e32 v11, v6
	s_branch .LBB54_29
.LBB54_28:                              ;   in Loop: Header=BB54_29 Depth=4
	s_or_b64 exec, exec, s[42:43]
	v_add_u32_e32 v11, s48, v11
	v_cmp_le_u32_e32 vcc, s72, v11
	s_or_b64 s[40:41], vcc, s[40:41]
	s_andn2_b64 exec, exec, s[40:41]
	s_cbranch_execz .LBB54_15
.LBB54_29:                              ;   Parent Loop BB54_3 Depth=1
                                        ;     Parent Loop BB54_7 Depth=2
                                        ;       Parent Loop BB54_17 Depth=3
                                        ; =>      This Loop Header: Depth=4
                                        ;           Child Loop BB54_32 Depth 5
                                        ;             Child Loop BB54_34 Depth 6
	s_and_saveexec_b64 s[42:43], s[4:5]
	s_cbranch_execz .LBB54_28
; %bb.30:                               ;   in Loop: Header=BB54_29 Depth=4
	v_mov_b32_e32 v0, s74
	v_mov_b32_e32 v4, s70
	v_cmp_gt_u32_e32 vcc, s71, v11
	v_cndmask_b32_e32 v0, v0, v4, vcc
	v_add_u32_e32 v12, v11, v0
	v_mad_u64_u32 v[4:5], s[44:45], v12, s56, 0
	v_mov_b32_e32 v0, v5
	v_mad_u64_u32 v[12:13], s[44:45], v12, s55, v[0:1]
	v_mov_b32_e32 v5, v12
	v_lshlrev_b64 v[4:5], 3, v[4:5]
	v_mov_b32_e32 v0, s66
	v_add_co_u32_e32 v12, vcc, s9, v4
	v_addc_co_u32_e32 v13, vcc, v0, v5, vcc
	s_mov_b64 s[44:45], 0
	v_mov_b32_e32 v14, v9
	v_mov_b32_e32 v15, v2
	s_branch .LBB54_32
.LBB54_31:                              ;   in Loop: Header=BB54_32 Depth=5
	v_add_u32_e32 v0, s78, v15
	v_lshlrev_b64 v[16:17], 3, v[0:1]
	v_add_co_u32_e32 v16, vcc, v12, v16
	v_addc_co_u32_e32 v17, vcc, v13, v17, vcc
	v_add_u32_e32 v15, s27, v15
	v_cmp_le_u32_e32 vcc, s77, v15
	s_or_b64 s[44:45], vcc, s[44:45]
	v_add_u32_e32 v14, s65, v14
	global_store_dwordx2 v[16:17], v[4:5], off
	s_andn2_b64 exec, exec, s[44:45]
	s_cbranch_execz .LBB54_28
.LBB54_32:                              ;   Parent Loop BB54_3 Depth=1
                                        ;     Parent Loop BB54_7 Depth=2
                                        ;       Parent Loop BB54_17 Depth=3
                                        ;         Parent Loop BB54_29 Depth=4
                                        ; =>        This Loop Header: Depth=5
                                        ;             Child Loop BB54_34 Depth 6
	v_pk_mov_b32 v[4:5], 0, 0
	s_andn2_b64 vcc, exec, s[28:29]
	s_cbranch_vccnz .LBB54_31
; %bb.33:                               ;   in Loop: Header=BB54_32 Depth=5
	v_mov_b32_e32 v0, v11
	v_mov_b32_e32 v16, v14
	s_mov_b32 s80, s72
.LBB54_34:                              ;   Parent Loop BB54_3 Depth=1
                                        ;     Parent Loop BB54_7 Depth=2
                                        ;       Parent Loop BB54_17 Depth=3
                                        ;         Parent Loop BB54_29 Depth=4
                                        ;           Parent Loop BB54_32 Depth=5
                                        ; =>          This Inner Loop Header: Depth=6
	v_lshlrev_b64 v[18:19], 3, v[0:1]
	v_add_co_u32_e32 v18, vcc, s73, v18
	v_addc_co_u32_e32 v19, vcc, v10, v19, vcc
	flat_load_dwordx2 v[18:19], v[18:19]
	ds_read_b64 v[20:21], v16
	s_add_i32 s80, s80, -1
	v_add_u32_e32 v16, s79, v16
	v_add_u32_e32 v0, s49, v0
	s_cmp_eq_u32 s80, 0
	s_waitcnt vmcnt(0) lgkmcnt(0)
	v_fmac_f64_e32 v[4:5], v[20:21], v[18:19]
	s_cbranch_scc0 .LBB54_34
	s_branch .LBB54_31
.LBB54_35:
	s_endpgm
	.section	.rodata,"a",@progbits
	.p2align	6, 0x0
	.amdhsa_kernel _ZN9rocsolver6v33100L17syevj_offd_rotateILb0EddPdEEvbiiT2_iilPT0_PiS6_S6_i
		.amdhsa_group_segment_fixed_size 0
		.amdhsa_private_segment_fixed_size 0
		.amdhsa_kernarg_size 336
		.amdhsa_user_sgpr_count 6
		.amdhsa_user_sgpr_private_segment_buffer 1
		.amdhsa_user_sgpr_dispatch_ptr 0
		.amdhsa_user_sgpr_queue_ptr 0
		.amdhsa_user_sgpr_kernarg_segment_ptr 1
		.amdhsa_user_sgpr_dispatch_id 0
		.amdhsa_user_sgpr_flat_scratch_init 0
		.amdhsa_user_sgpr_kernarg_preload_length 0
		.amdhsa_user_sgpr_kernarg_preload_offset 0
		.amdhsa_user_sgpr_private_segment_size 0
		.amdhsa_uses_dynamic_stack 0
		.amdhsa_system_sgpr_private_segment_wavefront_offset 0
		.amdhsa_system_sgpr_workgroup_id_x 1
		.amdhsa_system_sgpr_workgroup_id_y 1
		.amdhsa_system_sgpr_workgroup_id_z 1
		.amdhsa_system_sgpr_workgroup_info 0
		.amdhsa_system_vgpr_workitem_id 1
		.amdhsa_next_free_vgpr 22
		.amdhsa_next_free_sgpr 81
		.amdhsa_accum_offset 24
		.amdhsa_reserve_vcc 1
		.amdhsa_reserve_flat_scratch 0
		.amdhsa_float_round_mode_32 0
		.amdhsa_float_round_mode_16_64 0
		.amdhsa_float_denorm_mode_32 3
		.amdhsa_float_denorm_mode_16_64 3
		.amdhsa_dx10_clamp 1
		.amdhsa_ieee_mode 1
		.amdhsa_fp16_overflow 0
		.amdhsa_tg_split 0
		.amdhsa_exception_fp_ieee_invalid_op 0
		.amdhsa_exception_fp_denorm_src 0
		.amdhsa_exception_fp_ieee_div_zero 0
		.amdhsa_exception_fp_ieee_overflow 0
		.amdhsa_exception_fp_ieee_underflow 0
		.amdhsa_exception_fp_ieee_inexact 0
		.amdhsa_exception_int_div_zero 0
	.end_amdhsa_kernel
	.section	.text._ZN9rocsolver6v33100L17syevj_offd_rotateILb0EddPdEEvbiiT2_iilPT0_PiS6_S6_i,"axG",@progbits,_ZN9rocsolver6v33100L17syevj_offd_rotateILb0EddPdEEvbiiT2_iilPT0_PiS6_S6_i,comdat
.Lfunc_end54:
	.size	_ZN9rocsolver6v33100L17syevj_offd_rotateILb0EddPdEEvbiiT2_iilPT0_PiS6_S6_i, .Lfunc_end54-_ZN9rocsolver6v33100L17syevj_offd_rotateILb0EddPdEEvbiiT2_iilPT0_PiS6_S6_i
                                        ; -- End function
	.section	.AMDGPU.csdata,"",@progbits
; Kernel info:
; codeLenInByte = 1488
; NumSgprs: 85
; NumVgprs: 22
; NumAgprs: 0
; TotalNumVgprs: 22
; ScratchSize: 0
; MemoryBound: 0
; FloatMode: 240
; IeeeMode: 1
; LDSByteSize: 0 bytes/workgroup (compile time only)
; SGPRBlocks: 10
; VGPRBlocks: 2
; NumSGPRsForWavesPerEU: 85
; NumVGPRsForWavesPerEU: 22
; AccumOffset: 24
; Occupancy: 8
; WaveLimiterHint : 1
; COMPUTE_PGM_RSRC2:SCRATCH_EN: 0
; COMPUTE_PGM_RSRC2:USER_SGPR: 6
; COMPUTE_PGM_RSRC2:TRAP_HANDLER: 0
; COMPUTE_PGM_RSRC2:TGID_X_EN: 1
; COMPUTE_PGM_RSRC2:TGID_Y_EN: 1
; COMPUTE_PGM_RSRC2:TGID_Z_EN: 1
; COMPUTE_PGM_RSRC2:TIDIG_COMP_CNT: 1
; COMPUTE_PGM_RSRC3_GFX90A:ACCUM_OFFSET: 5
; COMPUTE_PGM_RSRC3_GFX90A:TG_SPLIT: 0
	.section	.text._ZN9rocsolver6v33100L21syevj_offd_rotate_orgILb1EddPdEEvbiiT2_iilPT0_PiS6_S6_,"axG",@progbits,_ZN9rocsolver6v33100L21syevj_offd_rotate_orgILb1EddPdEEvbiiT2_iilPT0_PiS6_S6_,comdat
	.globl	_ZN9rocsolver6v33100L21syevj_offd_rotate_orgILb1EddPdEEvbiiT2_iilPT0_PiS6_S6_ ; -- Begin function _ZN9rocsolver6v33100L21syevj_offd_rotate_orgILb1EddPdEEvbiiT2_iilPT0_PiS6_S6_
	.p2align	8
	.type	_ZN9rocsolver6v33100L21syevj_offd_rotate_orgILb1EddPdEEvbiiT2_iilPT0_PiS6_S6_,@function
_ZN9rocsolver6v33100L21syevj_offd_rotate_orgILb1EddPdEEvbiiT2_iilPT0_PiS6_S6_: ; @_ZN9rocsolver6v33100L21syevj_offd_rotate_orgILb1EddPdEEvbiiT2_iilPT0_PiS6_S6_
; %bb.0:
	s_load_dwordx2 s[0:1], s[4:5], 0x40
	s_ashr_i32 s9, s8, 31
	s_lshl_b64 s[2:3], s[8:9], 2
	s_waitcnt lgkmcnt(0)
	s_add_u32 s0, s0, s2
	s_addc_u32 s1, s1, s3
	s_load_dword s0, s[0:1], 0x4
	s_waitcnt lgkmcnt(0)
	s_cmp_lg_u32 s0, 0
	s_cbranch_scc0 .LBB55_2
.LBB55_1:
	s_endpgm
.LBB55_2:
	s_load_dwordx8 s[12:19], s[4:5], 0x20
	s_mov_b32 s20, s7
	s_ashr_i32 s7, s6, 31
	s_lshl_b64 s[0:1], s[6:7], 2
	s_waitcnt lgkmcnt(0)
	s_add_u32 s2, s16, s0
	s_addc_u32 s3, s17, s1
	s_add_u32 s10, s18, s0
	s_load_dword s7, s[2:3], 0x0
	s_addc_u32 s11, s19, s1
	s_load_dword s16, s[10:11], 0x0
	s_load_dwordx4 s[0:3], s[4:5], 0x0
	s_waitcnt lgkmcnt(0)
	s_max_i32 s3, s7, s16
	s_cmp_ge_i32 s3, s1
	s_cbranch_scc1 .LBB55_1
; %bb.3:
	s_add_u32 s10, s4, 0x48
	s_addc_u32 s11, s5, 0
	s_bitcmp1_b32 s0, 0
	s_cselect_b64 s[0:1], -1, 0
	s_xor_b64 s[0:1], s[0:1], -1
	s_min_i32 s17, s7, s16
	s_and_b64 vcc, exec, s[0:1]
	s_mov_b32 s16, s20
	s_cbranch_vccnz .LBB55_5
; %bb.4:
	s_lshr_b32 s0, s16, 31
	s_add_i32 s0, s16, s0
	s_ashr_i32 s7, s0, 1
	s_cmp_lg_u32 s7, s17
	s_cselect_b64 s[0:1], -1, 0
	s_cmp_lg_u32 s7, s3
	s_cselect_b64 s[18:19], -1, 0
	s_and_b64 s[0:1], s[0:1], s[18:19]
.LBB55_5:
	s_andn2_b64 vcc, exec, s[0:1]
	s_cbranch_vccnz .LBB55_1
; %bb.6:
	s_load_dword s1, s[10:11], 0xc
	v_and_b32_e32 v7, 0x3ff, v0
	v_bfe_u32 v0, v0, 10, 10
	s_waitcnt lgkmcnt(0)
	s_bfe_u32 s7, s1, 0xf0001
	s_mul_i32 s10, s3, s7
	s_mul_i32 s0, s17, s7
	s_sub_i32 s3, s10, s7
	s_lshr_b32 s11, s1, 16
	v_mov_b32_e32 v1, s0
	v_mov_b32_e32 v2, s3
	v_cmp_gt_u32_e32 vcc, s7, v7
	v_cndmask_b32_e32 v1, v2, v1, vcc
	s_mul_i32 s3, s16, s11
	v_add_u32_e32 v6, v1, v7
	v_add_u32_e32 v0, s3, v0
	v_max_i32_e32 v1, v6, v0
	v_cmp_gt_i32_e32 vcc, s2, v1
	s_and_saveexec_b64 s[16:17], vcc
	s_cbranch_execz .LBB55_1
; %bb.7:
	s_load_dword s11, s[4:5], 0x48
	s_load_dwordx4 s[16:19], s[4:5], 0x10
	s_mul_i32 s9, s9, s12
	s_and_b32 s1, s1, 0xffff
	s_lshl_b32 s3, s7, 1
	s_waitcnt lgkmcnt(0)
	s_mul_i32 s4, s11, s8
	s_mul_i32 s11, s8, s13
	s_mul_hi_u32 s13, s8, s12
	s_add_i32 s11, s13, s11
	s_add_i32 s9, s11, s9
	s_mul_i32 s8, s8, s12
	s_ashr_i32 s5, s18, 31
	s_add_i32 s6, s4, s6
	s_lshl_b64 s[8:9], s[8:9], 3
	s_mov_b32 s4, s18
	s_add_u32 s8, s16, s8
	s_addc_u32 s9, s17, s9
	s_lshl_b64 s[4:5], s[4:5], 3
	s_mul_i32 s6, s6, s7
	s_add_u32 s4, s8, s4
	s_mul_i32 s6, s6, s7
	s_addc_u32 s5, s9, s5
	s_lshl_b32 s8, s6, 2
	s_ashr_i32 s9, s8, 31
	s_lshl_b64 s[8:9], s[8:9], 3
	s_add_u32 s6, s14, s8
	s_addc_u32 s8, s15, s9
	s_cmp_gt_u32 s1, 1
	v_mul_lo_u32 v9, v0, s19
	s_cbranch_scc0 .LBB55_11
; %bb.8:
	v_mul_lo_u32 v8, v0, s19
	v_add_u32_e32 v2, s0, v8
	v_pk_mov_b32 v[0:1], 0, 0
	v_mov_b32_e32 v5, 0
	v_mov_b32_e32 v10, s8
	v_mov_b32_e32 v11, s5
	v_mov_b32_e32 v4, v7
	s_mov_b32 s0, s7
.LBB55_9:                               ; =>This Inner Loop Header: Depth=1
	v_lshlrev_b64 v[12:13], 3, v[4:5]
	v_ashrrev_i32_e32 v3, 31, v2
	v_add_co_u32_e32 v12, vcc, s6, v12
	v_addc_co_u32_e32 v13, vcc, v10, v13, vcc
	v_lshlrev_b64 v[14:15], 3, v[2:3]
	v_add_co_u32_e32 v14, vcc, s4, v14
	v_addc_co_u32_e32 v15, vcc, v11, v15, vcc
	global_load_dwordx2 v[12:13], v[12:13], off
	s_add_i32 s0, s0, -1
	global_load_dwordx2 v[14:15], v[14:15], off
	v_add_u32_e32 v4, s3, v4
	v_add_u32_e32 v2, 1, v2
	s_cmp_eq_u32 s0, 0
	s_waitcnt vmcnt(0)
	v_fmac_f64_e32 v[0:1], v[12:13], v[14:15]
	s_cbranch_scc0 .LBB55_9
; %bb.10:
	s_mov_b64 s[0:1], 0
	s_branch .LBB55_12
.LBB55_11:
	s_mov_b64 s[0:1], -1
                                        ; implicit-def: $vgpr0_vgpr1
                                        ; implicit-def: $vgpr8
.LBB55_12:
	s_and_b64 vcc, exec, s[0:1]
	s_cbranch_vccz .LBB55_14
; %bb.13:
	v_pk_mov_b32 v[0:1], 0, 0
	v_mov_b32_e32 v8, v9
.LBB55_14:
	s_sub_i32 s0, s2, s10
	s_min_i32 s0, s0, s7
	s_cmp_lt_i32 s0, 1
	s_cbranch_scc1 .LBB55_17
; %bb.15:
	s_mul_i32 s7, s7, s7
	v_add_u32_e32 v2, s10, v8
	v_lshl_add_u32 v4, s7, 1, v7
	v_mov_b32_e32 v5, 0
	v_mov_b32_e32 v7, s8
	;; [unrolled: 1-line block ×3, first 2 shown]
.LBB55_16:                              ; =>This Inner Loop Header: Depth=1
	v_lshlrev_b64 v[10:11], 3, v[4:5]
	v_ashrrev_i32_e32 v3, 31, v2
	v_add_co_u32_e32 v10, vcc, s6, v10
	v_addc_co_u32_e32 v11, vcc, v7, v11, vcc
	v_lshlrev_b64 v[12:13], 3, v[2:3]
	v_add_co_u32_e32 v12, vcc, s4, v12
	v_addc_co_u32_e32 v13, vcc, v9, v13, vcc
	global_load_dwordx2 v[10:11], v[10:11], off
	s_add_i32 s0, s0, -1
	global_load_dwordx2 v[12:13], v[12:13], off
	v_add_u32_e32 v4, s3, v4
	v_add_u32_e32 v2, 1, v2
	s_cmp_lg_u32 s0, 0
	s_waitcnt vmcnt(0)
	v_fmac_f64_e32 v[0:1], v[10:11], v[12:13]
	s_cbranch_scc1 .LBB55_16
.LBB55_17:
	v_add_u32_e32 v2, v6, v8
	v_ashrrev_i32_e32 v3, 31, v2
	v_lshlrev_b64 v[2:3], 3, v[2:3]
	v_mov_b32_e32 v4, s5
	v_add_co_u32_e32 v2, vcc, s4, v2
	v_addc_co_u32_e32 v3, vcc, v4, v3, vcc
	s_barrier
	global_store_dwordx2 v[2:3], v[0:1], off
	s_endpgm
	.section	.rodata,"a",@progbits
	.p2align	6, 0x0
	.amdhsa_kernel _ZN9rocsolver6v33100L21syevj_offd_rotate_orgILb1EddPdEEvbiiT2_iilPT0_PiS6_S6_
		.amdhsa_group_segment_fixed_size 0
		.amdhsa_private_segment_fixed_size 0
		.amdhsa_kernarg_size 328
		.amdhsa_user_sgpr_count 6
		.amdhsa_user_sgpr_private_segment_buffer 1
		.amdhsa_user_sgpr_dispatch_ptr 0
		.amdhsa_user_sgpr_queue_ptr 0
		.amdhsa_user_sgpr_kernarg_segment_ptr 1
		.amdhsa_user_sgpr_dispatch_id 0
		.amdhsa_user_sgpr_flat_scratch_init 0
		.amdhsa_user_sgpr_kernarg_preload_length 0
		.amdhsa_user_sgpr_kernarg_preload_offset 0
		.amdhsa_user_sgpr_private_segment_size 0
		.amdhsa_uses_dynamic_stack 0
		.amdhsa_system_sgpr_private_segment_wavefront_offset 0
		.amdhsa_system_sgpr_workgroup_id_x 1
		.amdhsa_system_sgpr_workgroup_id_y 1
		.amdhsa_system_sgpr_workgroup_id_z 1
		.amdhsa_system_sgpr_workgroup_info 0
		.amdhsa_system_vgpr_workitem_id 1
		.amdhsa_next_free_vgpr 16
		.amdhsa_next_free_sgpr 21
		.amdhsa_accum_offset 16
		.amdhsa_reserve_vcc 1
		.amdhsa_reserve_flat_scratch 0
		.amdhsa_float_round_mode_32 0
		.amdhsa_float_round_mode_16_64 0
		.amdhsa_float_denorm_mode_32 3
		.amdhsa_float_denorm_mode_16_64 3
		.amdhsa_dx10_clamp 1
		.amdhsa_ieee_mode 1
		.amdhsa_fp16_overflow 0
		.amdhsa_tg_split 0
		.amdhsa_exception_fp_ieee_invalid_op 0
		.amdhsa_exception_fp_denorm_src 0
		.amdhsa_exception_fp_ieee_div_zero 0
		.amdhsa_exception_fp_ieee_overflow 0
		.amdhsa_exception_fp_ieee_underflow 0
		.amdhsa_exception_fp_ieee_inexact 0
		.amdhsa_exception_int_div_zero 0
	.end_amdhsa_kernel
	.section	.text._ZN9rocsolver6v33100L21syevj_offd_rotate_orgILb1EddPdEEvbiiT2_iilPT0_PiS6_S6_,"axG",@progbits,_ZN9rocsolver6v33100L21syevj_offd_rotate_orgILb1EddPdEEvbiiT2_iilPT0_PiS6_S6_,comdat
.Lfunc_end55:
	.size	_ZN9rocsolver6v33100L21syevj_offd_rotate_orgILb1EddPdEEvbiiT2_iilPT0_PiS6_S6_, .Lfunc_end55-_ZN9rocsolver6v33100L21syevj_offd_rotate_orgILb1EddPdEEvbiiT2_iilPT0_PiS6_S6_
                                        ; -- End function
	.section	.AMDGPU.csdata,"",@progbits
; Kernel info:
; codeLenInByte = 768
; NumSgprs: 25
; NumVgprs: 16
; NumAgprs: 0
; TotalNumVgprs: 16
; ScratchSize: 0
; MemoryBound: 0
; FloatMode: 240
; IeeeMode: 1
; LDSByteSize: 0 bytes/workgroup (compile time only)
; SGPRBlocks: 3
; VGPRBlocks: 1
; NumSGPRsForWavesPerEU: 25
; NumVGPRsForWavesPerEU: 16
; AccumOffset: 16
; Occupancy: 8
; WaveLimiterHint : 0
; COMPUTE_PGM_RSRC2:SCRATCH_EN: 0
; COMPUTE_PGM_RSRC2:USER_SGPR: 6
; COMPUTE_PGM_RSRC2:TRAP_HANDLER: 0
; COMPUTE_PGM_RSRC2:TGID_X_EN: 1
; COMPUTE_PGM_RSRC2:TGID_Y_EN: 1
; COMPUTE_PGM_RSRC2:TGID_Z_EN: 1
; COMPUTE_PGM_RSRC2:TIDIG_COMP_CNT: 1
; COMPUTE_PGM_RSRC3_GFX90A:ACCUM_OFFSET: 3
; COMPUTE_PGM_RSRC3_GFX90A:TG_SPLIT: 0
	.section	.text._ZN9rocsolver6v33100L17syevj_offd_rotateILb1EddPdEEvbiiT2_iilPT0_PiS6_S6_i,"axG",@progbits,_ZN9rocsolver6v33100L17syevj_offd_rotateILb1EddPdEEvbiiT2_iilPT0_PiS6_S6_i,comdat
	.globl	_ZN9rocsolver6v33100L17syevj_offd_rotateILb1EddPdEEvbiiT2_iilPT0_PiS6_S6_i ; -- Begin function _ZN9rocsolver6v33100L17syevj_offd_rotateILb1EddPdEEvbiiT2_iilPT0_PiS6_S6_i
	.p2align	8
	.type	_ZN9rocsolver6v33100L17syevj_offd_rotateILb1EddPdEEvbiiT2_iilPT0_PiS6_S6_i,@function
_ZN9rocsolver6v33100L17syevj_offd_rotateILb1EddPdEEvbiiT2_iilPT0_PiS6_S6_i: ; @_ZN9rocsolver6v33100L17syevj_offd_rotateILb1EddPdEEvbiiT2_iilPT0_PiS6_S6_i
; %bb.0:
	s_load_dwordx4 s[20:23], s[4:5], 0x0
	s_load_dword s33, s[4:5], 0x48
	s_waitcnt lgkmcnt(0)
	s_abs_i32 s2, s21
	v_cvt_f32_u32_e32 v1, s2
	s_cmp_ge_u32 s8, s33
	v_rcp_iflag_f32_e32 v1, v1
	v_mul_f32_e32 v1, 0x4f7ffffe, v1
	v_cvt_u32_f32_e32 v1, v1
	v_readfirstlane_b32 s0, v1
	s_cbranch_scc1 .LBB56_35
; %bb.1:
	s_add_i32 s1, s22, -1
	s_ashr_i32 s3, s1, 31
	s_abs_i32 s10, s1
	s_sub_i32 s1, 0, s2
	s_mul_i32 s1, s1, s0
	s_mul_hi_u32 s1, s0, s1
	s_ashr_i32 s9, s21, 31
	s_add_i32 s0, s0, s1
	s_bitcmp1_b32 s20, 0
	s_mul_hi_u32 s23, s10, s0
	s_cselect_b64 s[0:1], -1, 0
	v_cndmask_b32_e64 v3, 0, 1, s[0:1]
	s_xor_b64 s[34:35], s[0:1], -1
	s_mul_i32 s1, s23, s2
	s_sub_i32 s1, s10, s1
	s_xor_b32 s0, s3, s9
	s_add_i32 s3, s23, 1
	s_sub_i32 s9, s1, s2
	s_cmp_ge_u32 s1, s2
	s_cselect_b32 s3, s3, s23
	s_cselect_b32 s1, s9, s1
	s_add_i32 s9, s3, 1
	s_cmp_ge_u32 s1, s2
	s_cselect_b32 s1, s9, s3
	s_xor_b32 s1, s1, s0
	s_sub_i32 s20, s1, s0
	s_add_i32 s46, s20, 1
	s_lshr_b32 s0, s46, 31
	s_add_i32 s0, s46, s0
	s_and_b32 s0, s0, -2
	s_load_dwordx4 s[28:31], s[4:5], 0x10
	s_load_dwordx8 s[12:19], s[4:5], 0x20
	s_sub_i32 s0, s46, s0
	s_load_dwordx2 s[2:3], s[4:5], 0x40
	s_load_dwordx4 s[24:27], s[4:5], 0x50
	s_add_i32 s0, s0, s46
	s_lshr_b32 s1, s0, 31
	s_lshl_b32 s49, s21, 1
	s_add_i32 s0, s0, s1
	s_mul_i32 s4, s49, s21
	s_ashr_i32 s47, s0, 1
	s_lshl_b32 s0, s4, 3
	s_waitcnt lgkmcnt(0)
	s_lshr_b32 s48, s27, 16
	s_and_b32 s27, s27, 0xffff
	s_add_i32 s50, s0, 0
	s_mul_i32 s4, s4, 3
	s_cmpk_lt_u32 s4, 0x2001
	s_mul_i32 s9, s21, s21
	s_mov_b64 s[0:1], src_shared_base
	s_cselect_b64 s[36:37], -1, 0
	s_ashr_i32 s5, s30, 31
	s_lshl_b32 s52, s9, 2
	s_cmp_lt_u32 s6, s47
	s_mul_i32 s0, s20, s21
	s_cselect_b64 s[38:39], -1, 0
	s_sub_i32 s53, s22, s0
	s_cmp_lt_u32 s7, s46
	s_cselect_b64 s[22:23], -1, 0
	s_ashr_i32 s55, s31, 31
	s_mov_b32 s4, s30
	s_add_u32 s57, s2, 4
	s_addc_u32 s58, s3, 0
	s_lshl_b64 s[2:3], s[4:5], 3
	s_add_u32 s59, s28, s2
	v_and_b32_e32 v2, 0x3ff, v0
	v_bfe_u32 v6, v0, 10, 10
	s_addc_u32 s60, s29, s3
	s_lshl_b32 s2, s9, 4
	v_mad_u32_u24 v7, v6, s27, v2
	s_mul_i32 s54, s48, s27
	s_add_i32 s2, s2, 0
	s_mov_b32 s11, 0
	s_mov_b32 s51, s1
	v_cmp_gt_u32_e64 s[0:1], s52, v7
	s_mov_b32 s56, s31
	v_lshl_add_u32 v8, v7, 3, s2
	s_lshl_b32 s61, s54, 3
	s_lshl_b32 s62, s48, 3
	;; [unrolled: 1-line block ×3, first 2 shown]
	v_lshlrev_b32_e32 v9, 3, v6
	v_mov_b32_e32 v1, 0
	s_branch .LBB56_3
.LBB56_2:                               ;   in Loop: Header=BB56_3 Depth=1
	s_add_i32 s8, s8, s26
	s_cmp_ge_u32 s8, s33
	s_cbranch_scc1 .LBB56_35
.LBB56_3:                               ; =>This Loop Header: Depth=1
                                        ;     Child Loop BB56_7 Depth 2
                                        ;       Child Loop BB56_11 Depth 3
                                        ;       Child Loop BB56_17 Depth 3
                                        ;         Child Loop BB56_23 Depth 4
                                        ;           Child Loop BB56_25 Depth 5
                                        ;         Child Loop BB56_29 Depth 4
                                        ;           Child Loop BB56_32 Depth 5
                                        ;             Child Loop BB56_34 Depth 6
	s_mov_b32 s9, s11
	s_lshl_b64 s[2:3], s[8:9], 2
	s_add_u32 s2, s57, s2
	s_addc_u32 s3, s58, s3
	s_load_dword s2, s[2:3], 0x0
	s_waitcnt lgkmcnt(0)
	s_cmp_lg_u32 s2, 0
	s_cbranch_scc1 .LBB56_2
; %bb.4:                                ;   in Loop: Header=BB56_3 Depth=1
	s_andn2_b64 vcc, exec, s[38:39]
	s_cbranch_vccnz .LBB56_2
; %bb.5:                                ;   in Loop: Header=BB56_3 Depth=1
	s_mul_i32 s2, s8, s13
	s_mul_hi_u32 s3, s8, s12
	s_add_i32 s3, s3, s2
	s_mul_i32 s2, s8, s12
	s_lshl_b64 s[2:3], s[2:3], 3
	s_add_u32 s9, s59, s2
	s_addc_u32 s64, s60, s3
	s_mul_i32 s65, s8, s47
	s_mov_b32 s10, s6
	s_branch .LBB56_7
.LBB56_6:                               ;   in Loop: Header=BB56_7 Depth=2
	s_add_i32 s10, s10, s24
	s_cmp_lt_u32 s10, s47
	s_cbranch_scc0 .LBB56_2
.LBB56_7:                               ;   Parent Loop BB56_3 Depth=1
                                        ; =>  This Loop Header: Depth=2
                                        ;       Child Loop BB56_11 Depth 3
                                        ;       Child Loop BB56_17 Depth 3
                                        ;         Child Loop BB56_23 Depth 4
                                        ;           Child Loop BB56_25 Depth 5
                                        ;         Child Loop BB56_29 Depth 4
                                        ;           Child Loop BB56_32 Depth 5
                                        ;             Child Loop BB56_34 Depth 6
	s_lshl_b64 s[2:3], s[10:11], 2
	s_add_u32 s4, s16, s2
	s_addc_u32 s5, s17, s3
	s_add_u32 s2, s18, s2
	s_addc_u32 s3, s19, s3
	global_load_dword v0, v1, s[2:3]
	global_load_dword v4, v1, s[4:5]
	s_waitcnt vmcnt(1)
	v_readfirstlane_b32 s28, v0
	s_waitcnt vmcnt(0)
	v_readfirstlane_b32 s29, v4
	s_max_i32 s66, s29, s28
	s_cmp_gt_i32 s66, s20
	s_cbranch_scc1 .LBB56_6
; %bb.8:                                ;   in Loop: Header=BB56_7 Depth=2
	s_add_i32 s2, s10, s65
	s_mul_i32 s2, s52, s2
	s_mov_b32 s3, s11
	s_lshl_b64 s[2:3], s[2:3], 3
	s_add_u32 s30, s14, s2
	s_addc_u32 s31, s15, s3
	s_andn2_b64 vcc, exec, s[36:37]
	s_cbranch_vccnz .LBB56_13
; %bb.9:                                ;   in Loop: Header=BB56_7 Depth=2
	s_barrier
	s_and_saveexec_b64 s[2:3], s[0:1]
	s_cbranch_execz .LBB56_12
; %bb.10:                               ;   in Loop: Header=BB56_7 Depth=2
	s_mov_b64 s[4:5], 0
	v_mov_b32_e32 v4, s31
	v_mov_b32_e32 v5, v8
	;; [unrolled: 1-line block ×3, first 2 shown]
.LBB56_11:                              ;   Parent Loop BB56_3 Depth=1
                                        ;     Parent Loop BB56_7 Depth=2
                                        ; =>    This Inner Loop Header: Depth=3
	v_lshlrev_b64 v[10:11], 3, v[0:1]
	v_add_co_u32_e32 v10, vcc, s30, v10
	v_addc_co_u32_e32 v11, vcc, v4, v11, vcc
	global_load_dwordx2 v[10:11], v[10:11], off
	v_add_u32_e32 v0, s54, v0
	v_cmp_le_u32_e32 vcc, s52, v0
	s_or_b64 s[4:5], vcc, s[4:5]
	s_waitcnt vmcnt(0)
	ds_write_b64 v5, v[10:11]
	v_add_u32_e32 v5, s61, v5
	s_andn2_b64 exec, exec, s[4:5]
	s_cbranch_execnz .LBB56_11
.LBB56_12:                              ;   in Loop: Header=BB56_7 Depth=2
	s_or_b64 exec, exec, s[2:3]
	s_waitcnt lgkmcnt(0)
	s_barrier
.LBB56_13:                              ;   in Loop: Header=BB56_7 Depth=2
	s_andn2_b64 vcc, exec, s[22:23]
	s_cbranch_vccnz .LBB56_6
; %bb.14:                               ;   in Loop: Header=BB56_7 Depth=2
	s_min_i32 s67, s28, s29
	s_cmp_eq_u32 s20, s67
	s_cselect_b32 s69, s53, s21
	s_cmp_eq_u32 s20, s66
	s_cselect_b32 s2, s53, s21
	s_add_i32 s70, s69, s2
	s_mul_i32 s4, s66, s21
	s_and_b64 s[2:3], s[36:37], exec
	s_cselect_b32 s71, s51, s31
	s_cselect_b32 s72, s50, s30
	s_sub_i32 s73, s4, s69
	s_cmp_gt_i32 s70, 0
	v_mad_u64_u32 v[4:5], s[4:5], v6, s70, v[2:3]
	v_mul_lo_u32 v0, v9, s70
	s_mul_i32 s68, s67, s21
	v_cmp_gt_u32_e64 s[2:3], s70, v2
	v_lshl_add_u32 v10, v4, 3, 0
	s_mul_i32 s74, s62, s70
	v_add_u32_e32 v11, 0, v0
	s_cselect_b64 s[28:29], -1, 0
	s_mov_b32 s75, s7
	s_branch .LBB56_17
.LBB56_15:                              ;   in Loop: Header=BB56_17 Depth=3
	s_or_b64 exec, exec, s[4:5]
	s_barrier
.LBB56_16:                              ;   in Loop: Header=BB56_17 Depth=3
	s_add_i32 s75, s75, s25
	s_cmp_lt_u32 s75, s46
	s_cbranch_scc0 .LBB56_6
.LBB56_17:                              ;   Parent Loop BB56_3 Depth=1
                                        ;     Parent Loop BB56_7 Depth=2
                                        ; =>    This Loop Header: Depth=3
                                        ;         Child Loop BB56_23 Depth 4
                                        ;           Child Loop BB56_25 Depth 5
                                        ;         Child Loop BB56_29 Depth 4
                                        ;           Child Loop BB56_32 Depth 5
                                        ;             Child Loop BB56_34 Depth 6
	v_cmp_ne_u32_e32 vcc, 1, v3
	s_mov_b64 s[4:5], s[34:35]
	s_cbranch_vccz .LBB56_19
; %bb.18:                               ;   in Loop: Header=BB56_17 Depth=3
	s_andn2_b64 vcc, exec, s[4:5]
	s_cbranch_vccnz .LBB56_16
	s_branch .LBB56_20
.LBB56_19:                              ;   in Loop: Header=BB56_17 Depth=3
	s_cmp_lg_u32 s75, s67
	s_cselect_b64 s[4:5], -1, 0
	s_cmp_lg_u32 s75, s66
	s_cselect_b64 s[30:31], -1, 0
	s_and_b64 s[4:5], s[4:5], s[30:31]
	s_andn2_b64 vcc, exec, s[4:5]
	s_cbranch_vccnz .LBB56_16
.LBB56_20:                              ;   in Loop: Header=BB56_17 Depth=3
	s_cmp_eq_u32 s20, s75
	s_cselect_b32 s77, s53, s21
	s_mul_i32 s76, s75, s21
	v_cmp_gt_u32_e32 vcc, s77, v6
	s_barrier
	s_and_saveexec_b64 s[30:31], vcc
	s_cbranch_execz .LBB56_26
; %bb.21:                               ;   in Loop: Header=BB56_17 Depth=3
	s_mov_b64 s[40:41], 0
	v_mov_b32_e32 v4, v10
	v_mov_b32_e32 v5, v6
	s_branch .LBB56_23
.LBB56_22:                              ;   in Loop: Header=BB56_23 Depth=4
	s_or_b64 exec, exec, s[42:43]
	v_add_u32_e32 v5, s48, v5
	v_cmp_le_u32_e64 s[4:5], s77, v5
	s_or_b64 s[40:41], s[4:5], s[40:41]
	v_add_u32_e32 v4, s74, v4
	s_andn2_b64 exec, exec, s[40:41]
	s_cbranch_execz .LBB56_26
.LBB56_23:                              ;   Parent Loop BB56_3 Depth=1
                                        ;     Parent Loop BB56_7 Depth=2
                                        ;       Parent Loop BB56_17 Depth=3
                                        ; =>      This Loop Header: Depth=4
                                        ;           Child Loop BB56_25 Depth 5
	s_and_saveexec_b64 s[42:43], s[2:3]
	s_cbranch_execz .LBB56_22
; %bb.24:                               ;   in Loop: Header=BB56_23 Depth=4
	v_add_u32_e32 v14, s76, v5
	v_mad_u64_u32 v[12:13], s[4:5], v14, s56, 0
	v_mov_b32_e32 v0, v13
	v_mad_u64_u32 v[14:15], s[4:5], v14, s55, v[0:1]
	v_mov_b32_e32 v13, v14
	v_lshlrev_b64 v[12:13], 3, v[12:13]
	v_mov_b32_e32 v0, s64
	v_add_co_u32_e64 v12, s[4:5], s9, v12
	v_addc_co_u32_e64 v13, s[4:5], v0, v13, s[4:5]
	s_mov_b64 s[44:45], 0
	v_mov_b32_e32 v14, v4
	v_mov_b32_e32 v15, v2
.LBB56_25:                              ;   Parent Loop BB56_3 Depth=1
                                        ;     Parent Loop BB56_7 Depth=2
                                        ;       Parent Loop BB56_17 Depth=3
                                        ;         Parent Loop BB56_23 Depth=4
                                        ; =>        This Inner Loop Header: Depth=5
	v_mov_b32_e32 v0, s73
	v_mov_b32_e32 v16, s68
	v_cmp_gt_u32_e64 s[4:5], s69, v15
	v_cndmask_b32_e64 v0, v0, v16, s[4:5]
	v_add_u32_e32 v0, v0, v15
	v_lshlrev_b64 v[16:17], 3, v[0:1]
	v_add_co_u32_e64 v16, s[4:5], v12, v16
	v_addc_co_u32_e64 v17, s[4:5], v13, v17, s[4:5]
	global_load_dwordx2 v[16:17], v[16:17], off
	v_add_u32_e32 v15, s27, v15
	v_cmp_le_u32_e64 s[4:5], s70, v15
	s_or_b64 s[44:45], s[4:5], s[44:45]
	s_waitcnt vmcnt(0)
	ds_write_b64 v14, v[16:17]
	v_add_u32_e32 v14, s63, v14
	s_andn2_b64 exec, exec, s[44:45]
	s_cbranch_execnz .LBB56_25
	s_branch .LBB56_22
.LBB56_26:                              ;   in Loop: Header=BB56_17 Depth=3
	s_or_b64 exec, exec, s[30:31]
	s_waitcnt lgkmcnt(0)
	s_barrier
	s_and_saveexec_b64 s[4:5], vcc
	s_cbranch_execz .LBB56_15
; %bb.27:                               ;   in Loop: Header=BB56_17 Depth=3
	s_mov_b64 s[30:31], 0
	v_mov_b32_e32 v12, v11
	v_mov_b32_e32 v13, v6
	s_branch .LBB56_29
.LBB56_28:                              ;   in Loop: Header=BB56_29 Depth=4
	s_or_b64 exec, exec, s[40:41]
	v_add_u32_e32 v13, s48, v13
	v_cmp_le_u32_e32 vcc, s77, v13
	s_or_b64 s[30:31], vcc, s[30:31]
	v_add_u32_e32 v12, s74, v12
	s_andn2_b64 exec, exec, s[30:31]
	s_cbranch_execz .LBB56_15
.LBB56_29:                              ;   Parent Loop BB56_3 Depth=1
                                        ;     Parent Loop BB56_7 Depth=2
                                        ;       Parent Loop BB56_17 Depth=3
                                        ; =>      This Loop Header: Depth=4
                                        ;           Child Loop BB56_32 Depth 5
                                        ;             Child Loop BB56_34 Depth 6
	s_and_saveexec_b64 s[40:41], s[2:3]
	s_cbranch_execz .LBB56_28
; %bb.30:                               ;   in Loop: Header=BB56_29 Depth=4
	v_add_u32_e32 v14, s76, v13
	v_mad_u64_u32 v[4:5], s[42:43], v14, s56, 0
	v_mov_b32_e32 v0, v5
	v_mad_u64_u32 v[14:15], s[42:43], v14, s55, v[0:1]
	v_mov_b32_e32 v5, v14
	v_lshlrev_b64 v[4:5], 3, v[4:5]
	v_mov_b32_e32 v0, s64
	v_add_co_u32_e32 v14, vcc, s9, v4
	v_addc_co_u32_e32 v15, vcc, v0, v5, vcc
	s_mov_b64 s[42:43], 0
	v_mov_b32_e32 v16, v2
	s_branch .LBB56_32
.LBB56_31:                              ;   in Loop: Header=BB56_32 Depth=5
	v_mov_b32_e32 v0, s73
	v_mov_b32_e32 v17, s68
	v_cmp_gt_u32_e32 vcc, s69, v16
	v_cndmask_b32_e32 v0, v0, v17, vcc
	v_add_u32_e32 v0, v16, v0
	v_lshlrev_b64 v[18:19], 3, v[0:1]
	v_add_co_u32_e32 v18, vcc, v14, v18
	v_addc_co_u32_e32 v19, vcc, v15, v19, vcc
	v_add_u32_e32 v16, s27, v16
	v_cmp_le_u32_e32 vcc, s70, v16
	s_or_b64 s[42:43], vcc, s[42:43]
	global_store_dwordx2 v[18:19], v[4:5], off
	s_andn2_b64 exec, exec, s[42:43]
	s_cbranch_execz .LBB56_28
.LBB56_32:                              ;   Parent Loop BB56_3 Depth=1
                                        ;     Parent Loop BB56_7 Depth=2
                                        ;       Parent Loop BB56_17 Depth=3
                                        ;         Parent Loop BB56_29 Depth=4
                                        ; =>        This Loop Header: Depth=5
                                        ;             Child Loop BB56_34 Depth 6
	v_pk_mov_b32 v[4:5], 0, 0
	s_andn2_b64 vcc, exec, s[28:29]
	s_cbranch_vccnz .LBB56_31
; %bb.33:                               ;   in Loop: Header=BB56_32 Depth=5
	v_mov_b32_e32 v17, v12
	v_mov_b32_e32 v0, v16
	s_mov_b32 s44, s70
.LBB56_34:                              ;   Parent Loop BB56_3 Depth=1
                                        ;     Parent Loop BB56_7 Depth=2
                                        ;       Parent Loop BB56_17 Depth=3
                                        ;         Parent Loop BB56_29 Depth=4
                                        ;           Parent Loop BB56_32 Depth=5
                                        ; =>          This Inner Loop Header: Depth=6
	v_lshlrev_b64 v[18:19], 3, v[0:1]
	v_mov_b32_e32 v20, s71
	v_add_co_u32_e32 v18, vcc, s72, v18
	v_addc_co_u32_e32 v19, vcc, v20, v19, vcc
	flat_load_dwordx2 v[18:19], v[18:19]
	ds_read_b64 v[20:21], v17
	s_add_i32 s44, s44, -1
	v_add_u32_e32 v0, s49, v0
	v_add_u32_e32 v17, 8, v17
	s_cmp_eq_u32 s44, 0
	s_waitcnt vmcnt(0) lgkmcnt(0)
	v_fmac_f64_e32 v[4:5], v[18:19], v[20:21]
	s_cbranch_scc0 .LBB56_34
	s_branch .LBB56_31
.LBB56_35:
	s_endpgm
	.section	.rodata,"a",@progbits
	.p2align	6, 0x0
	.amdhsa_kernel _ZN9rocsolver6v33100L17syevj_offd_rotateILb1EddPdEEvbiiT2_iilPT0_PiS6_S6_i
		.amdhsa_group_segment_fixed_size 0
		.amdhsa_private_segment_fixed_size 0
		.amdhsa_kernarg_size 336
		.amdhsa_user_sgpr_count 6
		.amdhsa_user_sgpr_private_segment_buffer 1
		.amdhsa_user_sgpr_dispatch_ptr 0
		.amdhsa_user_sgpr_queue_ptr 0
		.amdhsa_user_sgpr_kernarg_segment_ptr 1
		.amdhsa_user_sgpr_dispatch_id 0
		.amdhsa_user_sgpr_flat_scratch_init 0
		.amdhsa_user_sgpr_kernarg_preload_length 0
		.amdhsa_user_sgpr_kernarg_preload_offset 0
		.amdhsa_user_sgpr_private_segment_size 0
		.amdhsa_uses_dynamic_stack 0
		.amdhsa_system_sgpr_private_segment_wavefront_offset 0
		.amdhsa_system_sgpr_workgroup_id_x 1
		.amdhsa_system_sgpr_workgroup_id_y 1
		.amdhsa_system_sgpr_workgroup_id_z 1
		.amdhsa_system_sgpr_workgroup_info 0
		.amdhsa_system_vgpr_workitem_id 1
		.amdhsa_next_free_vgpr 22
		.amdhsa_next_free_sgpr 78
		.amdhsa_accum_offset 24
		.amdhsa_reserve_vcc 1
		.amdhsa_reserve_flat_scratch 0
		.amdhsa_float_round_mode_32 0
		.amdhsa_float_round_mode_16_64 0
		.amdhsa_float_denorm_mode_32 3
		.amdhsa_float_denorm_mode_16_64 3
		.amdhsa_dx10_clamp 1
		.amdhsa_ieee_mode 1
		.amdhsa_fp16_overflow 0
		.amdhsa_tg_split 0
		.amdhsa_exception_fp_ieee_invalid_op 0
		.amdhsa_exception_fp_denorm_src 0
		.amdhsa_exception_fp_ieee_div_zero 0
		.amdhsa_exception_fp_ieee_overflow 0
		.amdhsa_exception_fp_ieee_underflow 0
		.amdhsa_exception_fp_ieee_inexact 0
		.amdhsa_exception_int_div_zero 0
	.end_amdhsa_kernel
	.section	.text._ZN9rocsolver6v33100L17syevj_offd_rotateILb1EddPdEEvbiiT2_iilPT0_PiS6_S6_i,"axG",@progbits,_ZN9rocsolver6v33100L17syevj_offd_rotateILb1EddPdEEvbiiT2_iilPT0_PiS6_S6_i,comdat
.Lfunc_end56:
	.size	_ZN9rocsolver6v33100L17syevj_offd_rotateILb1EddPdEEvbiiT2_iilPT0_PiS6_S6_i, .Lfunc_end56-_ZN9rocsolver6v33100L17syevj_offd_rotateILb1EddPdEEvbiiT2_iilPT0_PiS6_S6_i
                                        ; -- End function
	.section	.AMDGPU.csdata,"",@progbits
; Kernel info:
; codeLenInByte = 1472
; NumSgprs: 82
; NumVgprs: 22
; NumAgprs: 0
; TotalNumVgprs: 22
; ScratchSize: 0
; MemoryBound: 0
; FloatMode: 240
; IeeeMode: 1
; LDSByteSize: 0 bytes/workgroup (compile time only)
; SGPRBlocks: 10
; VGPRBlocks: 2
; NumSGPRsForWavesPerEU: 82
; NumVGPRsForWavesPerEU: 22
; AccumOffset: 24
; Occupancy: 8
; WaveLimiterHint : 1
; COMPUTE_PGM_RSRC2:SCRATCH_EN: 0
; COMPUTE_PGM_RSRC2:USER_SGPR: 6
; COMPUTE_PGM_RSRC2:TRAP_HANDLER: 0
; COMPUTE_PGM_RSRC2:TGID_X_EN: 1
; COMPUTE_PGM_RSRC2:TGID_Y_EN: 1
; COMPUTE_PGM_RSRC2:TGID_Z_EN: 1
; COMPUTE_PGM_RSRC2:TIDIG_COMP_CNT: 1
; COMPUTE_PGM_RSRC3_GFX90A:ACCUM_OFFSET: 5
; COMPUTE_PGM_RSRC3_GFX90A:TG_SPLIT: 0
	.section	.text._ZN9rocsolver6v33100L17syevj_cycle_pairsIdEEviPiS2_,"axG",@progbits,_ZN9rocsolver6v33100L17syevj_cycle_pairsIdEEviPiS2_,comdat
	.globl	_ZN9rocsolver6v33100L17syevj_cycle_pairsIdEEviPiS2_ ; -- Begin function _ZN9rocsolver6v33100L17syevj_cycle_pairsIdEEviPiS2_
	.p2align	8
	.type	_ZN9rocsolver6v33100L17syevj_cycle_pairsIdEEviPiS2_,@function
_ZN9rocsolver6v33100L17syevj_cycle_pairsIdEEviPiS2_: ; @_ZN9rocsolver6v33100L17syevj_cycle_pairsIdEEviPiS2_
; %bb.0:
	s_load_dword s8, s[4:5], 0x0
	s_load_dwordx4 s[0:3], s[4:5], 0x8
	s_load_dword s11, s[4:5], 0x24
	v_cmp_eq_u32_e32 vcc, 0, v0
	s_waitcnt lgkmcnt(0)
	s_add_i32 s9, s8, -1
	s_and_saveexec_b64 s[4:5], vcc
	s_cbranch_execz .LBB57_6
; %bb.1:
	s_lshl_b32 s6, s9, 1
	s_or_b32 s7, s6, 1
	s_bfe_i32 s10, s9, 0x1001e
	s_add_i32 s12, s7, s10
	s_xor_b32 s10, s12, s10
	v_cvt_f32_u32_e32 v1, s10
	s_load_dword s12, s[2:3], 0x0
	s_sub_i32 s14, 0, s10
	v_rcp_iflag_f32_e32 v1, v1
	s_waitcnt lgkmcnt(0)
	s_add_i32 s12, s12, -1
	s_ashr_i32 s13, s12, 31
	v_mul_f32_e32 v1, 0x4f7ffffe, v1
	v_cvt_u32_f32_e32 v1, v1
	s_abs_i32 s12, s12
	v_readfirstlane_b32 s15, v1
	s_mul_i32 s14, s14, s15
	s_mul_hi_u32 s14, s15, s14
	s_add_i32 s15, s15, s14
	s_mul_hi_u32 s14, s12, s15
	s_mul_i32 s14, s14, s10
	s_sub_i32 s12, s12, s14
	s_sub_i32 s14, s12, s10
	s_cmp_ge_u32 s12, s10
	s_cselect_b32 s12, s14, s12
	s_sub_i32 s14, s12, s10
	s_cmp_ge_u32 s12, s10
	s_cselect_b32 s10, s14, s12
	s_xor_b32 s10, s10, s13
	s_sub_i32 s10, s10, s13
	s_bitcmp0_b32 s10, 0
	s_cbranch_scc1 .LBB57_3
; %bb.2:
	s_add_i32 s12, s10, 3
	s_cmp_gt_i32 s12, s6
	s_cselect_b32 s12, s7, s12
	s_cbranch_execz .LBB57_4
	s_branch .LBB57_5
.LBB57_3:
                                        ; implicit-def: $sgpr12
.LBB57_4:
	s_add_i32 s6, s10, -1
	s_cmp_gt_i32 s10, 1
	s_cselect_b32 s12, s6, 2
.LBB57_5:
	v_mov_b32_e32 v1, 0
	v_mov_b32_e32 v2, s12
	global_store_dword v1, v2, s[2:3]
.LBB57_6:
	s_or_b64 exec, exec, s[4:5]
	v_add_u32_e32 v4, 1, v0
	v_cmp_gt_i32_e32 vcc, s8, v4
	s_and_saveexec_b64 s[4:5], vcc
	s_cbranch_execz .LBB57_17
; %bb.7:
	s_lshl_b32 s9, s9, 1
	s_or_b32 s10, s9, 1
	v_cvt_f32_u32_e32 v1, s10
	v_lshlrev_b32_e32 v0, 2, v0
	v_add_co_u32_e32 v0, vcc, 4, v0
	v_rcp_iflag_f32_e32 v1, v1
	s_and_b32 s11, 0xffff, s11
	s_mov_b32 s6, 0
	s_lshl_b32 s12, s11, 2
	v_mul_f32_e32 v1, 0x4f7ffffe, v1
	v_cvt_u32_f32_e32 v2, v1
	v_addc_co_u32_e64 v1, s[4:5], 0, 0, vcc
	s_sub_i32 s4, 0, s10
	v_mul_lo_u32 v3, s4, v2
	v_mul_hi_u32 v3, v2, v3
	v_add_u32_e32 v5, v2, v3
	s_mov_b64 s[4:5], 0
	v_mov_b32_e32 v6, s1
	v_mov_b32_e32 v7, s3
	;; [unrolled: 1-line block ×3, first 2 shown]
	s_branch .LBB57_9
.LBB57_8:                               ;   in Loop: Header=BB57_9 Depth=1
	s_or_b64 exec, exec, s[6:7]
	v_add_u32_e32 v4, s11, v4
	v_cmp_le_i32_e32 vcc, s8, v4
	s_or_b64 s[4:5], vcc, s[4:5]
	v_add_co_u32_e32 v0, vcc, s12, v0
	v_addc_co_u32_e32 v1, vcc, v1, v8, vcc
	global_store_dword v[2:3], v9, off
	s_andn2_b64 exec, exec, s[4:5]
	s_cbranch_execz .LBB57_17
.LBB57_9:                               ; =>This Inner Loop Header: Depth=1
	v_add_co_u32_e32 v2, vcc, s0, v0
	v_addc_co_u32_e32 v3, vcc, v6, v1, vcc
	global_load_dword v9, v[2:3], off
	s_waitcnt vmcnt(0)
	v_add_u32_e32 v9, -1, v9
	v_sub_u32_e32 v11, 0, v9
	v_ashrrev_i32_e32 v10, 31, v9
	v_max_i32_e32 v9, v9, v11
	v_mul_hi_u32 v11, v9, v5
	v_mul_lo_u32 v11, v11, s10
	v_sub_u32_e32 v9, v9, v11
	v_subrev_u32_e32 v11, s10, v9
	v_cmp_le_u32_e32 vcc, s10, v9
	v_cndmask_b32_e32 v9, v9, v11, vcc
	v_subrev_u32_e32 v11, s10, v9
	v_cmp_le_u32_e32 vcc, s10, v9
	v_cndmask_b32_e32 v9, v9, v11, vcc
	v_xor_b32_e32 v9, v9, v10
	v_sub_u32_e32 v10, v9, v10
	v_and_b32_e32 v9, 1, v10
	v_cmp_eq_u32_e32 vcc, 1, v9
                                        ; implicit-def: $vgpr9
	s_and_saveexec_b64 s[6:7], vcc
	s_xor_b64 s[6:7], exec, s[6:7]
; %bb.10:                               ;   in Loop: Header=BB57_9 Depth=1
	v_add_u32_e32 v9, 3, v10
	v_mov_b32_e32 v10, s10
	v_cmp_lt_i32_e32 vcc, s9, v9
	v_cndmask_b32_e32 v9, v9, v10, vcc
                                        ; implicit-def: $vgpr10
; %bb.11:                               ;   in Loop: Header=BB57_9 Depth=1
	s_andn2_saveexec_b64 s[6:7], s[6:7]
; %bb.12:                               ;   in Loop: Header=BB57_9 Depth=1
	v_add_u32_e32 v9, -1, v10
	v_cmp_lt_i32_e32 vcc, 1, v10
	v_cndmask_b32_e32 v9, 2, v9, vcc
; %bb.13:                               ;   in Loop: Header=BB57_9 Depth=1
	s_or_b64 exec, exec, s[6:7]
	global_store_dword v[2:3], v9, off
	v_add_co_u32_e32 v2, vcc, s2, v0
	v_addc_co_u32_e32 v3, vcc, v7, v1, vcc
	global_load_dword v9, v[2:3], off
	s_waitcnt vmcnt(0)
	v_add_u32_e32 v9, -1, v9
	v_sub_u32_e32 v11, 0, v9
	v_ashrrev_i32_e32 v10, 31, v9
	v_max_i32_e32 v9, v9, v11
	v_mul_hi_u32 v11, v9, v5
	v_mul_lo_u32 v11, v11, s10
	v_sub_u32_e32 v9, v9, v11
	v_subrev_u32_e32 v11, s10, v9
	v_cmp_le_u32_e32 vcc, s10, v9
	v_cndmask_b32_e32 v9, v9, v11, vcc
	v_subrev_u32_e32 v11, s10, v9
	v_cmp_le_u32_e32 vcc, s10, v9
	v_cndmask_b32_e32 v9, v9, v11, vcc
	v_xor_b32_e32 v9, v9, v10
	v_sub_u32_e32 v10, v9, v10
	v_and_b32_e32 v9, 1, v10
	v_cmp_eq_u32_e32 vcc, 1, v9
                                        ; implicit-def: $vgpr9
	s_and_saveexec_b64 s[6:7], vcc
	s_xor_b64 s[6:7], exec, s[6:7]
; %bb.14:                               ;   in Loop: Header=BB57_9 Depth=1
	v_add_u32_e32 v9, 3, v10
	v_mov_b32_e32 v10, s10
	v_cmp_lt_i32_e32 vcc, s9, v9
	v_cndmask_b32_e32 v9, v9, v10, vcc
                                        ; implicit-def: $vgpr10
; %bb.15:                               ;   in Loop: Header=BB57_9 Depth=1
	s_andn2_saveexec_b64 s[6:7], s[6:7]
	s_cbranch_execz .LBB57_8
; %bb.16:                               ;   in Loop: Header=BB57_9 Depth=1
	v_add_u32_e32 v9, -1, v10
	v_cmp_lt_i32_e32 vcc, 1, v10
	v_cndmask_b32_e32 v9, 2, v9, vcc
	s_branch .LBB57_8
.LBB57_17:
	s_endpgm
	.section	.rodata,"a",@progbits
	.p2align	6, 0x0
	.amdhsa_kernel _ZN9rocsolver6v33100L17syevj_cycle_pairsIdEEviPiS2_
		.amdhsa_group_segment_fixed_size 0
		.amdhsa_private_segment_fixed_size 0
		.amdhsa_kernarg_size 280
		.amdhsa_user_sgpr_count 6
		.amdhsa_user_sgpr_private_segment_buffer 1
		.amdhsa_user_sgpr_dispatch_ptr 0
		.amdhsa_user_sgpr_queue_ptr 0
		.amdhsa_user_sgpr_kernarg_segment_ptr 1
		.amdhsa_user_sgpr_dispatch_id 0
		.amdhsa_user_sgpr_flat_scratch_init 0
		.amdhsa_user_sgpr_kernarg_preload_length 0
		.amdhsa_user_sgpr_kernarg_preload_offset 0
		.amdhsa_user_sgpr_private_segment_size 0
		.amdhsa_uses_dynamic_stack 0
		.amdhsa_system_sgpr_private_segment_wavefront_offset 0
		.amdhsa_system_sgpr_workgroup_id_x 1
		.amdhsa_system_sgpr_workgroup_id_y 0
		.amdhsa_system_sgpr_workgroup_id_z 0
		.amdhsa_system_sgpr_workgroup_info 0
		.amdhsa_system_vgpr_workitem_id 0
		.amdhsa_next_free_vgpr 12
		.amdhsa_next_free_sgpr 16
		.amdhsa_accum_offset 12
		.amdhsa_reserve_vcc 1
		.amdhsa_reserve_flat_scratch 0
		.amdhsa_float_round_mode_32 0
		.amdhsa_float_round_mode_16_64 0
		.amdhsa_float_denorm_mode_32 3
		.amdhsa_float_denorm_mode_16_64 3
		.amdhsa_dx10_clamp 1
		.amdhsa_ieee_mode 1
		.amdhsa_fp16_overflow 0
		.amdhsa_tg_split 0
		.amdhsa_exception_fp_ieee_invalid_op 0
		.amdhsa_exception_fp_denorm_src 0
		.amdhsa_exception_fp_ieee_div_zero 0
		.amdhsa_exception_fp_ieee_overflow 0
		.amdhsa_exception_fp_ieee_underflow 0
		.amdhsa_exception_fp_ieee_inexact 0
		.amdhsa_exception_int_div_zero 0
	.end_amdhsa_kernel
	.section	.text._ZN9rocsolver6v33100L17syevj_cycle_pairsIdEEviPiS2_,"axG",@progbits,_ZN9rocsolver6v33100L17syevj_cycle_pairsIdEEviPiS2_,comdat
.Lfunc_end57:
	.size	_ZN9rocsolver6v33100L17syevj_cycle_pairsIdEEviPiS2_, .Lfunc_end57-_ZN9rocsolver6v33100L17syevj_cycle_pairsIdEEviPiS2_
                                        ; -- End function
	.section	.AMDGPU.csdata,"",@progbits
; Kernel info:
; codeLenInByte = 692
; NumSgprs: 20
; NumVgprs: 12
; NumAgprs: 0
; TotalNumVgprs: 12
; ScratchSize: 0
; MemoryBound: 0
; FloatMode: 240
; IeeeMode: 1
; LDSByteSize: 0 bytes/workgroup (compile time only)
; SGPRBlocks: 2
; VGPRBlocks: 1
; NumSGPRsForWavesPerEU: 20
; NumVGPRsForWavesPerEU: 12
; AccumOffset: 12
; Occupancy: 8
; WaveLimiterHint : 0
; COMPUTE_PGM_RSRC2:SCRATCH_EN: 0
; COMPUTE_PGM_RSRC2:USER_SGPR: 6
; COMPUTE_PGM_RSRC2:TRAP_HANDLER: 0
; COMPUTE_PGM_RSRC2:TGID_X_EN: 1
; COMPUTE_PGM_RSRC2:TGID_Y_EN: 0
; COMPUTE_PGM_RSRC2:TGID_Z_EN: 0
; COMPUTE_PGM_RSRC2:TIDIG_COMP_CNT: 0
; COMPUTE_PGM_RSRC3_GFX90A:ACCUM_OFFSET: 2
; COMPUTE_PGM_RSRC3_GFX90A:TG_SPLIT: 0
	.section	.text._ZN9rocsolver6v33100L15syevj_calc_normIddEEviiPT0_PT_S3_Pi,"axG",@progbits,_ZN9rocsolver6v33100L15syevj_calc_normIddEEviiPT0_PT_S3_Pi,comdat
	.globl	_ZN9rocsolver6v33100L15syevj_calc_normIddEEviiPT0_PT_S3_Pi ; -- Begin function _ZN9rocsolver6v33100L15syevj_calc_normIddEEviiPT0_PT_S3_Pi
	.p2align	8
	.type	_ZN9rocsolver6v33100L15syevj_calc_normIddEEviiPT0_PT_S3_Pi,@function
_ZN9rocsolver6v33100L15syevj_calc_normIddEEviiPT0_PT_S3_Pi: ; @_ZN9rocsolver6v33100L15syevj_calc_normIddEEviiPT0_PT_S3_Pi
; %bb.0:
	s_load_dwordx8 s[8:15], s[4:5], 0x8
	s_mov_b32 s2, s7
	s_ashr_i32 s3, s7, 31
	s_lshl_b64 s[0:1], s[2:3], 2
	s_waitcnt lgkmcnt(0)
	s_add_u32 s0, s14, s0
	s_addc_u32 s1, s15, s1
	s_load_dword s6, s[0:1], 0x4
	s_waitcnt lgkmcnt(0)
	s_cmp_lg_u32 s6, 0
	s_cbranch_scc0 .LBB58_2
.LBB58_1:
	s_endpgm
.LBB58_2:
	s_load_dword s16, s[4:5], 0x34
	s_load_dwordx2 s[6:7], s[4:5], 0x0
	v_pk_mov_b32 v[2:3], 0, 0
	s_waitcnt lgkmcnt(0)
	s_and_b32 s22, s16, 0xffff
	v_cmp_gt_i32_e32 vcc, s6, v0
	s_and_saveexec_b64 s[4:5], vcc
	s_cbranch_execz .LBB58_10
; %bb.3:
	s_mul_i32 s16, s2, s6
	s_mul_i32 s16, s16, s6
	s_ashr_i32 s17, s16, 31
	s_lshl_b64 s[16:17], s[16:17], 3
	s_add_u32 s10, s10, s16
	v_lshlrev_b32_e32 v1, 3, v0
	s_addc_u32 s11, s11, s17
	v_mov_b32_e32 v2, s11
	v_add_co_u32_e32 v4, vcc, s10, v1
	s_ashr_i32 s11, s6, 31
	s_mov_b32 s10, s6
	s_mov_b32 s18, 0
	s_lshl_b64 s[16:17], s[10:11], 3
	v_addc_co_u32_e32 v5, vcc, 0, v2, vcc
	s_lshl_b32 s23, s22, 3
	s_mov_b64 s[10:11], 0
	v_pk_mov_b32 v[2:3], 0, 0
	v_mov_b32_e32 v1, s17
	v_mov_b32_e32 v8, s18
	;; [unrolled: 1-line block ×3, first 2 shown]
	s_branch .LBB58_6
.LBB58_4:                               ;   in Loop: Header=BB58_6 Depth=1
	s_or_b64 exec, exec, s[20:21]
.LBB58_5:                               ;   in Loop: Header=BB58_6 Depth=1
	s_or_b64 exec, exec, s[18:19]
	v_add_u32_e32 v9, s22, v9
	v_cmp_le_i32_e32 vcc, s6, v9
	s_or_b64 s[10:11], vcc, s[10:11]
	v_add_co_u32_e32 v4, vcc, s23, v4
	v_addc_co_u32_e32 v5, vcc, v5, v8, vcc
	s_andn2_b64 exec, exec, s[10:11]
	s_cbranch_execz .LBB58_9
.LBB58_6:                               ; =>This Loop Header: Depth=1
                                        ;     Child Loop BB58_8 Depth 2
	v_cmp_ne_u32_e32 vcc, 0, v9
	s_and_saveexec_b64 s[18:19], vcc
	s_cbranch_execz .LBB58_5
; %bb.7:                                ;   in Loop: Header=BB58_6 Depth=1
	s_mov_b32 s17, 0
	s_mov_b64 s[20:21], 0
	v_pk_mov_b32 v[6:7], v[4:5], v[4:5] op_sel:[0,1]
.LBB58_8:                               ;   Parent Loop BB58_6 Depth=1
                                        ; =>  This Inner Loop Header: Depth=2
	global_load_dwordx2 v[10:11], v[6:7], off
	v_add_co_u32_e32 v6, vcc, s16, v6
	s_add_i32 s17, s17, 1
	v_addc_co_u32_e32 v7, vcc, v7, v1, vcc
	v_cmp_ge_u32_e32 vcc, s17, v9
	s_or_b64 s[20:21], vcc, s[20:21]
	s_waitcnt vmcnt(0)
	v_mul_f64 v[10:11], v[10:11], v[10:11]
	v_fmac_f64_e32 v[2:3], 2.0, v[10:11]
	s_andn2_b64 exec, exec, s[20:21]
	s_cbranch_execnz .LBB58_8
	s_branch .LBB58_4
.LBB58_9:
	s_or_b64 exec, exec, s[10:11]
.LBB58_10:
	s_or_b64 exec, exec, s[4:5]
	v_lshl_add_u32 v1, v0, 3, 0
	v_cmp_eq_u32_e32 vcc, 0, v0
	ds_write_b64 v1, v[2:3]
	s_waitcnt lgkmcnt(0)
	s_barrier
	s_and_saveexec_b64 s[4:5], vcc
	s_cbranch_execz .LBB58_1
; %bb.11:
	s_min_i32 s5, s22, s6
	s_cmp_lt_i32 s5, 2
	s_cbranch_scc1 .LBB58_20
; %bb.12:
	s_add_i32 s4, s5, -1
	s_add_i32 s5, s5, -2
	s_cmp_lt_u32 s5, 7
	s_cbranch_scc1 .LBB58_16
; %bb.13:
	s_mov_b32 s10, 0
	s_add_i32 s5, 0, 8
	s_and_b32 s6, s4, -8
.LBB58_14:                              ; =>This Inner Loop Header: Depth=1
	v_mov_b32_e32 v0, s5
	ds_read2_b64 v[4:7], v0 offset1:1
	ds_read2_b64 v[8:11], v0 offset0:2 offset1:3
	ds_read2_b64 v[12:15], v0 offset0:4 offset1:5
	ds_read2_b64 v[16:19], v0 offset0:6 offset1:7
	s_mov_b32 s11, s10
	s_waitcnt lgkmcnt(3)
	v_add_f64 v[0:1], v[2:3], v[4:5]
	v_add_f64 v[0:1], v[0:1], v[6:7]
	s_waitcnt lgkmcnt(2)
	v_add_f64 v[0:1], v[0:1], v[8:9]
	v_add_f64 v[0:1], v[0:1], v[10:11]
	;; [unrolled: 3-line block ×3, first 2 shown]
	s_add_i32 s5, s5, 64
	s_add_i32 s10, s10, 8
	s_waitcnt lgkmcnt(0)
	v_add_f64 v[0:1], v[0:1], v[16:17]
	s_cmp_lg_u32 s6, s10
	v_add_f64 v[2:3], v[0:1], v[18:19]
	s_cbranch_scc1 .LBB58_14
; %bb.15:
	s_add_i32 s5, s11, 9
	s_branch .LBB58_17
.LBB58_16:
	s_mov_b32 s5, 1
.LBB58_17:
	s_and_b32 s4, s4, 7
	s_cmp_eq_u32 s4, 0
	s_cbranch_scc1 .LBB58_20
; %bb.18:
	s_lshl_b32 s5, s5, 3
	s_add_i32 s5, s5, 0
.LBB58_19:                              ; =>This Inner Loop Header: Depth=1
	v_mov_b32_e32 v0, s5
	ds_read_b64 v[0:1], v0
	s_add_i32 s5, s5, 8
	s_add_i32 s4, s4, -1
	s_cmp_lg_u32 s4, 0
	s_waitcnt lgkmcnt(0)
	v_add_f64 v[2:3], v[2:3], v[0:1]
	s_cbranch_scc1 .LBB58_19
.LBB58_20:
	s_lshl_b64 s[2:3], s[2:3], 3
	s_add_u32 s4, s8, s2
	s_addc_u32 s5, s9, s3
	v_mov_b32_e32 v0, 0
	s_add_u32 s2, s12, s2
	global_store_dwordx2 v0, v[2:3], s[4:5]
	s_addc_u32 s3, s13, s3
	global_load_dwordx2 v[4:5], v0, s[2:3]
	s_waitcnt vmcnt(0)
	v_cmp_lt_f64_e32 vcc, v[2:3], v[4:5]
	s_and_b64 exec, exec, vcc
	s_cbranch_execz .LBB58_1
; %bb.21:
	s_add_i32 s4, s7, 1
	s_mov_b64 s[2:3], exec
	v_mov_b32_e32 v1, s4
	global_store_dword v0, v1, s[0:1] offset:4
	v_mbcnt_lo_u32_b32 v0, s2, 0
	v_mbcnt_hi_u32_b32 v0, s3, v0
	v_cmp_eq_u32_e32 vcc, 0, v0
	s_and_b64 s[0:1], exec, vcc
	s_mov_b64 exec, s[0:1]
	s_cbranch_execz .LBB58_1
; %bb.22:
	s_bcnt1_i32_b64 s0, s[2:3]
	v_mov_b32_e32 v0, 0
	v_mov_b32_e32 v1, s0
	global_atomic_add v0, v1, s[14:15]
	s_endpgm
	.section	.rodata,"a",@progbits
	.p2align	6, 0x0
	.amdhsa_kernel _ZN9rocsolver6v33100L15syevj_calc_normIddEEviiPT0_PT_S3_Pi
		.amdhsa_group_segment_fixed_size 0
		.amdhsa_private_segment_fixed_size 0
		.amdhsa_kernarg_size 296
		.amdhsa_user_sgpr_count 6
		.amdhsa_user_sgpr_private_segment_buffer 1
		.amdhsa_user_sgpr_dispatch_ptr 0
		.amdhsa_user_sgpr_queue_ptr 0
		.amdhsa_user_sgpr_kernarg_segment_ptr 1
		.amdhsa_user_sgpr_dispatch_id 0
		.amdhsa_user_sgpr_flat_scratch_init 0
		.amdhsa_user_sgpr_kernarg_preload_length 0
		.amdhsa_user_sgpr_kernarg_preload_offset 0
		.amdhsa_user_sgpr_private_segment_size 0
		.amdhsa_uses_dynamic_stack 0
		.amdhsa_system_sgpr_private_segment_wavefront_offset 0
		.amdhsa_system_sgpr_workgroup_id_x 1
		.amdhsa_system_sgpr_workgroup_id_y 1
		.amdhsa_system_sgpr_workgroup_id_z 0
		.amdhsa_system_sgpr_workgroup_info 0
		.amdhsa_system_vgpr_workitem_id 0
		.amdhsa_next_free_vgpr 20
		.amdhsa_next_free_sgpr 24
		.amdhsa_accum_offset 20
		.amdhsa_reserve_vcc 1
		.amdhsa_reserve_flat_scratch 0
		.amdhsa_float_round_mode_32 0
		.amdhsa_float_round_mode_16_64 0
		.amdhsa_float_denorm_mode_32 3
		.amdhsa_float_denorm_mode_16_64 3
		.amdhsa_dx10_clamp 1
		.amdhsa_ieee_mode 1
		.amdhsa_fp16_overflow 0
		.amdhsa_tg_split 0
		.amdhsa_exception_fp_ieee_invalid_op 0
		.amdhsa_exception_fp_denorm_src 0
		.amdhsa_exception_fp_ieee_div_zero 0
		.amdhsa_exception_fp_ieee_overflow 0
		.amdhsa_exception_fp_ieee_underflow 0
		.amdhsa_exception_fp_ieee_inexact 0
		.amdhsa_exception_int_div_zero 0
	.end_amdhsa_kernel
	.section	.text._ZN9rocsolver6v33100L15syevj_calc_normIddEEviiPT0_PT_S3_Pi,"axG",@progbits,_ZN9rocsolver6v33100L15syevj_calc_normIddEEviiPT0_PT_S3_Pi,comdat
.Lfunc_end58:
	.size	_ZN9rocsolver6v33100L15syevj_calc_normIddEEviiPT0_PT_S3_Pi, .Lfunc_end58-_ZN9rocsolver6v33100L15syevj_calc_normIddEEviiPT0_PT_S3_Pi
                                        ; -- End function
	.section	.AMDGPU.csdata,"",@progbits
; Kernel info:
; codeLenInByte = 736
; NumSgprs: 28
; NumVgprs: 20
; NumAgprs: 0
; TotalNumVgprs: 20
; ScratchSize: 0
; MemoryBound: 0
; FloatMode: 240
; IeeeMode: 1
; LDSByteSize: 0 bytes/workgroup (compile time only)
; SGPRBlocks: 3
; VGPRBlocks: 2
; NumSGPRsForWavesPerEU: 28
; NumVGPRsForWavesPerEU: 20
; AccumOffset: 20
; Occupancy: 8
; WaveLimiterHint : 0
; COMPUTE_PGM_RSRC2:SCRATCH_EN: 0
; COMPUTE_PGM_RSRC2:USER_SGPR: 6
; COMPUTE_PGM_RSRC2:TRAP_HANDLER: 0
; COMPUTE_PGM_RSRC2:TGID_X_EN: 1
; COMPUTE_PGM_RSRC2:TGID_Y_EN: 1
; COMPUTE_PGM_RSRC2:TGID_Z_EN: 0
; COMPUTE_PGM_RSRC2:TIDIG_COMP_CNT: 0
; COMPUTE_PGM_RSRC3_GFX90A:ACCUM_OFFSET: 4
; COMPUTE_PGM_RSRC3_GFX90A:TG_SPLIT: 0
	.section	.text._ZN9rocsolver6v33100L14syevj_finalizeIddPdEEv14rocblas_esort_14rocblas_evect_iT1_iilPT0_iPiS7_lS8_PT_S8_,"axG",@progbits,_ZN9rocsolver6v33100L14syevj_finalizeIddPdEEv14rocblas_esort_14rocblas_evect_iT1_iilPT0_iPiS7_lS8_PT_S8_,comdat
	.globl	_ZN9rocsolver6v33100L14syevj_finalizeIddPdEEv14rocblas_esort_14rocblas_evect_iT1_iilPT0_iPiS7_lS8_PT_S8_ ; -- Begin function _ZN9rocsolver6v33100L14syevj_finalizeIddPdEEv14rocblas_esort_14rocblas_evect_iT1_iilPT0_iPiS7_lS8_PT_S8_
	.p2align	8
	.type	_ZN9rocsolver6v33100L14syevj_finalizeIddPdEEv14rocblas_esort_14rocblas_evect_iT1_iilPT0_iPiS7_lS8_PT_S8_,@function
_ZN9rocsolver6v33100L14syevj_finalizeIddPdEEv14rocblas_esort_14rocblas_evect_iT1_iilPT0_iPiS7_lS8_PT_S8_: ; @_ZN9rocsolver6v33100L14syevj_finalizeIddPdEEv14rocblas_esort_14rocblas_evect_iT1_iilPT0_iPiS7_lS8_PT_S8_
; %bb.0:
	s_load_dwordx4 s[20:23], s[4:5], 0x20
	s_load_dwordx8 s[8:15], s[4:5], 0x38
	s_load_dwordx4 s[24:27], s[4:5], 0x58
	s_mov_b32 s28, s7
	s_ashr_i32 s29, s7, 31
	v_cmp_eq_u32_e64 s[0:1], 0, v0
	s_and_saveexec_b64 s[2:3], s[0:1]
	s_cbranch_execz .LBB59_2
; %bb.1:
	s_lshl_b64 s[6:7], s[28:29], 2
	s_waitcnt lgkmcnt(0)
	s_add_u32 s16, s26, s6
	s_addc_u32 s17, s27, s7
	s_lshl_b64 s[18:19], s[28:29], 3
	s_add_u32 s18, s22, s18
	s_addc_u32 s19, s23, s19
	s_load_dwordx2 s[22:23], s[18:19], 0x0
	v_mov_b32_e32 v2, 0
	v_bfrev_b32_e32 v3, 8
	s_waitcnt lgkmcnt(0)
	v_cmp_lt_f64_e32 vcc, s[22:23], v[2:3]
	v_cndmask_b32_e64 v1, 0, 1, vcc
	v_lshlrev_b32_e32 v1, 8, v1
	v_ldexp_f64 v[2:3], s[22:23], v1
	v_rsq_f64_e32 v[4:5], v[2:3]
	s_load_dword s23, s[16:17], 0x4
	s_and_b64 s[16:17], vcc, exec
	s_cselect_b32 s16, 0xffffff80, 0
	v_mul_f64 v[6:7], v[2:3], v[4:5]
	v_mul_f64 v[4:5], v[4:5], 0.5
	v_fma_f64 v[8:9], -v[4:5], v[6:7], 0.5
	v_fmac_f64_e32 v[6:7], v[6:7], v[8:9]
	v_fma_f64 v[10:11], -v[6:7], v[6:7], v[2:3]
	v_fmac_f64_e32 v[4:5], v[4:5], v[8:9]
	v_fmac_f64_e32 v[6:7], v[10:11], v[4:5]
	v_fma_f64 v[8:9], -v[6:7], v[6:7], v[2:3]
	v_fmac_f64_e32 v[6:7], v[8:9], v[4:5]
	v_ldexp_f64 v[4:5], v[6:7], s16
	v_mov_b32_e32 v6, 0x260
	v_cmp_class_f64_e32 vcc, v[2:3], v6
	s_load_dword s22, s[4:5], 0x30
	v_mov_b32_e32 v1, 0
	v_cndmask_b32_e32 v3, v5, v3, vcc
	v_cndmask_b32_e32 v2, v4, v2, vcc
	s_waitcnt lgkmcnt(0)
	global_store_dwordx2 v1, v[2:3], s[18:19]
	s_add_i32 s18, s23, -1
	s_cmp_lt_i32 s23, 1
	s_cselect_b64 s[16:17], -1, 0
	v_cndmask_b32_e64 v2, 0, 1, s[16:17]
	s_and_b64 s[16:17], s[16:17], exec
	s_cselect_b32 s16, s22, s18
	s_add_u32 s8, s8, s6
	s_addc_u32 s9, s9, s7
	s_add_u32 s6, s14, s6
	v_mov_b32_e32 v3, s16
	s_addc_u32 s7, s15, s7
	global_store_dword v1, v3, s[8:9]
	global_store_dword v1, v2, s[6:7]
.LBB59_2:
	s_or_b64 exec, exec, s[2:3]
	s_load_dwordx4 s[16:19], s[4:5], 0x0
	s_waitcnt lgkmcnt(0)
	s_mul_i32 s2, s28, s13
	s_mul_hi_u32 s3, s28, s12
	s_add_i32 s2, s3, s2
	s_mul_i32 s3, s29, s12
	s_add_i32 s3, s2, s3
	s_mul_i32 s2, s28, s12
	s_lshl_b64 s[22:23], s[2:3], 3
	s_add_u32 s19, s10, s22
	s_addc_u32 s26, s11, s23
	v_cmp_gt_i32_e64 s[2:3], s18, v0
	s_and_saveexec_b64 s[6:7], s[2:3]
	s_cbranch_execz .LBB59_5
; %bb.3:
	s_mul_i32 s8, s28, s18
	s_load_dword s13, s[4:5], 0x74
	s_mul_i32 s8, s8, s18
	s_ashr_i32 s9, s8, 31
	s_lshl_b64 s[8:9], s[8:9], 3
	s_add_u32 s12, s24, s8
	s_addc_u32 s15, s25, s9
	s_add_i32 s14, s18, 1
	s_waitcnt lgkmcnt(0)
	s_and_b32 s13, s13, 0xffff
	v_mad_u64_u32 v[2:3], s[8:9], v0, s18, v[0:1]
	s_mul_i32 s14, s14, s13
	s_mov_b64 s[8:9], 0
	v_mov_b32_e32 v1, s15
	v_mov_b32_e32 v6, s26
	;; [unrolled: 1-line block ×3, first 2 shown]
.LBB59_4:                               ; =>This Inner Loop Header: Depth=1
	v_ashrrev_i32_e32 v3, 31, v2
	v_lshlrev_b64 v[8:9], 3, v[2:3]
	v_add_co_u32_e32 v8, vcc, s12, v8
	v_addc_co_u32_e32 v9, vcc, v1, v9, vcc
	global_load_dwordx2 v[8:9], v[8:9], off
	v_ashrrev_i32_e32 v5, 31, v4
	v_lshlrev_b64 v[10:11], 3, v[4:5]
	v_add_co_u32_e32 v10, vcc, s19, v10
	v_add_u32_e32 v4, s13, v4
	v_addc_co_u32_e32 v11, vcc, v6, v11, vcc
	v_cmp_le_i32_e32 vcc, s18, v4
	s_or_b64 s[8:9], vcc, s[8:9]
	v_add_u32_e32 v2, s14, v2
	s_waitcnt vmcnt(0)
	global_store_dwordx2 v[10:11], v[8:9], off
	s_andn2_b64 exec, exec, s[8:9]
	s_cbranch_execnz .LBB59_4
.LBB59_5:
	s_or_b64 exec, exec, s[6:7]
	s_cmpk_lg_i32 s17, 0xd5
	s_cselect_b64 s[24:25], -1, 0
	v_cmp_eq_u32_e32 vcc, 0, v0
	s_or_b64 s[8:9], vcc, s[24:25]
	s_cmpk_lg_i32 s16, 0xfb
	s_cselect_b64 s[12:13], -1, 0
	s_and_b64 s[8:9], s[12:13], s[8:9]
	s_cmp_gt_i32 s18, 1
	s_cselect_b64 s[12:13], -1, 0
	s_mov_b32 s7, 0
	s_and_b64 s[8:9], s[12:13], s[8:9]
	s_barrier
	s_and_saveexec_b64 s[12:13], s[8:9]
	s_cbranch_execz .LBB59_18
; %bb.6:
	s_load_dwordx4 s[12:15], s[4:5], 0x10
	s_mul_i32 s6, s28, s21
	s_mul_hi_u32 s8, s28, s20
	s_add_i32 s6, s8, s6
	s_mul_i32 s16, s28, s20
	s_waitcnt lgkmcnt(0)
	s_ashr_i32 s9, s14, 31
	s_mov_b32 s8, s14
	s_mul_i32 s14, s29, s20
	s_add_i32 s17, s6, s14
	s_lshl_b64 s[16:17], s[16:17], 3
	s_add_u32 s6, s12, s16
	s_addc_u32 s12, s13, s17
	s_lshl_b64 s[8:9], s[8:9], 3
	s_add_u32 s14, s6, s8
	s_addc_u32 s27, s12, s9
	s_add_u32 s8, s4, 0x68
	s_addc_u32 s9, s5, 0
	s_add_i32 s28, s18, -2
	s_add_u32 s4, s22, s10
	s_addc_u32 s5, s23, s11
	s_add_u32 s10, s4, 8
	v_cndmask_b32_e64 v2, 0, 1, s[24:25]
	s_addc_u32 s11, s5, 0
	v_mov_b32_e32 v1, 0
	v_cmp_ne_u32_e64 s[4:5], 1, v2
	s_mov_b32 s22, 0
	s_mov_b32 s23, 0
	s_branch .LBB59_9
.LBB59_7:                               ;   in Loop: Header=BB59_9 Depth=1
	s_or_b64 exec, exec, s[16:17]
	s_barrier
.LBB59_8:                               ;   in Loop: Header=BB59_9 Depth=1
	s_add_u32 s10, s10, 8
	s_addc_u32 s11, s11, 0
	s_add_i32 s22, s22, s15
	s_cmp_lg_u32 s6, s28
	s_cbranch_scc0 .LBB59_18
.LBB59_9:                               ; =>This Loop Header: Depth=1
                                        ;     Child Loop BB59_10 Depth 2
                                        ;     Child Loop BB59_17 Depth 2
	s_mov_b32 s6, s23
	s_lshl_b64 s[12:13], s[6:7], 3
	s_add_u32 s16, s19, s12
	s_addc_u32 s17, s26, s13
	global_load_dwordx2 v[2:3], v1, s[16:17]
	s_add_i32 s23, s23, 1
	s_mov_b64 s[20:21], s[10:11]
	s_mov_b32 s13, s23
	s_mov_b32 s12, s6
.LBB59_10:                              ;   Parent Loop BB59_9 Depth=1
                                        ; =>  This Inner Loop Header: Depth=2
	global_load_dwordx2 v[4:5], v1, s[20:21]
	s_waitcnt vmcnt(0)
	v_cmp_lt_f64_e32 vcc, v[4:5], v[2:3]
	s_and_b64 s[24:25], vcc, exec
	s_cselect_b32 s12, s13, s12
	s_add_i32 s13, s13, 1
	s_add_u32 s20, s20, 8
	s_addc_u32 s21, s21, 0
	v_cndmask_b32_e32 v3, v3, v5, vcc
	s_cmp_lt_i32 s13, s18
	v_cndmask_b32_e32 v2, v2, v4, vcc
	s_cbranch_scc1 .LBB59_10
; %bb.11:                               ;   in Loop: Header=BB59_9 Depth=1
	s_cmp_eq_u32 s12, s6
	s_barrier
	s_cbranch_scc1 .LBB59_8
; %bb.12:                               ;   in Loop: Header=BB59_9 Depth=1
	s_and_saveexec_b64 s[20:21], s[0:1]
	s_cbranch_execz .LBB59_14
; %bb.13:                               ;   in Loop: Header=BB59_9 Depth=1
	global_load_dwordx2 v[4:5], v1, s[16:17]
	s_ashr_i32 s13, s12, 31
	s_lshl_b64 s[24:25], s[12:13], 3
	s_add_u32 s24, s19, s24
	s_addc_u32 s25, s26, s25
	s_waitcnt vmcnt(0)
	global_store_dwordx2 v1, v[4:5], s[24:25]
	global_store_dwordx2 v1, v[2:3], s[16:17]
.LBB59_14:                              ;   in Loop: Header=BB59_9 Depth=1
	s_or_b64 exec, exec, s[20:21]
	s_and_b64 vcc, exec, s[4:5]
	s_cbranch_vccnz .LBB59_8
; %bb.15:                               ;   in Loop: Header=BB59_9 Depth=1
	s_and_saveexec_b64 s[16:17], s[2:3]
	s_cbranch_execz .LBB59_7
; %bb.16:                               ;   in Loop: Header=BB59_9 Depth=1
	s_load_dword s21, s[8:9], 0xc
	s_mul_i32 s20, s12, s15
	s_mov_b64 s[12:13], 0
	v_mov_b32_e32 v2, v0
	s_waitcnt lgkmcnt(0)
	s_and_b32 s21, s21, 0xffff
.LBB59_17:                              ;   Parent Loop BB59_9 Depth=1
                                        ; =>  This Inner Loop Header: Depth=2
	v_add_u32_e32 v4, s20, v2
	v_ashrrev_i32_e32 v5, 31, v4
	v_add_u32_e32 v6, s22, v2
	v_lshlrev_b64 v[4:5], 3, v[4:5]
	v_mov_b32_e32 v3, s27
	v_ashrrev_i32_e32 v7, 31, v6
	v_add_co_u32_e32 v4, vcc, s14, v4
	v_lshlrev_b64 v[6:7], 3, v[6:7]
	v_addc_co_u32_e32 v5, vcc, v3, v5, vcc
	v_mov_b32_e32 v8, s27
	v_add_co_u32_e32 v6, vcc, s14, v6
	v_addc_co_u32_e32 v7, vcc, v8, v7, vcc
	global_load_dwordx2 v[8:9], v[6:7], off
	global_load_dwordx2 v[10:11], v[4:5], off
	v_add_u32_e32 v2, s21, v2
	v_cmp_le_i32_e32 vcc, s18, v2
	s_or_b64 s[12:13], vcc, s[12:13]
	s_waitcnt vmcnt(1)
	global_store_dwordx2 v[4:5], v[8:9], off
	s_waitcnt vmcnt(1)
	global_store_dwordx2 v[6:7], v[10:11], off
	s_andn2_b64 exec, exec, s[12:13]
	s_cbranch_execnz .LBB59_17
	s_branch .LBB59_7
.LBB59_18:
	s_endpgm
	.section	.rodata,"a",@progbits
	.p2align	6, 0x0
	.amdhsa_kernel _ZN9rocsolver6v33100L14syevj_finalizeIddPdEEv14rocblas_esort_14rocblas_evect_iT1_iilPT0_iPiS7_lS8_PT_S8_
		.amdhsa_group_segment_fixed_size 0
		.amdhsa_private_segment_fixed_size 0
		.amdhsa_kernarg_size 360
		.amdhsa_user_sgpr_count 6
		.amdhsa_user_sgpr_private_segment_buffer 1
		.amdhsa_user_sgpr_dispatch_ptr 0
		.amdhsa_user_sgpr_queue_ptr 0
		.amdhsa_user_sgpr_kernarg_segment_ptr 1
		.amdhsa_user_sgpr_dispatch_id 0
		.amdhsa_user_sgpr_flat_scratch_init 0
		.amdhsa_user_sgpr_kernarg_preload_length 0
		.amdhsa_user_sgpr_kernarg_preload_offset 0
		.amdhsa_user_sgpr_private_segment_size 0
		.amdhsa_uses_dynamic_stack 0
		.amdhsa_system_sgpr_private_segment_wavefront_offset 0
		.amdhsa_system_sgpr_workgroup_id_x 1
		.amdhsa_system_sgpr_workgroup_id_y 1
		.amdhsa_system_sgpr_workgroup_id_z 0
		.amdhsa_system_sgpr_workgroup_info 0
		.amdhsa_system_vgpr_workitem_id 0
		.amdhsa_next_free_vgpr 12
		.amdhsa_next_free_sgpr 30
		.amdhsa_accum_offset 12
		.amdhsa_reserve_vcc 1
		.amdhsa_reserve_flat_scratch 0
		.amdhsa_float_round_mode_32 0
		.amdhsa_float_round_mode_16_64 0
		.amdhsa_float_denorm_mode_32 3
		.amdhsa_float_denorm_mode_16_64 3
		.amdhsa_dx10_clamp 1
		.amdhsa_ieee_mode 1
		.amdhsa_fp16_overflow 0
		.amdhsa_tg_split 0
		.amdhsa_exception_fp_ieee_invalid_op 0
		.amdhsa_exception_fp_denorm_src 0
		.amdhsa_exception_fp_ieee_div_zero 0
		.amdhsa_exception_fp_ieee_overflow 0
		.amdhsa_exception_fp_ieee_underflow 0
		.amdhsa_exception_fp_ieee_inexact 0
		.amdhsa_exception_int_div_zero 0
	.end_amdhsa_kernel
	.section	.text._ZN9rocsolver6v33100L14syevj_finalizeIddPdEEv14rocblas_esort_14rocblas_evect_iT1_iilPT0_iPiS7_lS8_PT_S8_,"axG",@progbits,_ZN9rocsolver6v33100L14syevj_finalizeIddPdEEv14rocblas_esort_14rocblas_evect_iT1_iilPT0_iPiS7_lS8_PT_S8_,comdat
.Lfunc_end59:
	.size	_ZN9rocsolver6v33100L14syevj_finalizeIddPdEEv14rocblas_esort_14rocblas_evect_iT1_iilPT0_iPiS7_lS8_PT_S8_, .Lfunc_end59-_ZN9rocsolver6v33100L14syevj_finalizeIddPdEEv14rocblas_esort_14rocblas_evect_iT1_iilPT0_iPiS7_lS8_PT_S8_
                                        ; -- End function
	.section	.AMDGPU.csdata,"",@progbits
; Kernel info:
; codeLenInByte = 1096
; NumSgprs: 34
; NumVgprs: 12
; NumAgprs: 0
; TotalNumVgprs: 12
; ScratchSize: 0
; MemoryBound: 0
; FloatMode: 240
; IeeeMode: 1
; LDSByteSize: 0 bytes/workgroup (compile time only)
; SGPRBlocks: 4
; VGPRBlocks: 1
; NumSGPRsForWavesPerEU: 34
; NumVGPRsForWavesPerEU: 12
; AccumOffset: 12
; Occupancy: 8
; WaveLimiterHint : 0
; COMPUTE_PGM_RSRC2:SCRATCH_EN: 0
; COMPUTE_PGM_RSRC2:USER_SGPR: 6
; COMPUTE_PGM_RSRC2:TRAP_HANDLER: 0
; COMPUTE_PGM_RSRC2:TGID_X_EN: 1
; COMPUTE_PGM_RSRC2:TGID_Y_EN: 1
; COMPUTE_PGM_RSRC2:TGID_Z_EN: 0
; COMPUTE_PGM_RSRC2:TIDIG_COMP_CNT: 0
; COMPUTE_PGM_RSRC3_GFX90A:ACCUM_OFFSET: 2
; COMPUTE_PGM_RSRC3_GFX90A:TG_SPLIT: 0
	.section	.text._ZN9rocsolver6v33100L18geqr2_kernel_smallILi256EdidPdEEvT1_S3_T3_lS3_lPT2_lPT0_l,"axG",@progbits,_ZN9rocsolver6v33100L18geqr2_kernel_smallILi256EdidPdEEvT1_S3_T3_lS3_lPT2_lPT0_l,comdat
	.globl	_ZN9rocsolver6v33100L18geqr2_kernel_smallILi256EdidPdEEvT1_S3_T3_lS3_lPT2_lPT0_l ; -- Begin function _ZN9rocsolver6v33100L18geqr2_kernel_smallILi256EdidPdEEvT1_S3_T3_lS3_lPT2_lPT0_l
	.p2align	8
	.type	_ZN9rocsolver6v33100L18geqr2_kernel_smallILi256EdidPdEEvT1_S3_T3_lS3_lPT2_lPT0_l,@function
_ZN9rocsolver6v33100L18geqr2_kernel_smallILi256EdidPdEEvT1_S3_T3_lS3_lPT2_lPT0_l: ; @_ZN9rocsolver6v33100L18geqr2_kernel_smallILi256EdidPdEEvT1_S3_T3_lS3_lPT2_lPT0_l
; %bb.0:
	s_load_dwordx8 s[8:15], s[4:5], 0x20
	s_load_dwordx2 s[16:17], s[4:5], 0x0
	s_load_dwordx4 s[0:3], s[4:5], 0x8
	s_load_dword s35, s[4:5], 0x18
	s_load_dwordx2 s[18:19], s[4:5], 0x40
	s_ashr_i32 s6, s7, 31
	s_waitcnt lgkmcnt(0)
	s_mul_i32 s4, s7, s9
	s_mul_hi_u32 s5, s7, s8
	s_add_i32 s4, s5, s4
	s_mul_i32 s5, s6, s8
	s_add_i32 s5, s4, s5
	s_mul_i32 s4, s7, s8
	s_lshl_b64 s[4:5], s[4:5], 3
	s_add_u32 s4, s0, s4
	s_addc_u32 s5, s1, s5
	s_lshl_b64 s[0:1], s[2:3], 3
	s_add_u32 s33, s4, s0
	v_and_b32_e32 v2, 0x7f, v0
	s_addc_u32 s34, s5, s1
	v_cmp_gt_i32_e64 s[0:1], s16, v2
	v_lshrrev_b32_e32 v3, 7, v0
	v_lshlrev_b32_e32 v14, 3, v2
	s_and_saveexec_b64 s[4:5], s[0:1]
	s_cbranch_execz .LBB60_6
; %bb.1:
	v_lshrrev_b32_e32 v1, 7, v0
	v_mul_lo_u32 v4, s16, v1
	v_lshlrev_b32_e32 v4, 3, v4
	v_add3_u32 v8, v4, v14, 0
	v_mad_u64_u32 v[4:5], s[2:3], s35, v1, v[2:3]
	v_cmp_gt_i32_e32 vcc, s17, v1
	s_lshl_b32 s24, s16, 4
	s_lshl_b32 s25, s35, 1
	s_mov_b64 s[8:9], 0
	v_mov_b32_e32 v5, v2
	s_branch .LBB60_3
.LBB60_2:                               ;   in Loop: Header=BB60_3 Depth=1
	s_or_b64 exec, exec, s[20:21]
	v_add_u32_e32 v5, 0x80, v5
	v_cmp_le_i32_e64 s[2:3], s16, v5
	v_add_u32_e32 v8, 0x400, v8
	s_or_b64 s[8:9], s[2:3], s[8:9]
	v_add_u32_e32 v4, 0x80, v4
	s_andn2_b64 exec, exec, s[8:9]
	s_cbranch_execz .LBB60_6
.LBB60_3:                               ; =>This Loop Header: Depth=1
                                        ;     Child Loop BB60_5 Depth 2
	s_and_saveexec_b64 s[20:21], vcc
	s_cbranch_execz .LBB60_2
; %bb.4:                                ;   in Loop: Header=BB60_3 Depth=1
	s_mov_b64 s[22:23], 0
	v_mov_b32_e32 v6, v4
	v_mov_b32_e32 v9, v8
	;; [unrolled: 1-line block ×3, first 2 shown]
.LBB60_5:                               ;   Parent Loop BB60_3 Depth=1
                                        ; =>  This Inner Loop Header: Depth=2
	v_ashrrev_i32_e32 v7, 31, v6
	v_lshlrev_b64 v[12:13], 3, v[6:7]
	v_mov_b32_e32 v11, s34
	v_add_co_u32_e64 v12, s[2:3], s33, v12
	v_addc_co_u32_e64 v13, s[2:3], v11, v13, s[2:3]
	global_load_dwordx2 v[12:13], v[12:13], off
	v_add_u32_e32 v10, 2, v10
	v_cmp_le_i32_e64 s[2:3], s17, v10
	v_add_u32_e32 v6, s25, v6
	s_or_b64 s[22:23], s[2:3], s[22:23]
	s_waitcnt vmcnt(0)
	ds_write_b64 v9, v[12:13]
	v_add_u32_e32 v9, s24, v9
	s_andn2_b64 exec, exec, s[22:23]
	s_cbranch_execnz .LBB60_5
	s_branch .LBB60_2
.LBB60_6:
	s_or_b64 exec, exec, s[4:5]
	s_min_i32 s36, s17, s16
	s_cmp_lt_i32 s36, 1
	s_waitcnt lgkmcnt(0)
	s_barrier
	s_cbranch_scc1 .LBB60_43
; %bb.7:
	s_mul_i32 s2, s7, s13
	s_mul_hi_u32 s3, s7, s12
	v_mbcnt_lo_u32_b32 v1, -1, 0
	s_add_i32 s2, s3, s2
	s_mul_i32 s3, s6, s12
	v_mbcnt_hi_u32_b32 v5, -1, v1
	s_add_i32 s3, s2, s3
	s_mul_i32 s2, s7, s12
	v_and_b32_e32 v6, 63, v5
	s_lshl_b64 s[2:3], s[2:3], 3
	v_cmp_ne_u32_e32 vcc, 63, v6
	s_add_u32 s37, s10, s2
	v_addc_co_u32_e32 v1, vcc, 0, v5, vcc
	s_addc_u32 s38, s11, s3
	s_mul_i32 s2, s7, s19
	s_mul_hi_u32 s3, s7, s18
	v_cmp_gt_u32_e32 vcc, 62, v6
	s_add_i32 s2, s3, s2
	s_mul_i32 s3, s6, s18
	v_cndmask_b32_e64 v7, 0, 1, vcc
	s_add_i32 s3, s2, s3
	s_mul_i32 s2, s7, s18
	v_lshlrev_b32_e32 v7, 1, v7
	v_cmp_gt_u32_e32 vcc, 60, v6
	s_lshl_b64 s[2:3], s[2:3], 3
	v_add_lshl_u32 v15, v7, v5, 2
	v_cndmask_b32_e64 v7, 0, 1, vcc
	s_add_u32 s39, s14, s2
	s_mul_i32 s2, s17, s16
	v_lshlrev_b32_e32 v7, 2, v7
	v_cmp_gt_u32_e32 vcc, 56, v6
	s_addc_u32 s40, s15, s3
	s_lshl_b32 s2, s2, 3
	v_add_lshl_u32 v16, v7, v5, 2
	v_cndmask_b32_e64 v7, 0, 1, vcc
	s_add_i32 s41, s2, 0
	s_lshl_b32 s2, s17, 3
	v_lshlrev_b32_e32 v7, 3, v7
	v_cmp_gt_u32_e32 vcc, 48, v6
	s_add_i32 s42, s41, s2
	v_add_lshl_u32 v17, v7, v5, 2
	v_cndmask_b32_e64 v7, 0, 1, vcc
	v_cmp_gt_u32_e32 vcc, 32, v6
	v_cndmask_b32_e64 v6, 0, 1, vcc
	s_cmp_eq_u64 s[10:11], 0
	v_lshlrev_b32_e32 v7, 4, v7
	v_lshlrev_b32_e32 v6, 5, v6
	s_cselect_b64 s[12:13], -1, 0
	s_cmp_lg_u64 s[10:11], 0
	v_add_lshl_u32 v18, v7, v5, 2
	v_add_lshl_u32 v19, v6, v5, 2
	v_and_b32_e32 v5, 63, v0
	s_cselect_b64 s[10:11], -1, 0
	s_lshl_b32 s43, s16, 3
	v_mul_lo_u32 v7, s16, v0
	s_mov_b32 s9, 0
	v_cmp_eq_u32_e64 s[2:3], 0, v5
	v_lshrrev_b32_e32 v5, 3, v0
	v_lshlrev_b32_e32 v6, 3, v0
	v_add_u32_e32 v7, s16, v7
	s_add_i32 s6, s43, 0
	s_mov_b32 s14, 0
	v_mov_b32_e32 v4, 0
	v_lshlrev_b32_e32 v1, 2, v1
	v_cmp_eq_u32_e64 s[4:5], 0, v0
	v_add3_u32 v20, v6, 0, 8
	s_add_i32 s44, s43, 8
	v_lshl_add_u32 v21, v7, 3, 0
	s_lshl_b32 s45, s16, 11
	v_add_u32_e32 v22, s6, v6
	v_add_u32_e32 v23, s42, v5
	s_brev_b32 s15, 8
	v_mov_b32_e32 v24, 0x260
	v_mov_b32_e32 v25, 0xffffff80
	s_mov_b32 s46, 0
	s_mov_b32 s8, s9
	s_branch .LBB60_9
.LBB60_8:                               ;   in Loop: Header=BB60_9 Depth=1
	s_or_b64 exec, exec, s[6:7]
	s_add_i32 s8, s8, 1
	s_add_i32 s46, s46, s44
	v_add_u32_e32 v20, s44, v20
	v_add_u32_e32 v21, s44, v21
	s_cmp_eq_u32 s8, s36
	v_add_u32_e32 v22, s44, v22
	s_waitcnt lgkmcnt(0)
	s_barrier
	s_cbranch_scc1 .LBB60_43
.LBB60_9:                               ; =>This Loop Header: Depth=1
                                        ;     Child Loop BB60_11 Depth 2
                                        ;     Child Loop BB60_25 Depth 2
                                        ;     Child Loop BB60_30 Depth 2
                                        ;       Child Loop BB60_32 Depth 3
                                        ;     Child Loop BB60_36 Depth 2
                                        ;       Child Loop BB60_38 Depth 3
	s_sub_i32 s47, s16, s8
	s_add_i32 s49, s47, -1
	v_cmp_gt_i32_e64 s[6:7], s49, v0
	v_pk_mov_b32 v[6:7], 0, 0
	s_and_saveexec_b64 s[18:19], s[6:7]
	s_cbranch_execz .LBB60_13
; %bb.10:                               ;   in Loop: Header=BB60_9 Depth=1
	s_mov_b64 s[20:21], 0
	v_pk_mov_b32 v[6:7], 0, 0
	v_mov_b32_e32 v5, v20
	v_mov_b32_e32 v8, v0
.LBB60_11:                              ;   Parent Loop BB60_9 Depth=1
                                        ; =>  This Inner Loop Header: Depth=2
	ds_read_b64 v[10:11], v5
	v_add_u32_e32 v8, 0x100, v8
	v_cmp_le_i32_e32 vcc, s49, v8
	v_add_u32_e32 v5, 0x800, v5
	s_or_b64 s[20:21], vcc, s[20:21]
	s_waitcnt lgkmcnt(0)
	v_mul_f64 v[10:11], v[10:11], v[10:11]
	v_add_f64 v[6:7], v[6:7], v[10:11]
	s_andn2_b64 exec, exec, s[20:21]
	s_cbranch_execnz .LBB60_11
; %bb.12:                               ;   in Loop: Header=BB60_9 Depth=1
	s_or_b64 exec, exec, s[20:21]
.LBB60_13:                              ;   in Loop: Header=BB60_9 Depth=1
	s_or_b64 exec, exec, s[18:19]
	ds_bpermute_b32 v8, v1, v6
	ds_bpermute_b32 v9, v1, v7
	s_waitcnt lgkmcnt(0)
	v_add_f64 v[6:7], v[6:7], v[8:9]
	ds_bpermute_b32 v8, v15, v6
	ds_bpermute_b32 v9, v15, v7
	s_waitcnt lgkmcnt(0)
	v_add_f64 v[6:7], v[6:7], v[8:9]
	;; [unrolled: 4-line block ×6, first 2 shown]
	s_and_saveexec_b64 s[18:19], s[2:3]
	s_cbranch_execz .LBB60_15
; %bb.14:                               ;   in Loop: Header=BB60_9 Depth=1
	ds_write_b64 v23, v[6:7] offset:8
.LBB60_15:                              ;   in Loop: Header=BB60_9 Depth=1
	s_or_b64 exec, exec, s[18:19]
	s_lshl_b32 s18, s8, 3
	s_add_i32 s48, s18, 0
	s_mul_i32 s18, s8, s16
	s_lshl_b32 s18, s18, 3
	s_add_i32 s48, s48, s18
	s_waitcnt lgkmcnt(0)
	s_barrier
	s_and_saveexec_b64 s[18:19], s[4:5]
	s_cbranch_execz .LBB60_23
; %bb.16:                               ;   in Loop: Header=BB60_9 Depth=1
	v_mov_b32_e32 v5, s42
	ds_read2_b64 v[8:11], v5 offset0:2 offset1:3
	ds_read_b64 v[12:13], v5 offset:32
	s_mov_b64 s[26:27], 0
	s_mov_b64 s[24:25], 0
                                        ; implicit-def: $sgpr22_sgpr23
                                        ; implicit-def: $sgpr20_sgpr21
                                        ; implicit-def: $sgpr30_sgpr31
	s_waitcnt lgkmcnt(1)
	v_add_f64 v[6:7], v[6:7], v[8:9]
	v_add_f64 v[6:7], v[6:7], v[10:11]
	s_waitcnt lgkmcnt(0)
	v_add_f64 v[10:11], v[6:7], v[12:13]
	v_cmp_nlt_f64_e32 vcc, 0, v[10:11]
                                        ; implicit-def: $vgpr6_vgpr7
	s_and_saveexec_b64 s[28:29], vcc
	s_xor_b64 s[28:29], exec, s[28:29]
	s_cbranch_execnz .LBB60_39
; %bb.17:                               ;   in Loop: Header=BB60_9 Depth=1
	s_or_saveexec_b64 s[28:29], s[28:29]
	v_pk_mov_b32 v[8:9], s[30:31], s[30:31] op_sel:[0,1]
	s_xor_b64 exec, exec, s[28:29]
	s_cbranch_execnz .LBB60_42
.LBB60_18:                              ;   in Loop: Header=BB60_9 Depth=1
	s_or_b64 exec, exec, s[28:29]
	s_and_saveexec_b64 s[28:29], s[24:25]
	s_cbranch_execz .LBB60_20
.LBB60_19:                              ;   in Loop: Header=BB60_9 Depth=1
	s_lshl_b64 s[24:25], s[8:9], 3
	s_add_u32 s24, s37, s24
	s_addc_u32 s25, s38, s25
	s_waitcnt lgkmcnt(0)
	global_store_dwordx2 v4, v[6:7], s[24:25]
	v_mov_b32_e32 v6, 0
	v_mov_b32_e32 v7, 0x3ff00000
	s_or_b64 s[26:27], s[26:27], exec
.LBB60_20:                              ;   in Loop: Header=BB60_9 Depth=1
	s_or_b64 exec, exec, s[28:29]
	v_pk_mov_b32 v[10:11], s[20:21], s[20:21] op_sel:[0,1]
	v_pk_mov_b32 v[12:13], s[22:23], s[22:23] op_sel:[0,1]
	s_and_saveexec_b64 s[20:21], s[26:27]
	s_cbranch_execz .LBB60_22
; %bb.21:                               ;   in Loop: Header=BB60_9 Depth=1
	v_mov_b32_e32 v5, s48
	s_waitcnt lgkmcnt(0)
	ds_write_b64 v5, v[6:7]
	v_mov_b32_e32 v5, s42
	ds_read_b64 v[10:11], v5
	v_pk_mov_b32 v[12:13], v[8:9], v[8:9] op_sel:[0,1]
.LBB60_22:                              ;   in Loop: Header=BB60_9 Depth=1
	s_or_b64 exec, exec, s[20:21]
	s_lshl_b64 s[20:21], s[8:9], 3
	s_add_u32 s20, s39, s20
	s_addc_u32 s21, s40, s21
	v_mov_b32_e32 v5, s42
	s_waitcnt lgkmcnt(0)
	global_store_dwordx2 v4, v[10:11], s[20:21]
	ds_write_b64 v5, v[12:13] offset:8
.LBB60_23:                              ;   in Loop: Header=BB60_9 Depth=1
	s_or_b64 exec, exec, s[18:19]
	s_waitcnt lgkmcnt(0)
	s_barrier
	s_and_saveexec_b64 s[18:19], s[6:7]
	s_cbranch_execz .LBB60_26
; %bb.24:                               ;   in Loop: Header=BB60_9 Depth=1
	s_mov_b32 s20, 0
	s_mov_b64 s[6:7], 0
	v_mov_b32_e32 v5, v0
.LBB60_25:                              ;   Parent Loop BB60_9 Depth=1
                                        ; =>  This Inner Loop Header: Depth=2
	v_mov_b32_e32 v6, s42
	v_add_u32_e32 v10, s20, v20
	ds_read_b64 v[6:7], v6 offset:8
	ds_read_b64 v[8:9], v10
	v_add_u32_e32 v5, 0x100, v5
	s_addk_i32 s20, 0x800
	v_cmp_le_i32_e32 vcc, s49, v5
	s_or_b64 s[6:7], vcc, s[6:7]
	s_waitcnt lgkmcnt(0)
	v_mul_f64 v[6:7], v[6:7], v[8:9]
	ds_write_b64 v10, v[6:7]
	s_andn2_b64 exec, exec, s[6:7]
	s_cbranch_execnz .LBB60_25
.LBB60_26:                              ;   in Loop: Header=BB60_9 Depth=1
	s_or_b64 exec, exec, s[18:19]
	s_not_b32 s22, s8
	s_add_i32 s22, s22, s17
	v_cmp_gt_i32_e32 vcc, s22, v0
	s_waitcnt lgkmcnt(0)
	s_barrier
	s_and_saveexec_b64 s[6:7], vcc
	s_cbranch_execz .LBB60_33
; %bb.27:                               ;   in Loop: Header=BB60_9 Depth=1
	s_cmp_gt_i32 s47, 0
	s_mov_b64 s[18:19], 0
	s_cselect_b64 s[20:21], -1, 0
	v_mov_b32_e32 v5, v21
	v_mov_b32_e32 v8, v0
	s_branch .LBB60_30
.LBB60_28:                              ;   in Loop: Header=BB60_30 Depth=2
	v_pk_mov_b32 v[6:7], 0, 0
.LBB60_29:                              ;   in Loop: Header=BB60_30 Depth=2
	v_mov_b32_e32 v9, s42
	ds_read_b64 v[10:11], v9
	v_lshl_add_u32 v9, v8, 3, s41
	v_add_u32_e32 v8, 0x100, v8
	v_cmp_le_i32_e32 vcc, s22, v8
	s_or_b64 s[18:19], vcc, s[18:19]
	s_waitcnt lgkmcnt(0)
	v_mul_f64 v[6:7], v[6:7], v[10:11]
	v_add_u32_e32 v5, s45, v5
	ds_write_b64 v9, v[6:7]
	s_andn2_b64 exec, exec, s[18:19]
	s_cbranch_execz .LBB60_33
.LBB60_30:                              ;   Parent Loop BB60_9 Depth=1
                                        ; =>  This Loop Header: Depth=2
                                        ;       Child Loop BB60_32 Depth 3
	s_andn2_b64 vcc, exec, s[20:21]
	s_cbranch_vccnz .LBB60_28
; %bb.31:                               ;   in Loop: Header=BB60_30 Depth=2
	s_mov_b32 s23, 0
	v_pk_mov_b32 v[6:7], 0, 0
	s_mov_b32 s24, s46
	v_mov_b32_e32 v9, v5
.LBB60_32:                              ;   Parent Loop BB60_9 Depth=1
                                        ;     Parent Loop BB60_30 Depth=2
                                        ; =>    This Inner Loop Header: Depth=3
	v_mov_b32_e32 v12, s24
	ds_read_b64 v[10:11], v9
	ds_read_b64 v[12:13], v12
	s_add_i32 s23, s23, 1
	s_add_i32 s24, s24, 8
	v_add_u32_e32 v9, 8, v9
	s_cmp_ge_i32 s23, s47
	s_waitcnt lgkmcnt(0)
	v_fmac_f64_e32 v[6:7], v[10:11], v[12:13]
	s_cbranch_scc0 .LBB60_32
	s_branch .LBB60_29
.LBB60_33:                              ;   in Loop: Header=BB60_9 Depth=1
	s_or_b64 exec, exec, s[6:7]
	v_cmp_gt_i32_e32 vcc, s47, v0
	s_waitcnt lgkmcnt(0)
	s_barrier
	s_and_saveexec_b64 s[6:7], vcc
	s_cbranch_execz .LBB60_8
; %bb.34:                               ;   in Loop: Header=BB60_9 Depth=1
	s_cmp_gt_i32 s22, 0
	s_mov_b64 s[18:19], 0
	s_cselect_b64 s[20:21], -1, 0
	v_mov_b32_e32 v5, v22
	v_mov_b32_e32 v6, v0
	s_branch .LBB60_36
.LBB60_35:                              ;   in Loop: Header=BB60_36 Depth=2
	v_add_u32_e32 v6, 0x100, v6
	v_cmp_le_i32_e32 vcc, s47, v6
	s_or_b64 s[18:19], vcc, s[18:19]
	v_add_u32_e32 v5, 0x800, v5
	s_andn2_b64 exec, exec, s[18:19]
	s_cbranch_execz .LBB60_8
.LBB60_36:                              ;   Parent Loop BB60_9 Depth=1
                                        ; =>  This Loop Header: Depth=2
                                        ;       Child Loop BB60_38 Depth 3
	s_andn2_b64 vcc, exec, s[20:21]
	s_cbranch_vccnz .LBB60_35
; %bb.37:                               ;   in Loop: Header=BB60_36 Depth=2
	v_lshl_add_u32 v7, v6, 3, s48
	s_mov_b32 s23, 0
	s_mov_b32 s24, s41
	v_mov_b32_e32 v8, v5
.LBB60_38:                              ;   Parent Loop BB60_9 Depth=1
                                        ;     Parent Loop BB60_36 Depth=2
                                        ; =>    This Inner Loop Header: Depth=3
	v_mov_b32_e32 v9, s24
	ds_read_b64 v[10:11], v8
	ds_read_b64 v[12:13], v7
	ds_read_b64 v[26:27], v9
	s_add_i32 s23, s23, 1
	s_add_i32 s24, s24, 8
	s_cmp_ge_i32 s23, s22
	s_waitcnt lgkmcnt(0)
	v_fma_f64 v[10:11], -v[12:13], v[26:27], v[10:11]
	ds_write_b64 v8, v[10:11]
	v_add_u32_e32 v8, s43, v8
	s_cbranch_scc0 .LBB60_38
	s_branch .LBB60_35
.LBB60_39:                              ;   in Loop: Header=BB60_9 Depth=1
	v_mov_b32_e32 v5, v4
	v_mov_b32_e32 v6, s42
	s_mov_b64 s[20:21], 0
	s_and_b64 vcc, exec, s[10:11]
	ds_write_b64 v6, v[4:5]
                                        ; implicit-def: $vgpr6_vgpr7
                                        ; implicit-def: $sgpr30_sgpr31
	s_cbranch_vccz .LBB60_41
; %bb.40:                               ;   in Loop: Header=BB60_9 Depth=1
	v_mov_b32_e32 v5, s48
	ds_read_b64 v[6:7], v5
	s_mov_b64 s[24:25], -1
	s_mov_b64 s[30:31], 1.0
.LBB60_41:                              ;   in Loop: Header=BB60_9 Depth=1
	s_mov_b64 s[22:23], 1.0
	s_and_b64 s[24:25], s[24:25], exec
                                        ; implicit-def: $vgpr10_vgpr11
	s_or_saveexec_b64 s[28:29], s[28:29]
	v_pk_mov_b32 v[8:9], s[30:31], s[30:31] op_sel:[0,1]
	s_xor_b64 exec, exec, s[28:29]
	s_cbranch_execz .LBB60_18
.LBB60_42:                              ;   in Loop: Header=BB60_9 Depth=1
	v_mov_b32_e32 v5, s48
	ds_read_b64 v[8:9], v5
	s_andn2_b64 s[24:25], s[24:25], exec
	s_and_b64 s[30:31], s[10:11], exec
	s_or_b64 s[24:25], s[24:25], s[30:31]
	s_waitcnt lgkmcnt(0)
	v_fmac_f64_e32 v[10:11], v[8:9], v[8:9]
	v_cmp_gt_f64_e32 vcc, s[14:15], v[10:11]
	v_cndmask_b32_e64 v5, 0, 1, vcc
	v_lshlrev_b32_e32 v5, 8, v5
	v_ldexp_f64 v[6:7], v[10:11], v5
	v_rsq_f64_e32 v[10:11], v[6:7]
	v_cndmask_b32_e32 v5, 0, v25, vcc
	v_cmp_class_f64_e32 vcc, v[6:7], v24
	v_mul_f64 v[12:13], v[6:7], v[10:11]
	v_mul_f64 v[10:11], v[10:11], 0.5
	v_fma_f64 v[26:27], -v[10:11], v[12:13], 0.5
	v_fmac_f64_e32 v[12:13], v[12:13], v[26:27]
	v_fmac_f64_e32 v[10:11], v[10:11], v[26:27]
	v_fma_f64 v[26:27], -v[12:13], v[12:13], v[6:7]
	v_fmac_f64_e32 v[12:13], v[26:27], v[10:11]
	v_fma_f64 v[26:27], -v[12:13], v[12:13], v[6:7]
	v_fmac_f64_e32 v[12:13], v[26:27], v[10:11]
	v_ldexp_f64 v[10:11], v[12:13], v5
	v_cndmask_b32_e32 v5, v11, v7, vcc
	v_cndmask_b32_e32 v6, v10, v6, vcc
	v_xor_b32_e32 v7, 0x80000000, v5
	v_cmp_le_f64_e32 vcc, 0, v[8:9]
	v_cndmask_b32_e32 v7, v5, v7, vcc
	v_add_f64 v[10:11], v[8:9], -v[6:7]
	v_div_scale_f64 v[12:13], s[26:27], v[10:11], v[10:11], 1.0
	v_rcp_f64_e32 v[26:27], v[12:13]
	v_div_scale_f64 v[28:29], vcc, 1.0, v[10:11], 1.0
	v_mov_b32_e32 v5, s42
	v_fma_f64 v[30:31], -v[12:13], v[26:27], 1.0
	v_fmac_f64_e32 v[26:27], v[26:27], v[30:31]
	v_fma_f64 v[30:31], -v[12:13], v[26:27], 1.0
	v_fmac_f64_e32 v[26:27], v[26:27], v[30:31]
	v_mul_f64 v[30:31], v[28:29], v[26:27]
	v_fma_f64 v[12:13], -v[12:13], v[30:31], v[28:29]
	v_add_f64 v[28:29], v[6:7], -v[8:9]
	v_div_scale_f64 v[32:33], s[26:27], v[6:7], v[6:7], v[28:29]
	v_rcp_f64_e32 v[34:35], v[32:33]
	v_div_fmas_f64 v[8:9], v[12:13], v[26:27], v[30:31]
	v_div_fixup_f64 v[8:9], v[8:9], v[10:11], 1.0
	s_and_b64 s[26:27], s[12:13], exec
	v_fma_f64 v[10:11], -v[32:33], v[34:35], 1.0
	v_fmac_f64_e32 v[34:35], v[34:35], v[10:11]
	v_fma_f64 v[10:11], -v[32:33], v[34:35], 1.0
	v_fmac_f64_e32 v[34:35], v[34:35], v[10:11]
	v_div_scale_f64 v[10:11], vcc, v[28:29], v[6:7], v[28:29]
	v_mul_f64 v[12:13], v[10:11], v[34:35]
	v_fma_f64 v[10:11], -v[32:33], v[12:13], v[10:11]
	s_nop 1
	v_div_fmas_f64 v[10:11], v[10:11], v[34:35], v[12:13]
	v_div_fixup_f64 v[10:11], v[10:11], v[6:7], v[28:29]
	ds_write_b64 v5, v[10:11]
	s_or_b64 exec, exec, s[28:29]
	s_and_saveexec_b64 s[28:29], s[24:25]
	s_cbranch_execnz .LBB60_19
	s_branch .LBB60_20
.LBB60_43:
	s_and_saveexec_b64 s[2:3], s[0:1]
	s_cbranch_execz .LBB60_49
; %bb.44:
	v_mad_u64_u32 v[0:1], s[0:1], s35, v3, v[2:3]
	v_mul_lo_u32 v1, s16, v3
	v_lshlrev_b32_e32 v1, 3, v1
	v_cmp_gt_i32_e32 vcc, s17, v3
	s_lshl_b32 s10, s35, 1
	v_add3_u32 v1, v1, v14, 0
	s_lshl_b32 s11, s16, 4
	s_mov_b64 s[4:5], 0
	s_branch .LBB60_46
.LBB60_45:                              ;   in Loop: Header=BB60_46 Depth=1
	s_or_b64 exec, exec, s[6:7]
	v_add_u32_e32 v2, 0x80, v2
	v_cmp_le_i32_e64 s[0:1], s16, v2
	v_add_u32_e32 v0, 0x80, v0
	s_or_b64 s[4:5], s[0:1], s[4:5]
	v_add_u32_e32 v1, 0x400, v1
	s_andn2_b64 exec, exec, s[4:5]
	s_cbranch_execz .LBB60_49
.LBB60_46:                              ; =>This Loop Header: Depth=1
                                        ;     Child Loop BB60_48 Depth 2
	s_and_saveexec_b64 s[6:7], vcc
	s_cbranch_execz .LBB60_45
; %bb.47:                               ;   in Loop: Header=BB60_46 Depth=1
	s_mov_b64 s[8:9], 0
	v_mov_b32_e32 v6, v1
	v_mov_b32_e32 v4, v0
	;; [unrolled: 1-line block ×3, first 2 shown]
.LBB60_48:                              ;   Parent Loop BB60_46 Depth=1
                                        ; =>  This Inner Loop Header: Depth=2
	ds_read_b64 v[8:9], v6
	v_ashrrev_i32_e32 v5, 31, v4
	v_add_u32_e32 v7, 2, v7
	v_lshlrev_b64 v[10:11], 3, v[4:5]
	v_mov_b32_e32 v12, s34
	v_cmp_le_i32_e64 s[0:1], s17, v7
	v_add_co_u32_e64 v10, s[2:3], s33, v10
	v_add_u32_e32 v6, s11, v6
	v_add_u32_e32 v4, s10, v4
	v_addc_co_u32_e64 v11, s[2:3], v12, v11, s[2:3]
	s_or_b64 s[8:9], s[0:1], s[8:9]
	s_waitcnt lgkmcnt(0)
	global_store_dwordx2 v[10:11], v[8:9], off
	s_andn2_b64 exec, exec, s[8:9]
	s_cbranch_execnz .LBB60_48
	s_branch .LBB60_45
.LBB60_49:
	s_endpgm
	.section	.rodata,"a",@progbits
	.p2align	6, 0x0
	.amdhsa_kernel _ZN9rocsolver6v33100L18geqr2_kernel_smallILi256EdidPdEEvT1_S3_T3_lS3_lPT2_lPT0_l
		.amdhsa_group_segment_fixed_size 0
		.amdhsa_private_segment_fixed_size 0
		.amdhsa_kernarg_size 72
		.amdhsa_user_sgpr_count 6
		.amdhsa_user_sgpr_private_segment_buffer 1
		.amdhsa_user_sgpr_dispatch_ptr 0
		.amdhsa_user_sgpr_queue_ptr 0
		.amdhsa_user_sgpr_kernarg_segment_ptr 1
		.amdhsa_user_sgpr_dispatch_id 0
		.amdhsa_user_sgpr_flat_scratch_init 0
		.amdhsa_user_sgpr_kernarg_preload_length 0
		.amdhsa_user_sgpr_kernarg_preload_offset 0
		.amdhsa_user_sgpr_private_segment_size 0
		.amdhsa_uses_dynamic_stack 0
		.amdhsa_system_sgpr_private_segment_wavefront_offset 0
		.amdhsa_system_sgpr_workgroup_id_x 1
		.amdhsa_system_sgpr_workgroup_id_y 0
		.amdhsa_system_sgpr_workgroup_id_z 1
		.amdhsa_system_sgpr_workgroup_info 0
		.amdhsa_system_vgpr_workitem_id 0
		.amdhsa_next_free_vgpr 36
		.amdhsa_next_free_sgpr 50
		.amdhsa_accum_offset 36
		.amdhsa_reserve_vcc 1
		.amdhsa_reserve_flat_scratch 0
		.amdhsa_float_round_mode_32 0
		.amdhsa_float_round_mode_16_64 0
		.amdhsa_float_denorm_mode_32 3
		.amdhsa_float_denorm_mode_16_64 3
		.amdhsa_dx10_clamp 1
		.amdhsa_ieee_mode 1
		.amdhsa_fp16_overflow 0
		.amdhsa_tg_split 0
		.amdhsa_exception_fp_ieee_invalid_op 0
		.amdhsa_exception_fp_denorm_src 0
		.amdhsa_exception_fp_ieee_div_zero 0
		.amdhsa_exception_fp_ieee_overflow 0
		.amdhsa_exception_fp_ieee_underflow 0
		.amdhsa_exception_fp_ieee_inexact 0
		.amdhsa_exception_int_div_zero 0
	.end_amdhsa_kernel
	.section	.text._ZN9rocsolver6v33100L18geqr2_kernel_smallILi256EdidPdEEvT1_S3_T3_lS3_lPT2_lPT0_l,"axG",@progbits,_ZN9rocsolver6v33100L18geqr2_kernel_smallILi256EdidPdEEvT1_S3_T3_lS3_lPT2_lPT0_l,comdat
.Lfunc_end60:
	.size	_ZN9rocsolver6v33100L18geqr2_kernel_smallILi256EdidPdEEvT1_S3_T3_lS3_lPT2_lPT0_l, .Lfunc_end60-_ZN9rocsolver6v33100L18geqr2_kernel_smallILi256EdidPdEEvT1_S3_T3_lS3_lPT2_lPT0_l
                                        ; -- End function
	.section	.AMDGPU.csdata,"",@progbits
; Kernel info:
; codeLenInByte = 2540
; NumSgprs: 54
; NumVgprs: 36
; NumAgprs: 0
; TotalNumVgprs: 36
; ScratchSize: 0
; MemoryBound: 0
; FloatMode: 240
; IeeeMode: 1
; LDSByteSize: 0 bytes/workgroup (compile time only)
; SGPRBlocks: 6
; VGPRBlocks: 4
; NumSGPRsForWavesPerEU: 54
; NumVGPRsForWavesPerEU: 36
; AccumOffset: 36
; Occupancy: 8
; WaveLimiterHint : 0
; COMPUTE_PGM_RSRC2:SCRATCH_EN: 0
; COMPUTE_PGM_RSRC2:USER_SGPR: 6
; COMPUTE_PGM_RSRC2:TRAP_HANDLER: 0
; COMPUTE_PGM_RSRC2:TGID_X_EN: 1
; COMPUTE_PGM_RSRC2:TGID_Y_EN: 0
; COMPUTE_PGM_RSRC2:TGID_Z_EN: 1
; COMPUTE_PGM_RSRC2:TIDIG_COMP_CNT: 0
; COMPUTE_PGM_RSRC3_GFX90A:ACCUM_OFFSET: 8
; COMPUTE_PGM_RSRC3_GFX90A:TG_SPLIT: 0
	.section	.text._ZN9rocsolver6v33100L16reset_batch_infoIdiiPdEEvT2_lT0_T1_,"axG",@progbits,_ZN9rocsolver6v33100L16reset_batch_infoIdiiPdEEvT2_lT0_T1_,comdat
	.globl	_ZN9rocsolver6v33100L16reset_batch_infoIdiiPdEEvT2_lT0_T1_ ; -- Begin function _ZN9rocsolver6v33100L16reset_batch_infoIdiiPdEEvT2_lT0_T1_
	.p2align	8
	.type	_ZN9rocsolver6v33100L16reset_batch_infoIdiiPdEEvT2_lT0_T1_,@function
_ZN9rocsolver6v33100L16reset_batch_infoIdiiPdEEvT2_lT0_T1_: ; @_ZN9rocsolver6v33100L16reset_batch_infoIdiiPdEEvT2_lT0_T1_
; %bb.0:
	s_load_dword s2, s[4:5], 0x24
	s_load_dwordx2 s[0:1], s[4:5], 0x10
	s_waitcnt lgkmcnt(0)
	s_and_b32 s2, s2, 0xffff
	s_mul_i32 s6, s6, s2
	v_add_u32_e32 v0, s6, v0
	v_cmp_gt_i32_e32 vcc, s0, v0
	s_and_saveexec_b64 s[2:3], vcc
	s_cbranch_execz .LBB61_2
; %bb.1:
	s_load_dwordx4 s[8:11], s[4:5], 0x0
	s_ashr_i32 s0, s7, 31
	v_ashrrev_i32_e32 v1, 31, v0
	v_lshlrev_b64 v[0:1], 3, v[0:1]
	s_waitcnt lgkmcnt(0)
	s_mul_i32 s3, s7, s11
	s_mul_hi_u32 s4, s7, s10
	s_mul_i32 s0, s0, s10
	s_add_i32 s3, s4, s3
	s_mul_i32 s2, s7, s10
	s_add_i32 s3, s3, s0
	s_lshl_b64 s[2:3], s[2:3], 3
	s_add_u32 s0, s8, s2
	s_addc_u32 s2, s9, s3
	v_mov_b32_e32 v2, s2
	v_add_co_u32_e32 v0, vcc, s0, v0
	v_addc_co_u32_e32 v1, vcc, v2, v1, vcc
	v_cvt_f64_i32_e32 v[2:3], s1
	global_store_dwordx2 v[0:1], v[2:3], off
.LBB61_2:
	s_endpgm
	.section	.rodata,"a",@progbits
	.p2align	6, 0x0
	.amdhsa_kernel _ZN9rocsolver6v33100L16reset_batch_infoIdiiPdEEvT2_lT0_T1_
		.amdhsa_group_segment_fixed_size 0
		.amdhsa_private_segment_fixed_size 0
		.amdhsa_kernarg_size 280
		.amdhsa_user_sgpr_count 6
		.amdhsa_user_sgpr_private_segment_buffer 1
		.amdhsa_user_sgpr_dispatch_ptr 0
		.amdhsa_user_sgpr_queue_ptr 0
		.amdhsa_user_sgpr_kernarg_segment_ptr 1
		.amdhsa_user_sgpr_dispatch_id 0
		.amdhsa_user_sgpr_flat_scratch_init 0
		.amdhsa_user_sgpr_kernarg_preload_length 0
		.amdhsa_user_sgpr_kernarg_preload_offset 0
		.amdhsa_user_sgpr_private_segment_size 0
		.amdhsa_uses_dynamic_stack 0
		.amdhsa_system_sgpr_private_segment_wavefront_offset 0
		.amdhsa_system_sgpr_workgroup_id_x 1
		.amdhsa_system_sgpr_workgroup_id_y 1
		.amdhsa_system_sgpr_workgroup_id_z 0
		.amdhsa_system_sgpr_workgroup_info 0
		.amdhsa_system_vgpr_workitem_id 0
		.amdhsa_next_free_vgpr 4
		.amdhsa_next_free_sgpr 12
		.amdhsa_accum_offset 4
		.amdhsa_reserve_vcc 1
		.amdhsa_reserve_flat_scratch 0
		.amdhsa_float_round_mode_32 0
		.amdhsa_float_round_mode_16_64 0
		.amdhsa_float_denorm_mode_32 3
		.amdhsa_float_denorm_mode_16_64 3
		.amdhsa_dx10_clamp 1
		.amdhsa_ieee_mode 1
		.amdhsa_fp16_overflow 0
		.amdhsa_tg_split 0
		.amdhsa_exception_fp_ieee_invalid_op 0
		.amdhsa_exception_fp_denorm_src 0
		.amdhsa_exception_fp_ieee_div_zero 0
		.amdhsa_exception_fp_ieee_overflow 0
		.amdhsa_exception_fp_ieee_underflow 0
		.amdhsa_exception_fp_ieee_inexact 0
		.amdhsa_exception_int_div_zero 0
	.end_amdhsa_kernel
	.section	.text._ZN9rocsolver6v33100L16reset_batch_infoIdiiPdEEvT2_lT0_T1_,"axG",@progbits,_ZN9rocsolver6v33100L16reset_batch_infoIdiiPdEEvT2_lT0_T1_,comdat
.Lfunc_end61:
	.size	_ZN9rocsolver6v33100L16reset_batch_infoIdiiPdEEvT2_lT0_T1_, .Lfunc_end61-_ZN9rocsolver6v33100L16reset_batch_infoIdiiPdEEvT2_lT0_T1_
                                        ; -- End function
	.section	.AMDGPU.csdata,"",@progbits
; Kernel info:
; codeLenInByte = 140
; NumSgprs: 16
; NumVgprs: 4
; NumAgprs: 0
; TotalNumVgprs: 4
; ScratchSize: 0
; MemoryBound: 0
; FloatMode: 240
; IeeeMode: 1
; LDSByteSize: 0 bytes/workgroup (compile time only)
; SGPRBlocks: 1
; VGPRBlocks: 0
; NumSGPRsForWavesPerEU: 16
; NumVGPRsForWavesPerEU: 4
; AccumOffset: 4
; Occupancy: 8
; WaveLimiterHint : 0
; COMPUTE_PGM_RSRC2:SCRATCH_EN: 0
; COMPUTE_PGM_RSRC2:USER_SGPR: 6
; COMPUTE_PGM_RSRC2:TRAP_HANDLER: 0
; COMPUTE_PGM_RSRC2:TGID_X_EN: 1
; COMPUTE_PGM_RSRC2:TGID_Y_EN: 1
; COMPUTE_PGM_RSRC2:TGID_Z_EN: 0
; COMPUTE_PGM_RSRC2:TIDIG_COMP_CNT: 0
; COMPUTE_PGM_RSRC3_GFX90A:ACCUM_OFFSET: 0
; COMPUTE_PGM_RSRC3_GFX90A:TG_SPLIT: 0
	.section	.text._ZN9rocsolver6v33100L8set_diagIdidPdTnNSt9enable_ifIXoont18rocblas_is_complexIT_E18rocblas_is_complexIT1_EEiE4typeELi0EEEvPS5_llT2_lT0_lSA_b,"axG",@progbits,_ZN9rocsolver6v33100L8set_diagIdidPdTnNSt9enable_ifIXoont18rocblas_is_complexIT_E18rocblas_is_complexIT1_EEiE4typeELi0EEEvPS5_llT2_lT0_lSA_b,comdat
	.globl	_ZN9rocsolver6v33100L8set_diagIdidPdTnNSt9enable_ifIXoont18rocblas_is_complexIT_E18rocblas_is_complexIT1_EEiE4typeELi0EEEvPS5_llT2_lT0_lSA_b ; -- Begin function _ZN9rocsolver6v33100L8set_diagIdidPdTnNSt9enable_ifIXoont18rocblas_is_complexIT_E18rocblas_is_complexIT1_EEiE4typeELi0EEEvPS5_llT2_lT0_lSA_b
	.p2align	8
	.type	_ZN9rocsolver6v33100L8set_diagIdidPdTnNSt9enable_ifIXoont18rocblas_is_complexIT_E18rocblas_is_complexIT1_EEiE4typeELi0EEEvPS5_llT2_lT0_lSA_b,@function
_ZN9rocsolver6v33100L8set_diagIdidPdTnNSt9enable_ifIXoont18rocblas_is_complexIT_E18rocblas_is_complexIT1_EEiE4typeELi0EEEvPS5_llT2_lT0_lSA_b: ; @_ZN9rocsolver6v33100L8set_diagIdidPdTnNSt9enable_ifIXoont18rocblas_is_complexIT_E18rocblas_is_complexIT1_EEiE4typeELi0EEEvPS5_llT2_lT0_lSA_b
; %bb.0:
	s_load_dword s2, s[4:5], 0x4c
	s_load_dwordx2 s[0:1], s[4:5], 0x38
	v_bfe_u32 v0, v0, 10, 10
	s_waitcnt lgkmcnt(0)
	s_lshr_b32 s2, s2, 16
	s_mul_i32 s7, s7, s2
	v_add_u32_e32 v0, s7, v0
	v_cmp_gt_i32_e32 vcc, s0, v0
	s_and_saveexec_b64 s[2:3], vcc
	s_cbranch_execz .LBB62_2
; %bb.1:
	s_load_dwordx8 s[8:15], s[4:5], 0x0
	s_load_dwordx2 s[2:3], s[4:5], 0x20
	s_load_dword s7, s[4:5], 0x28
	s_load_dwordx2 s[16:17], s[4:5], 0x30
	s_bitcmp1_b32 s1, 0
	s_cselect_b64 vcc, -1, 0
	s_ashr_i32 s4, s6, 31
	v_mov_b32_e32 v6, 0x3ff00000
	s_waitcnt lgkmcnt(0)
	s_mul_i32 s0, s6, s17
	s_mul_hi_u32 s1, s6, s16
	s_add_i32 s0, s1, s0
	s_mul_i32 s1, s4, s16
	s_add_i32 s1, s0, s1
	s_mul_i32 s0, s6, s16
	s_lshl_b64 s[0:1], s[0:1], 3
	s_add_u32 s5, s14, s0
	s_addc_u32 s14, s15, s1
	s_lshl_b64 s[0:1], s[2:3], 3
	s_add_u32 s2, s5, s0
	s_addc_u32 s3, s14, s1
	v_mad_u64_u32 v[2:3], s[0:1], v0, s7, v[0:1]
	v_ashrrev_i32_e32 v3, 31, v2
	v_lshlrev_b64 v[2:3], 3, v[2:3]
	v_mov_b32_e32 v1, s3
	v_add_co_u32_e64 v2, s[0:1], s2, v2
	v_addc_co_u32_e64 v3, s[0:1], v1, v3, s[0:1]
	global_load_dwordx2 v[4:5], v[2:3], off
	s_mul_i32 s1, s6, s13
	s_mul_hi_u32 s2, s6, s12
	s_mul_i32 s4, s4, s12
	s_add_i32 s1, s2, s1
	s_mul_i32 s0, s6, s12
	s_add_i32 s1, s1, s4
	s_lshl_b64 s[0:1], s[0:1], 3
	s_add_u32 s2, s8, s0
	s_addc_u32 s3, s9, s1
	s_lshl_b64 s[0:1], s[10:11], 3
	v_ashrrev_i32_e32 v1, 31, v0
	s_add_u32 s0, s2, s0
	v_lshlrev_b64 v[0:1], 3, v[0:1]
	s_addc_u32 s1, s3, s1
	v_mov_b32_e32 v7, s1
	v_add_co_u32_e64 v0, s[0:1], s0, v0
	v_addc_co_u32_e64 v1, s[0:1], v7, v1, s[0:1]
	s_waitcnt vmcnt(0)
	global_store_dwordx2 v[0:1], v[4:5], off
	v_cndmask_b32_e32 v1, v5, v6, vcc
	v_cndmask_b32_e64 v0, v4, 0, vcc
	global_store_dwordx2 v[2:3], v[0:1], off
.LBB62_2:
	s_endpgm
	.section	.rodata,"a",@progbits
	.p2align	6, 0x0
	.amdhsa_kernel _ZN9rocsolver6v33100L8set_diagIdidPdTnNSt9enable_ifIXoont18rocblas_is_complexIT_E18rocblas_is_complexIT1_EEiE4typeELi0EEEvPS5_llT2_lT0_lSA_b
		.amdhsa_group_segment_fixed_size 0
		.amdhsa_private_segment_fixed_size 0
		.amdhsa_kernarg_size 320
		.amdhsa_user_sgpr_count 6
		.amdhsa_user_sgpr_private_segment_buffer 1
		.amdhsa_user_sgpr_dispatch_ptr 0
		.amdhsa_user_sgpr_queue_ptr 0
		.amdhsa_user_sgpr_kernarg_segment_ptr 1
		.amdhsa_user_sgpr_dispatch_id 0
		.amdhsa_user_sgpr_flat_scratch_init 0
		.amdhsa_user_sgpr_kernarg_preload_length 0
		.amdhsa_user_sgpr_kernarg_preload_offset 0
		.amdhsa_user_sgpr_private_segment_size 0
		.amdhsa_uses_dynamic_stack 0
		.amdhsa_system_sgpr_private_segment_wavefront_offset 0
		.amdhsa_system_sgpr_workgroup_id_x 1
		.amdhsa_system_sgpr_workgroup_id_y 1
		.amdhsa_system_sgpr_workgroup_id_z 0
		.amdhsa_system_sgpr_workgroup_info 0
		.amdhsa_system_vgpr_workitem_id 1
		.amdhsa_next_free_vgpr 8
		.amdhsa_next_free_sgpr 18
		.amdhsa_accum_offset 8
		.amdhsa_reserve_vcc 1
		.amdhsa_reserve_flat_scratch 0
		.amdhsa_float_round_mode_32 0
		.amdhsa_float_round_mode_16_64 0
		.amdhsa_float_denorm_mode_32 3
		.amdhsa_float_denorm_mode_16_64 3
		.amdhsa_dx10_clamp 1
		.amdhsa_ieee_mode 1
		.amdhsa_fp16_overflow 0
		.amdhsa_tg_split 0
		.amdhsa_exception_fp_ieee_invalid_op 0
		.amdhsa_exception_fp_denorm_src 0
		.amdhsa_exception_fp_ieee_div_zero 0
		.amdhsa_exception_fp_ieee_overflow 0
		.amdhsa_exception_fp_ieee_underflow 0
		.amdhsa_exception_fp_ieee_inexact 0
		.amdhsa_exception_int_div_zero 0
	.end_amdhsa_kernel
	.section	.text._ZN9rocsolver6v33100L8set_diagIdidPdTnNSt9enable_ifIXoont18rocblas_is_complexIT_E18rocblas_is_complexIT1_EEiE4typeELi0EEEvPS5_llT2_lT0_lSA_b,"axG",@progbits,_ZN9rocsolver6v33100L8set_diagIdidPdTnNSt9enable_ifIXoont18rocblas_is_complexIT_E18rocblas_is_complexIT1_EEiE4typeELi0EEEvPS5_llT2_lT0_lSA_b,comdat
.Lfunc_end62:
	.size	_ZN9rocsolver6v33100L8set_diagIdidPdTnNSt9enable_ifIXoont18rocblas_is_complexIT_E18rocblas_is_complexIT1_EEiE4typeELi0EEEvPS5_llT2_lT0_lSA_b, .Lfunc_end62-_ZN9rocsolver6v33100L8set_diagIdidPdTnNSt9enable_ifIXoont18rocblas_is_complexIT_E18rocblas_is_complexIT1_EEiE4typeELi0EEEvPS5_llT2_lT0_lSA_b
                                        ; -- End function
	.section	.AMDGPU.csdata,"",@progbits
; Kernel info:
; codeLenInByte = 320
; NumSgprs: 22
; NumVgprs: 8
; NumAgprs: 0
; TotalNumVgprs: 8
; ScratchSize: 0
; MemoryBound: 0
; FloatMode: 240
; IeeeMode: 1
; LDSByteSize: 0 bytes/workgroup (compile time only)
; SGPRBlocks: 2
; VGPRBlocks: 0
; NumSGPRsForWavesPerEU: 22
; NumVGPRsForWavesPerEU: 8
; AccumOffset: 8
; Occupancy: 8
; WaveLimiterHint : 0
; COMPUTE_PGM_RSRC2:SCRATCH_EN: 0
; COMPUTE_PGM_RSRC2:USER_SGPR: 6
; COMPUTE_PGM_RSRC2:TRAP_HANDLER: 0
; COMPUTE_PGM_RSRC2:TGID_X_EN: 1
; COMPUTE_PGM_RSRC2:TGID_Y_EN: 1
; COMPUTE_PGM_RSRC2:TGID_Z_EN: 0
; COMPUTE_PGM_RSRC2:TIDIG_COMP_CNT: 1
; COMPUTE_PGM_RSRC3_GFX90A:ACCUM_OFFSET: 1
; COMPUTE_PGM_RSRC3_GFX90A:TG_SPLIT: 0
	.section	.text._ZN9rocsolver6v33100L11set_taubetaIdidPdEEvPT_lS4_T2_llPT1_ll,"axG",@progbits,_ZN9rocsolver6v33100L11set_taubetaIdidPdEEvPT_lS4_T2_llPT1_ll,comdat
	.globl	_ZN9rocsolver6v33100L11set_taubetaIdidPdEEvPT_lS4_T2_llPT1_ll ; -- Begin function _ZN9rocsolver6v33100L11set_taubetaIdidPdEEvPT_lS4_T2_llPT1_ll
	.p2align	8
	.type	_ZN9rocsolver6v33100L11set_taubetaIdidPdEEvPT_lS4_T2_llPT1_ll,@function
_ZN9rocsolver6v33100L11set_taubetaIdidPdEEvPT_lS4_T2_llPT1_ll: ; @_ZN9rocsolver6v33100L11set_taubetaIdidPdEEvPT_lS4_T2_llPT1_ll
; %bb.0:
	s_load_dwordx16 s[8:23], s[4:5], 0x0
	s_ashr_i32 s7, s6, 31
	s_mov_b64 s[24:25], 0
	s_mov_b64 s[0:1], 0
	s_waitcnt lgkmcnt(0)
	s_cmp_eq_u64 s[20:21], 0
	s_cbranch_scc1 .LBB63_2
; %bb.1:
	s_load_dwordx2 s[0:1], s[4:5], 0x40
	s_waitcnt lgkmcnt(0)
	s_mul_i32 s1, s6, s1
	s_mul_hi_u32 s2, s6, s0
	s_mul_i32 s3, s7, s0
	s_add_i32 s1, s2, s1
	s_mul_i32 s0, s6, s0
	s_add_i32 s1, s1, s3
	s_lshl_b64 s[0:1], s[0:1], 3
	s_add_u32 s2, s20, s0
	s_addc_u32 s3, s21, s1
	s_lshl_b64 s[0:1], s[22:23], 3
	s_add_u32 s0, s2, s0
	s_addc_u32 s1, s3, s1
.LBB63_2:
	s_mul_i32 s2, s6, s19
	s_mul_hi_u32 s3, s6, s18
	s_add_i32 s2, s3, s2
	s_mul_i32 s3, s7, s18
	s_add_i32 s3, s2, s3
	s_mul_i32 s2, s6, s18
	s_lshl_b64 s[2:3], s[2:3], 3
	s_add_u32 s4, s14, s2
	s_addc_u32 s5, s15, s3
	s_lshl_b64 s[2:3], s[16:17], 3
	s_add_u32 s2, s4, s2
	s_addc_u32 s3, s5, s3
	s_mul_i32 s4, s6, s11
	s_mul_hi_u32 s5, s6, s10
	s_add_i32 s4, s5, s4
	s_mul_i32 s5, s7, s10
	s_add_i32 s5, s4, s5
	s_mul_i32 s4, s6, s10
	s_lshl_b64 s[4:5], s[4:5], 3
	s_add_u32 s4, s8, s4
	s_addc_u32 s5, s9, s5
	s_lshl_b64 s[6:7], s[6:7], 3
	s_add_u32 s10, s12, s6
	s_addc_u32 s11, s13, s7
	s_load_dwordx2 s[12:13], s[10:11], 0x0
	s_cmp_eq_u64 s[0:1], 0
	s_cselect_b64 s[8:9], -1, 0
	s_cmp_lg_u64 s[0:1], 0
	s_cselect_b64 s[6:7], -1, 0
	s_waitcnt lgkmcnt(0)
	v_cmp_ngt_f64_e64 s[14:15], s[12:13], 0
	s_and_b64 vcc, exec, s[14:15]
	s_cbranch_vccz .LBB63_5
; %bb.3:
	v_mov_b32_e32 v0, 0
	v_mov_b32_e32 v1, 0x3ff00000
	global_store_dwordx2 v0, v[0:1], s[10:11]
	v_mov_b32_e32 v1, v0
	s_mov_b64 s[16:17], 0
	s_and_b64 vcc, exec, s[6:7]
	global_store_dwordx2 v0, v[0:1], s[4:5]
	s_cbranch_vccz .LBB63_6
; %bb.4:
	global_load_dwordx2 v[0:1], v0, s[2:3]
	s_mov_b64 s[14:15], -1
	s_and_b64 vcc, exec, s[16:17]
	s_cbranch_vccnz .LBB63_7
	s_branch .LBB63_8
.LBB63_5:
	s_mov_b64 s[16:17], -1
.LBB63_6:
	s_mov_b64 s[14:15], 0
                                        ; implicit-def: $vgpr0_vgpr1
	s_and_b64 vcc, exec, s[16:17]
	s_cbranch_vccz .LBB63_8
.LBB63_7:
	s_load_dwordx2 s[14:15], s[2:3], 0x0
	s_waitcnt vmcnt(0)
	v_pk_mov_b32 v[0:1], s[12:13], s[12:13] op_sel:[0,1]
	s_mov_b32 s12, 0
	s_brev_b32 s13, 8
	v_mov_b32_e32 v12, 0
	s_waitcnt lgkmcnt(0)
	v_fmac_f64_e64 v[0:1], s[14:15], s[14:15]
	v_cmp_gt_f64_e32 vcc, s[12:13], v[0:1]
	v_cndmask_b32_e64 v2, 0, 1, vcc
	v_lshlrev_b32_e32 v2, 8, v2
	v_ldexp_f64 v[0:1], v[0:1], v2
	v_rsq_f64_e32 v[2:3], v[0:1]
	s_and_b64 s[12:13], vcc, exec
	s_cselect_b32 s12, 0xffffff80, 0
	s_mov_b64 s[24:25], s[8:9]
	v_mul_f64 v[4:5], v[0:1], v[2:3]
	v_mul_f64 v[2:3], v[2:3], 0.5
	v_fma_f64 v[6:7], -v[2:3], v[4:5], 0.5
	v_fmac_f64_e32 v[4:5], v[4:5], v[6:7]
	v_fmac_f64_e32 v[2:3], v[2:3], v[6:7]
	v_fma_f64 v[6:7], -v[4:5], v[4:5], v[0:1]
	v_fmac_f64_e32 v[4:5], v[6:7], v[2:3]
	v_fma_f64 v[6:7], -v[4:5], v[4:5], v[0:1]
	v_fmac_f64_e32 v[4:5], v[6:7], v[2:3]
	v_ldexp_f64 v[2:3], v[4:5], s12
	v_mov_b32_e32 v4, 0x260
	v_cmp_class_f64_e32 vcc, v[0:1], v4
	v_cndmask_b32_e32 v1, v3, v1, vcc
	v_cndmask_b32_e32 v0, v2, v0, vcc
	v_xor_b32_e32 v2, 0x80000000, v1
	v_cmp_ge_f64_e64 vcc, s[14:15], 0
	v_cndmask_b32_e32 v1, v1, v2, vcc
	v_add_f64 v[2:3], s[14:15], -v[0:1]
	v_div_scale_f64 v[4:5], s[12:13], v[2:3], v[2:3], 1.0
	v_rcp_f64_e32 v[6:7], v[4:5]
	s_mov_b64 s[14:15], s[6:7]
	v_fma_f64 v[8:9], -v[4:5], v[6:7], 1.0
	v_fmac_f64_e32 v[6:7], v[6:7], v[8:9]
	v_fma_f64 v[8:9], -v[4:5], v[6:7], 1.0
	v_fmac_f64_e32 v[6:7], v[6:7], v[8:9]
	v_div_scale_f64 v[8:9], vcc, 1.0, v[2:3], 1.0
	v_mul_f64 v[10:11], v[8:9], v[6:7]
	v_fma_f64 v[4:5], -v[4:5], v[10:11], v[8:9]
	s_nop 1
	v_div_fmas_f64 v[4:5], v[4:5], v[6:7], v[10:11]
	v_div_fixup_f64 v[2:3], v[4:5], v[2:3], 1.0
	global_store_dwordx2 v12, v[2:3], s[10:11]
	global_load_dwordx2 v[2:3], v12, s[2:3]
	s_waitcnt vmcnt(0)
	v_add_f64 v[2:3], v[0:1], -v[2:3]
	v_div_scale_f64 v[4:5], s[10:11], v[0:1], v[0:1], v[2:3]
	v_rcp_f64_e32 v[6:7], v[4:5]
	v_div_scale_f64 v[8:9], vcc, v[2:3], v[0:1], v[2:3]
	v_fma_f64 v[10:11], -v[4:5], v[6:7], 1.0
	v_fmac_f64_e32 v[6:7], v[6:7], v[10:11]
	v_fma_f64 v[10:11], -v[4:5], v[6:7], 1.0
	v_fmac_f64_e32 v[6:7], v[6:7], v[10:11]
	v_mul_f64 v[10:11], v[8:9], v[6:7]
	v_fma_f64 v[4:5], -v[4:5], v[10:11], v[8:9]
	v_div_fmas_f64 v[4:5], v[4:5], v[6:7], v[10:11]
	v_div_fixup_f64 v[2:3], v[4:5], v[0:1], v[2:3]
	global_store_dwordx2 v12, v[2:3], s[4:5]
.LBB63_8:
	s_andn2_b64 vcc, exec, s[14:15]
	s_cbranch_vccz .LBB63_11
; %bb.9:
	s_andn2_b64 vcc, exec, s[24:25]
	s_cbranch_vccz .LBB63_12
; %bb.10:
	s_endpgm
.LBB63_11:
	v_pk_mov_b32 v[2:3], s[0:1], s[0:1] op_sel:[0,1]
	s_waitcnt vmcnt(0)
	flat_store_dwordx2 v[2:3], v[0:1]
	v_mov_b32_e32 v0, 0
	v_mov_b32_e32 v1, 0x3ff00000
.LBB63_12:
	v_mov_b32_e32 v2, 0
	s_waitcnt vmcnt(0) lgkmcnt(0)
	global_store_dwordx2 v2, v[0:1], s[2:3]
	s_endpgm
	.section	.rodata,"a",@progbits
	.p2align	6, 0x0
	.amdhsa_kernel _ZN9rocsolver6v33100L11set_taubetaIdidPdEEvPT_lS4_T2_llPT1_ll
		.amdhsa_group_segment_fixed_size 0
		.amdhsa_private_segment_fixed_size 0
		.amdhsa_kernarg_size 72
		.amdhsa_user_sgpr_count 6
		.amdhsa_user_sgpr_private_segment_buffer 1
		.amdhsa_user_sgpr_dispatch_ptr 0
		.amdhsa_user_sgpr_queue_ptr 0
		.amdhsa_user_sgpr_kernarg_segment_ptr 1
		.amdhsa_user_sgpr_dispatch_id 0
		.amdhsa_user_sgpr_flat_scratch_init 0
		.amdhsa_user_sgpr_kernarg_preload_length 0
		.amdhsa_user_sgpr_kernarg_preload_offset 0
		.amdhsa_user_sgpr_private_segment_size 0
		.amdhsa_uses_dynamic_stack 0
		.amdhsa_system_sgpr_private_segment_wavefront_offset 0
		.amdhsa_system_sgpr_workgroup_id_x 1
		.amdhsa_system_sgpr_workgroup_id_y 0
		.amdhsa_system_sgpr_workgroup_id_z 0
		.amdhsa_system_sgpr_workgroup_info 0
		.amdhsa_system_vgpr_workitem_id 0
		.amdhsa_next_free_vgpr 13
		.amdhsa_next_free_sgpr 26
		.amdhsa_accum_offset 16
		.amdhsa_reserve_vcc 1
		.amdhsa_reserve_flat_scratch 0
		.amdhsa_float_round_mode_32 0
		.amdhsa_float_round_mode_16_64 0
		.amdhsa_float_denorm_mode_32 3
		.amdhsa_float_denorm_mode_16_64 3
		.amdhsa_dx10_clamp 1
		.amdhsa_ieee_mode 1
		.amdhsa_fp16_overflow 0
		.amdhsa_tg_split 0
		.amdhsa_exception_fp_ieee_invalid_op 0
		.amdhsa_exception_fp_denorm_src 0
		.amdhsa_exception_fp_ieee_div_zero 0
		.amdhsa_exception_fp_ieee_overflow 0
		.amdhsa_exception_fp_ieee_underflow 0
		.amdhsa_exception_fp_ieee_inexact 0
		.amdhsa_exception_int_div_zero 0
	.end_amdhsa_kernel
	.section	.text._ZN9rocsolver6v33100L11set_taubetaIdidPdEEvPT_lS4_T2_llPT1_ll,"axG",@progbits,_ZN9rocsolver6v33100L11set_taubetaIdidPdEEvPT_lS4_T2_llPT1_ll,comdat
.Lfunc_end63:
	.size	_ZN9rocsolver6v33100L11set_taubetaIdidPdEEvPT_lS4_T2_llPT1_ll, .Lfunc_end63-_ZN9rocsolver6v33100L11set_taubetaIdidPdEEvPT_lS4_T2_llPT1_ll
                                        ; -- End function
	.section	.AMDGPU.csdata,"",@progbits
; Kernel info:
; codeLenInByte = 784
; NumSgprs: 30
; NumVgprs: 13
; NumAgprs: 0
; TotalNumVgprs: 13
; ScratchSize: 0
; MemoryBound: 0
; FloatMode: 240
; IeeeMode: 1
; LDSByteSize: 0 bytes/workgroup (compile time only)
; SGPRBlocks: 3
; VGPRBlocks: 1
; NumSGPRsForWavesPerEU: 30
; NumVGPRsForWavesPerEU: 13
; AccumOffset: 16
; Occupancy: 8
; WaveLimiterHint : 0
; COMPUTE_PGM_RSRC2:SCRATCH_EN: 0
; COMPUTE_PGM_RSRC2:USER_SGPR: 6
; COMPUTE_PGM_RSRC2:TRAP_HANDLER: 0
; COMPUTE_PGM_RSRC2:TGID_X_EN: 1
; COMPUTE_PGM_RSRC2:TGID_Y_EN: 0
; COMPUTE_PGM_RSRC2:TGID_Z_EN: 0
; COMPUTE_PGM_RSRC2:TIDIG_COMP_CNT: 0
; COMPUTE_PGM_RSRC3_GFX90A:ACCUM_OFFSET: 3
; COMPUTE_PGM_RSRC3_GFX90A:TG_SPLIT: 0
	.section	.text._ZN9rocsolver6v33100L13conj_in_placeIdiPdTnNSt9enable_ifIXnt18rocblas_is_complexIT_EEiE4typeELi0EEEvT0_S7_T1_lS7_l,"axG",@progbits,_ZN9rocsolver6v33100L13conj_in_placeIdiPdTnNSt9enable_ifIXnt18rocblas_is_complexIT_EEiE4typeELi0EEEvT0_S7_T1_lS7_l,comdat
	.globl	_ZN9rocsolver6v33100L13conj_in_placeIdiPdTnNSt9enable_ifIXnt18rocblas_is_complexIT_EEiE4typeELi0EEEvT0_S7_T1_lS7_l ; -- Begin function _ZN9rocsolver6v33100L13conj_in_placeIdiPdTnNSt9enable_ifIXnt18rocblas_is_complexIT_EEiE4typeELi0EEEvT0_S7_T1_lS7_l
	.p2align	8
	.type	_ZN9rocsolver6v33100L13conj_in_placeIdiPdTnNSt9enable_ifIXnt18rocblas_is_complexIT_EEiE4typeELi0EEEvT0_S7_T1_lS7_l,@function
_ZN9rocsolver6v33100L13conj_in_placeIdiPdTnNSt9enable_ifIXnt18rocblas_is_complexIT_EEiE4typeELi0EEEvT0_S7_T1_lS7_l: ; @_ZN9rocsolver6v33100L13conj_in_placeIdiPdTnNSt9enable_ifIXnt18rocblas_is_complexIT_EEiE4typeELi0EEEvT0_S7_T1_lS7_l
; %bb.0:
	s_endpgm
	.section	.rodata,"a",@progbits
	.p2align	6, 0x0
	.amdhsa_kernel _ZN9rocsolver6v33100L13conj_in_placeIdiPdTnNSt9enable_ifIXnt18rocblas_is_complexIT_EEiE4typeELi0EEEvT0_S7_T1_lS7_l
		.amdhsa_group_segment_fixed_size 0
		.amdhsa_private_segment_fixed_size 0
		.amdhsa_kernarg_size 40
		.amdhsa_user_sgpr_count 6
		.amdhsa_user_sgpr_private_segment_buffer 1
		.amdhsa_user_sgpr_dispatch_ptr 0
		.amdhsa_user_sgpr_queue_ptr 0
		.amdhsa_user_sgpr_kernarg_segment_ptr 1
		.amdhsa_user_sgpr_dispatch_id 0
		.amdhsa_user_sgpr_flat_scratch_init 0
		.amdhsa_user_sgpr_kernarg_preload_length 0
		.amdhsa_user_sgpr_kernarg_preload_offset 0
		.amdhsa_user_sgpr_private_segment_size 0
		.amdhsa_uses_dynamic_stack 0
		.amdhsa_system_sgpr_private_segment_wavefront_offset 0
		.amdhsa_system_sgpr_workgroup_id_x 1
		.amdhsa_system_sgpr_workgroup_id_y 0
		.amdhsa_system_sgpr_workgroup_id_z 0
		.amdhsa_system_sgpr_workgroup_info 0
		.amdhsa_system_vgpr_workitem_id 0
		.amdhsa_next_free_vgpr 1
		.amdhsa_next_free_sgpr 0
		.amdhsa_accum_offset 4
		.amdhsa_reserve_vcc 0
		.amdhsa_reserve_flat_scratch 0
		.amdhsa_float_round_mode_32 0
		.amdhsa_float_round_mode_16_64 0
		.amdhsa_float_denorm_mode_32 3
		.amdhsa_float_denorm_mode_16_64 3
		.amdhsa_dx10_clamp 1
		.amdhsa_ieee_mode 1
		.amdhsa_fp16_overflow 0
		.amdhsa_tg_split 0
		.amdhsa_exception_fp_ieee_invalid_op 0
		.amdhsa_exception_fp_denorm_src 0
		.amdhsa_exception_fp_ieee_div_zero 0
		.amdhsa_exception_fp_ieee_overflow 0
		.amdhsa_exception_fp_ieee_underflow 0
		.amdhsa_exception_fp_ieee_inexact 0
		.amdhsa_exception_int_div_zero 0
	.end_amdhsa_kernel
	.section	.text._ZN9rocsolver6v33100L13conj_in_placeIdiPdTnNSt9enable_ifIXnt18rocblas_is_complexIT_EEiE4typeELi0EEEvT0_S7_T1_lS7_l,"axG",@progbits,_ZN9rocsolver6v33100L13conj_in_placeIdiPdTnNSt9enable_ifIXnt18rocblas_is_complexIT_EEiE4typeELi0EEEvT0_S7_T1_lS7_l,comdat
.Lfunc_end64:
	.size	_ZN9rocsolver6v33100L13conj_in_placeIdiPdTnNSt9enable_ifIXnt18rocblas_is_complexIT_EEiE4typeELi0EEEvT0_S7_T1_lS7_l, .Lfunc_end64-_ZN9rocsolver6v33100L13conj_in_placeIdiPdTnNSt9enable_ifIXnt18rocblas_is_complexIT_EEiE4typeELi0EEEvT0_S7_T1_lS7_l
                                        ; -- End function
	.section	.AMDGPU.csdata,"",@progbits
; Kernel info:
; codeLenInByte = 4
; NumSgprs: 4
; NumVgprs: 0
; NumAgprs: 0
; TotalNumVgprs: 0
; ScratchSize: 0
; MemoryBound: 0
; FloatMode: 240
; IeeeMode: 1
; LDSByteSize: 0 bytes/workgroup (compile time only)
; SGPRBlocks: 0
; VGPRBlocks: 0
; NumSGPRsForWavesPerEU: 4
; NumVGPRsForWavesPerEU: 1
; AccumOffset: 4
; Occupancy: 8
; WaveLimiterHint : 0
; COMPUTE_PGM_RSRC2:SCRATCH_EN: 0
; COMPUTE_PGM_RSRC2:USER_SGPR: 6
; COMPUTE_PGM_RSRC2:TRAP_HANDLER: 0
; COMPUTE_PGM_RSRC2:TGID_X_EN: 1
; COMPUTE_PGM_RSRC2:TGID_Y_EN: 0
; COMPUTE_PGM_RSRC2:TGID_Z_EN: 0
; COMPUTE_PGM_RSRC2:TIDIG_COMP_CNT: 0
; COMPUTE_PGM_RSRC3_GFX90A:ACCUM_OFFSET: 0
; COMPUTE_PGM_RSRC3_GFX90A:TG_SPLIT: 0
	.section	.text._ZN9rocsolver6v33100L16larf_left_kernelILi1024EdiPdEEvT1_S3_T2_lS3_lPKT0_lS4_lS3_l,"axG",@progbits,_ZN9rocsolver6v33100L16larf_left_kernelILi1024EdiPdEEvT1_S3_T2_lS3_lPKT0_lS4_lS3_l,comdat
	.globl	_ZN9rocsolver6v33100L16larf_left_kernelILi1024EdiPdEEvT1_S3_T2_lS3_lPKT0_lS4_lS3_l ; -- Begin function _ZN9rocsolver6v33100L16larf_left_kernelILi1024EdiPdEEvT1_S3_T2_lS3_lPKT0_lS4_lS3_l
	.p2align	8
	.type	_ZN9rocsolver6v33100L16larf_left_kernelILi1024EdiPdEEvT1_S3_T2_lS3_lPKT0_lS4_lS3_l,@function
_ZN9rocsolver6v33100L16larf_left_kernelILi1024EdiPdEEvT1_S3_T2_lS3_lPKT0_lS4_lS3_l: ; @_ZN9rocsolver6v33100L16larf_left_kernelILi1024EdiPdEEvT1_S3_T2_lS3_lPKT0_lS4_lS3_l
; %bb.0:
	s_load_dword s9, s[4:5], 0x0
	s_load_dwordx2 s[2:3], s[4:5], 0x40
	s_load_dword s20, s[4:5], 0x48
	s_load_dwordx2 s[10:11], s[4:5], 0x50
	s_load_dwordx8 s[12:19], s[4:5], 0x20
	s_ashr_i32 s25, s8, 31
	s_waitcnt lgkmcnt(0)
	v_cmp_gt_i32_e64 s[0:1], s9, v0
	v_pk_mov_b32 v[2:3], 0, 0
	s_mul_i32 s22, s10, s25
	s_mul_hi_u32 s23, s10, s8
	s_mul_i32 s24, s11, s8
	s_mul_i32 s6, s10, s8
	s_mul_hi_i32 s11, s7, s20
	s_mul_i32 s10, s7, s20
	s_and_saveexec_b64 s[20:21], s[0:1]
	s_cbranch_execz .LBB65_6
; %bb.1:
	s_load_dword s26, s[4:5], 0x18
	s_load_dwordx4 s[28:31], s[4:5], 0x8
	s_sub_i32 s4, 1, s9
	s_mul_hi_u32 s33, s12, s8
	s_mul_i32 s13, s13, s8
	s_waitcnt lgkmcnt(0)
	s_ashr_i32 s27, s26, 31
	s_mul_i32 s7, s4, s26
	v_cmp_lt_i64_e64 s[4:5], s[26:27], 1
	s_and_b64 s[4:5], s[4:5], exec
	s_cselect_b32 s4, s7, 0
	s_mul_i32 s7, s12, s25
	s_add_i32 s7, s33, s7
	s_ashr_i32 s5, s4, 31
	s_add_i32 s13, s7, s13
	s_mul_i32 s12, s12, s8
	s_lshl_b64 s[12:13], s[12:13], 3
	s_lshl_b64 s[30:31], s[30:31], 3
	;; [unrolled: 1-line block ×3, first 2 shown]
	s_add_u32 s4, s28, s4
	s_addc_u32 s5, s29, s5
	s_add_u32 s4, s4, s30
	s_addc_u32 s5, s5, s31
	v_mad_i64_i32 v[2:3], s[34:35], s26, v0, 0
	s_add_u32 s4, s4, s12
	v_lshl_add_u32 v1, v0, 3, 0
	v_lshlrev_b64 v[2:3], 3, v[2:3]
	s_addc_u32 s5, s5, s13
	v_add_u32_e32 v1, 0x80, v1
	v_mov_b32_e32 v4, s5
	v_add_co_u32_e32 v2, vcc, s4, v2
	s_lshl_b64 s[12:13], s[26:27], 13
	v_addc_co_u32_e32 v3, vcc, v4, v3, vcc
	s_mov_b64 s[4:5], 0
	v_mov_b32_e32 v4, s13
	v_mov_b32_e32 v5, v1
	v_mov_b32_e32 v6, v0
.LBB65_2:                               ; =>This Inner Loop Header: Depth=1
	global_load_dwordx2 v[8:9], v[2:3], off
	v_add_co_u32_e32 v2, vcc, s12, v2
	v_add_u32_e32 v6, 0x400, v6
	v_addc_co_u32_e32 v3, vcc, v3, v4, vcc
	v_cmp_le_i32_e32 vcc, s9, v6
	s_or_b64 s[4:5], vcc, s[4:5]
	s_waitcnt vmcnt(0)
	ds_write_b64 v5, v[8:9]
	v_add_u32_e32 v5, 0x2000, v5
	s_andn2_b64 exec, exec, s[4:5]
	s_cbranch_execnz .LBB65_2
; %bb.3:
	s_or_b64 exec, exec, s[4:5]
	s_add_i32 s4, s23, s22
	s_add_i32 s7, s4, s24
	s_lshl_b64 s[4:5], s[6:7], 3
	s_lshl_b64 s[12:13], s[10:11], 3
	s_add_u32 s7, s4, s12
	s_addc_u32 s12, s5, s13
	s_lshl_b64 s[4:5], s[2:3], 3
	s_add_u32 s4, s7, s4
	s_addc_u32 s5, s12, s5
	s_add_u32 s4, s18, s4
	v_lshlrev_b32_e32 v2, 3, v0
	s_addc_u32 s5, s19, s5
	v_mov_b32_e32 v3, s5
	v_add_co_u32_e32 v4, vcc, s4, v2
	v_addc_co_u32_e32 v5, vcc, 0, v3, vcc
	s_mov_b64 s[4:5], 0
	v_pk_mov_b32 v[2:3], 0, 0
	v_mov_b32_e32 v6, v0
.LBB65_4:                               ; =>This Inner Loop Header: Depth=1
	global_load_dwordx2 v[8:9], v[4:5], off
	ds_read_b64 v[10:11], v1
	v_add_co_u32_e32 v4, vcc, 0x2000, v4
	v_add_u32_e32 v6, 0x400, v6
	v_addc_co_u32_e32 v5, vcc, 0, v5, vcc
	v_cmp_le_i32_e32 vcc, s9, v6
	v_add_u32_e32 v1, 0x2000, v1
	s_or_b64 s[4:5], vcc, s[4:5]
	s_waitcnt vmcnt(0) lgkmcnt(0)
	v_mul_f64 v[8:9], v[8:9], v[10:11]
	v_add_f64 v[2:3], v[2:3], v[8:9]
	s_andn2_b64 exec, exec, s[4:5]
	s_cbranch_execnz .LBB65_4
; %bb.5:
	s_or_b64 exec, exec, s[4:5]
.LBB65_6:
	s_or_b64 exec, exec, s[20:21]
	v_mbcnt_lo_u32_b32 v1, -1, 0
	v_mbcnt_hi_u32_b32 v1, -1, v1
	v_and_b32_e32 v6, 63, v1
	v_cmp_ne_u32_e32 vcc, 63, v6
	v_addc_co_u32_e32 v4, vcc, 0, v1, vcc
	v_lshlrev_b32_e32 v5, 2, v4
	ds_bpermute_b32 v4, v5, v2
	ds_bpermute_b32 v5, v5, v3
	v_cmp_gt_u32_e32 vcc, 62, v6
	s_waitcnt lgkmcnt(0)
	v_add_f64 v[2:3], v[2:3], v[4:5]
	v_cndmask_b32_e64 v4, 0, 1, vcc
	v_lshlrev_b32_e32 v4, 1, v4
	v_add_lshl_u32 v5, v4, v1, 2
	ds_bpermute_b32 v4, v5, v2
	ds_bpermute_b32 v5, v5, v3
	v_cmp_gt_u32_e32 vcc, 60, v6
	s_waitcnt lgkmcnt(0)
	v_add_f64 v[2:3], v[2:3], v[4:5]
	v_cndmask_b32_e64 v4, 0, 1, vcc
	v_lshlrev_b32_e32 v4, 2, v4
	v_add_lshl_u32 v5, v4, v1, 2
	;; [unrolled: 8-line block ×5, first 2 shown]
	ds_bpermute_b32 v4, v1, v2
	ds_bpermute_b32 v5, v1, v3
	v_and_b32_e32 v1, 63, v0
	v_cmp_eq_u32_e32 vcc, 0, v1
	s_waitcnt lgkmcnt(0)
	v_add_f64 v[2:3], v[2:3], v[4:5]
	s_and_saveexec_b64 s[4:5], vcc
	s_cbranch_execz .LBB65_8
; %bb.7:
	v_lshrrev_b32_e32 v1, 3, v0
	v_add_u32_e32 v1, 0, v1
	ds_write_b64 v1, v[2:3]
.LBB65_8:
	s_or_b64 exec, exec, s[4:5]
	v_cmp_eq_u32_e32 vcc, 0, v0
	s_waitcnt lgkmcnt(0)
	s_barrier
	s_and_saveexec_b64 s[4:5], vcc
	s_cbranch_execz .LBB65_10
; %bb.9:
	v_mov_b32_e32 v1, 0
	ds_read2_b64 v[4:7], v1 offset0:1 offset1:2
	ds_read2_b64 v[8:11], v1 offset0:3 offset1:4
	;; [unrolled: 1-line block ×4, first 2 shown]
	s_waitcnt lgkmcnt(3)
	v_add_f64 v[2:3], v[2:3], v[4:5]
	v_add_f64 v[2:3], v[2:3], v[6:7]
	s_waitcnt lgkmcnt(2)
	v_add_f64 v[2:3], v[2:3], v[8:9]
	v_add_f64 v[2:3], v[2:3], v[10:11]
	s_waitcnt lgkmcnt(1)
	v_add_f64 v[6:7], v[2:3], v[12:13]
	ds_read2_b64 v[2:5], v1 offset0:9 offset1:10
	v_add_f64 v[6:7], v[6:7], v[14:15]
	s_waitcnt lgkmcnt(1)
	v_add_f64 v[6:7], v[6:7], v[16:17]
	v_add_f64 v[10:11], v[6:7], v[18:19]
	ds_read2_b64 v[6:9], v1 offset0:11 offset1:12
	s_waitcnt lgkmcnt(1)
	v_add_f64 v[2:3], v[10:11], v[2:3]
	ds_read2_b64 v[10:13], v1 offset0:13 offset1:14
	v_add_f64 v[2:3], v[2:3], v[4:5]
	ds_read_b64 v[4:5], v1 offset:120
	s_waitcnt lgkmcnt(2)
	v_add_f64 v[2:3], v[2:3], v[6:7]
	v_add_f64 v[2:3], v[2:3], v[8:9]
	s_waitcnt lgkmcnt(1)
	v_add_f64 v[2:3], v[2:3], v[10:11]
	v_add_f64 v[2:3], v[2:3], v[12:13]
	s_waitcnt lgkmcnt(0)
	v_add_f64 v[2:3], v[2:3], v[4:5]
	ds_write_b64 v1, v[2:3]
.LBB65_10:
	s_or_b64 exec, exec, s[4:5]
	s_waitcnt lgkmcnt(0)
	s_barrier
	s_and_saveexec_b64 s[4:5], s[0:1]
	s_cbranch_execz .LBB65_13
; %bb.11:
	s_mul_i32 s0, s8, s17
	s_mul_hi_u32 s1, s8, s16
	s_add_i32 s0, s1, s0
	s_mul_i32 s1, s25, s16
	s_add_i32 s1, s0, s1
	s_mul_i32 s0, s8, s16
	s_lshl_b64 s[0:1], s[0:1], 3
	s_add_u32 s0, s14, s0
	s_addc_u32 s1, s15, s1
	v_mov_b32_e32 v1, 0
	s_load_dwordx2 s[0:1], s[0:1], 0x0
	ds_read_b64 v[2:3], v1
	s_lshl_b64 s[4:5], s[10:11], 3
	v_lshlrev_b32_e32 v4, 3, v0
	v_add_u32_e32 v1, 0, v4
	v_add_u32_e32 v1, 0x80, v1
	s_waitcnt lgkmcnt(0)
	v_mul_f64 v[2:3], v[2:3], -s[0:1]
	s_add_i32 s0, s23, s22
	s_add_i32 s7, s0, s24
	s_lshl_b64 s[0:1], s[6:7], 3
	s_add_u32 s4, s0, s4
	s_addc_u32 s5, s1, s5
	s_lshl_b64 s[0:1], s[2:3], 3
	s_add_u32 s0, s4, s0
	s_addc_u32 s1, s5, s1
	s_add_u32 s0, s18, s0
	s_addc_u32 s1, s19, s1
	v_mov_b32_e32 v5, s1
	v_add_co_u32_e32 v4, vcc, s0, v4
	v_addc_co_u32_e32 v5, vcc, 0, v5, vcc
	s_mov_b64 s[0:1], 0
.LBB65_12:                              ; =>This Inner Loop Header: Depth=1
	global_load_dwordx2 v[6:7], v[4:5], off
	ds_read_b64 v[8:9], v1
	v_add_u32_e32 v0, 0x400, v0
	v_cmp_le_i32_e32 vcc, s9, v0
	s_or_b64 s[0:1], vcc, s[0:1]
	v_add_u32_e32 v1, 0x2000, v1
	s_waitcnt vmcnt(0) lgkmcnt(0)
	v_fmac_f64_e32 v[6:7], v[2:3], v[8:9]
	global_store_dwordx2 v[4:5], v[6:7], off
	v_add_co_u32_e32 v4, vcc, 0x2000, v4
	v_addc_co_u32_e32 v5, vcc, 0, v5, vcc
	s_andn2_b64 exec, exec, s[0:1]
	s_cbranch_execnz .LBB65_12
.LBB65_13:
	s_endpgm
	.section	.rodata,"a",@progbits
	.p2align	6, 0x0
	.amdhsa_kernel _ZN9rocsolver6v33100L16larf_left_kernelILi1024EdiPdEEvT1_S3_T2_lS3_lPKT0_lS4_lS3_l
		.amdhsa_group_segment_fixed_size 0
		.amdhsa_private_segment_fixed_size 0
		.amdhsa_kernarg_size 88
		.amdhsa_user_sgpr_count 6
		.amdhsa_user_sgpr_private_segment_buffer 1
		.amdhsa_user_sgpr_dispatch_ptr 0
		.amdhsa_user_sgpr_queue_ptr 0
		.amdhsa_user_sgpr_kernarg_segment_ptr 1
		.amdhsa_user_sgpr_dispatch_id 0
		.amdhsa_user_sgpr_flat_scratch_init 0
		.amdhsa_user_sgpr_kernarg_preload_length 0
		.amdhsa_user_sgpr_kernarg_preload_offset 0
		.amdhsa_user_sgpr_private_segment_size 0
		.amdhsa_uses_dynamic_stack 0
		.amdhsa_system_sgpr_private_segment_wavefront_offset 0
		.amdhsa_system_sgpr_workgroup_id_x 1
		.amdhsa_system_sgpr_workgroup_id_y 1
		.amdhsa_system_sgpr_workgroup_id_z 1
		.amdhsa_system_sgpr_workgroup_info 0
		.amdhsa_system_vgpr_workitem_id 0
		.amdhsa_next_free_vgpr 20
		.amdhsa_next_free_sgpr 36
		.amdhsa_accum_offset 20
		.amdhsa_reserve_vcc 1
		.amdhsa_reserve_flat_scratch 0
		.amdhsa_float_round_mode_32 0
		.amdhsa_float_round_mode_16_64 0
		.amdhsa_float_denorm_mode_32 3
		.amdhsa_float_denorm_mode_16_64 3
		.amdhsa_dx10_clamp 1
		.amdhsa_ieee_mode 1
		.amdhsa_fp16_overflow 0
		.amdhsa_tg_split 0
		.amdhsa_exception_fp_ieee_invalid_op 0
		.amdhsa_exception_fp_denorm_src 0
		.amdhsa_exception_fp_ieee_div_zero 0
		.amdhsa_exception_fp_ieee_overflow 0
		.amdhsa_exception_fp_ieee_underflow 0
		.amdhsa_exception_fp_ieee_inexact 0
		.amdhsa_exception_int_div_zero 0
	.end_amdhsa_kernel
	.section	.text._ZN9rocsolver6v33100L16larf_left_kernelILi1024EdiPdEEvT1_S3_T2_lS3_lPKT0_lS4_lS3_l,"axG",@progbits,_ZN9rocsolver6v33100L16larf_left_kernelILi1024EdiPdEEvT1_S3_T2_lS3_lPKT0_lS4_lS3_l,comdat
.Lfunc_end65:
	.size	_ZN9rocsolver6v33100L16larf_left_kernelILi1024EdiPdEEvT1_S3_T2_lS3_lPKT0_lS4_lS3_l, .Lfunc_end65-_ZN9rocsolver6v33100L16larf_left_kernelILi1024EdiPdEEvT1_S3_T2_lS3_lPKT0_lS4_lS3_l
                                        ; -- End function
	.section	.AMDGPU.csdata,"",@progbits
; Kernel info:
; codeLenInByte = 1348
; NumSgprs: 40
; NumVgprs: 20
; NumAgprs: 0
; TotalNumVgprs: 20
; ScratchSize: 0
; MemoryBound: 0
; FloatMode: 240
; IeeeMode: 1
; LDSByteSize: 0 bytes/workgroup (compile time only)
; SGPRBlocks: 4
; VGPRBlocks: 2
; NumSGPRsForWavesPerEU: 40
; NumVGPRsForWavesPerEU: 20
; AccumOffset: 20
; Occupancy: 8
; WaveLimiterHint : 0
; COMPUTE_PGM_RSRC2:SCRATCH_EN: 0
; COMPUTE_PGM_RSRC2:USER_SGPR: 6
; COMPUTE_PGM_RSRC2:TRAP_HANDLER: 0
; COMPUTE_PGM_RSRC2:TGID_X_EN: 1
; COMPUTE_PGM_RSRC2:TGID_Y_EN: 1
; COMPUTE_PGM_RSRC2:TGID_Z_EN: 1
; COMPUTE_PGM_RSRC2:TIDIG_COMP_CNT: 0
; COMPUTE_PGM_RSRC3_GFX90A:ACCUM_OFFSET: 4
; COMPUTE_PGM_RSRC3_GFX90A:TG_SPLIT: 0
	.section	.text._ZN9rocsolver6v33100L17larf_right_kernelILi1024EdiPdEEvT1_S3_T2_lS3_lPKT0_lS4_lS3_l,"axG",@progbits,_ZN9rocsolver6v33100L17larf_right_kernelILi1024EdiPdEEvT1_S3_T2_lS3_lPKT0_lS4_lS3_l,comdat
	.globl	_ZN9rocsolver6v33100L17larf_right_kernelILi1024EdiPdEEvT1_S3_T2_lS3_lPKT0_lS4_lS3_l ; -- Begin function _ZN9rocsolver6v33100L17larf_right_kernelILi1024EdiPdEEvT1_S3_T2_lS3_lPKT0_lS4_lS3_l
	.p2align	8
	.type	_ZN9rocsolver6v33100L17larf_right_kernelILi1024EdiPdEEvT1_S3_T2_lS3_lPKT0_lS4_lS3_l,@function
_ZN9rocsolver6v33100L17larf_right_kernelILi1024EdiPdEEvT1_S3_T2_lS3_lPKT0_lS4_lS3_l: ; @_ZN9rocsolver6v33100L17larf_right_kernelILi1024EdiPdEEvT1_S3_T2_lS3_lPKT0_lS4_lS3_l
; %bb.0:
	s_load_dword s9, s[4:5], 0x4
	s_load_dwordx8 s[12:19], s[4:5], 0x20
	s_load_dwordx2 s[10:11], s[4:5], 0x40
	s_load_dword s2, s[4:5], 0x48
	s_load_dwordx2 s[0:1], s[4:5], 0x50
	s_ashr_i32 s27, s8, 31
	s_mov_b32 s6, s7
	s_ashr_i32 s7, s7, 31
	s_waitcnt lgkmcnt(0)
	v_cmp_gt_i32_e32 vcc, s9, v0
	v_pk_mov_b32 v[2:3], 0, 0
	v_lshl_add_u32 v1, v0, 3, 0
	s_mul_i32 s24, s0, s27
	s_mul_hi_u32 s25, s0, s8
	s_mul_i32 s26, s1, s8
	s_mul_i32 s20, s0, s8
	s_and_saveexec_b64 s[22:23], vcc
	s_cbranch_execz .LBB66_6
; %bb.1:
	s_load_dword s34, s[4:5], 0x18
	s_load_dwordx4 s[28:31], s[4:5], 0x8
	s_sub_i32 s0, 1, s9
	s_mul_hi_u32 s4, s12, s8
	v_add_u32_e32 v6, 0x80, v1
	s_waitcnt lgkmcnt(0)
	s_ashr_i32 s35, s34, 31
	s_mul_i32 s3, s0, s34
	v_cmp_lt_i64_e64 s[0:1], s[34:35], 1
	s_and_b64 s[0:1], s[0:1], exec
	s_cselect_b32 s0, s3, 0
	s_mul_i32 s3, s12, s27
	s_add_i32 s3, s4, s3
	s_mul_i32 s4, s13, s8
	s_ashr_i32 s1, s0, 31
	s_add_i32 s5, s3, s4
	s_mul_i32 s4, s12, s8
	v_mad_i64_i32 v[2:3], s[12:13], s34, v0, 0
	s_lshl_b64 s[4:5], s[4:5], 3
	s_lshl_b64 s[12:13], s[30:31], 3
	s_lshl_b64 s[0:1], s[0:1], 3
	s_add_u32 s0, s28, s0
	s_addc_u32 s1, s29, s1
	s_add_u32 s0, s0, s12
	s_addc_u32 s1, s1, s13
	s_add_u32 s0, s0, s4
	v_lshlrev_b64 v[2:3], 3, v[2:3]
	s_addc_u32 s1, s1, s5
	v_mov_b32_e32 v4, s1
	v_add_co_u32_e64 v2, s[0:1], s0, v2
	s_lshl_b64 s[12:13], s[34:35], 13
	v_addc_co_u32_e64 v3, s[0:1], v4, v3, s[0:1]
	s_mov_b64 s[4:5], 0
	v_mov_b32_e32 v4, s13
	v_mov_b32_e32 v5, v6
	;; [unrolled: 1-line block ×3, first 2 shown]
.LBB66_2:                               ; =>This Inner Loop Header: Depth=1
	global_load_dwordx2 v[8:9], v[2:3], off
	v_add_co_u32_e64 v2, s[0:1], s12, v2
	v_add_u32_e32 v7, 0x400, v7
	v_addc_co_u32_e64 v3, s[0:1], v3, v4, s[0:1]
	v_cmp_le_i32_e64 s[0:1], s9, v7
	s_or_b64 s[4:5], s[0:1], s[4:5]
	s_waitcnt vmcnt(0)
	ds_write_b64 v5, v[8:9]
	v_add_u32_e32 v5, 0x2000, v5
	s_andn2_b64 exec, exec, s[4:5]
	s_cbranch_execnz .LBB66_2
; %bb.3:
	s_or_b64 exec, exec, s[4:5]
	s_add_i32 s0, s25, s24
	s_add_i32 s21, s0, s26
	v_mad_i64_i32 v[2:3], s[4:5], s2, v0, 0
	s_ashr_i32 s3, s2, 31
	s_lshl_b64 s[0:1], s[20:21], 3
	s_lshl_b64 s[4:5], s[10:11], 3
	s_lshl_b64 s[12:13], s[6:7], 3
	s_add_u32 s12, s18, s12
	s_addc_u32 s13, s19, s13
	s_add_u32 s4, s12, s4
	s_addc_u32 s5, s13, s5
	s_add_u32 s0, s4, s0
	v_lshlrev_b64 v[2:3], 3, v[2:3]
	s_addc_u32 s1, s5, s1
	v_mov_b32_e32 v5, s1
	v_add_co_u32_e64 v4, s[0:1], s0, v2
	s_lshl_b64 s[12:13], s[2:3], 13
	v_addc_co_u32_e64 v5, s[0:1], v5, v3, s[0:1]
	s_mov_b64 s[4:5], 0
	v_pk_mov_b32 v[2:3], 0, 0
	v_mov_b32_e32 v7, s13
	v_mov_b32_e32 v8, v0
.LBB66_4:                               ; =>This Inner Loop Header: Depth=1
	global_load_dwordx2 v[10:11], v[4:5], off
	ds_read_b64 v[12:13], v6
	v_add_co_u32_e64 v4, s[0:1], s12, v4
	v_add_u32_e32 v8, 0x400, v8
	v_addc_co_u32_e64 v5, s[0:1], v5, v7, s[0:1]
	v_cmp_le_i32_e64 s[0:1], s9, v8
	v_add_u32_e32 v6, 0x2000, v6
	s_or_b64 s[4:5], s[0:1], s[4:5]
	s_waitcnt vmcnt(0) lgkmcnt(0)
	v_mul_f64 v[10:11], v[10:11], v[12:13]
	v_add_f64 v[2:3], v[2:3], v[10:11]
	s_andn2_b64 exec, exec, s[4:5]
	s_cbranch_execnz .LBB66_4
; %bb.5:
	s_or_b64 exec, exec, s[4:5]
.LBB66_6:
	s_or_b64 exec, exec, s[22:23]
	v_mbcnt_lo_u32_b32 v4, -1, 0
	v_mbcnt_hi_u32_b32 v6, -1, v4
	v_and_b32_e32 v7, 63, v6
	v_cmp_ne_u32_e64 s[0:1], 63, v7
	v_addc_co_u32_e64 v4, s[0:1], 0, v6, s[0:1]
	v_lshlrev_b32_e32 v5, 2, v4
	ds_bpermute_b32 v4, v5, v2
	ds_bpermute_b32 v5, v5, v3
	v_cmp_gt_u32_e64 s[0:1], 62, v7
	s_waitcnt lgkmcnt(0)
	v_add_f64 v[2:3], v[2:3], v[4:5]
	v_cndmask_b32_e64 v4, 0, 1, s[0:1]
	v_lshlrev_b32_e32 v4, 1, v4
	v_add_lshl_u32 v5, v4, v6, 2
	ds_bpermute_b32 v4, v5, v2
	ds_bpermute_b32 v5, v5, v3
	v_cmp_gt_u32_e64 s[0:1], 60, v7
	s_waitcnt lgkmcnt(0)
	v_add_f64 v[2:3], v[2:3], v[4:5]
	v_cndmask_b32_e64 v4, 0, 1, s[0:1]
	v_lshlrev_b32_e32 v4, 2, v4
	v_add_lshl_u32 v5, v4, v6, 2
	;; [unrolled: 8-line block ×5, first 2 shown]
	ds_bpermute_b32 v4, v5, v2
	ds_bpermute_b32 v5, v5, v3
	s_waitcnt lgkmcnt(0)
	v_add_f64 v[2:3], v[2:3], v[4:5]
	v_and_b32_e32 v4, 63, v0
	v_cmp_eq_u32_e64 s[0:1], 0, v4
	s_and_saveexec_b64 s[4:5], s[0:1]
	s_cbranch_execz .LBB66_8
; %bb.7:
	v_lshrrev_b32_e32 v4, 3, v0
	v_add_u32_e32 v4, 0, v4
	ds_write_b64 v4, v[2:3]
.LBB66_8:
	s_or_b64 exec, exec, s[4:5]
	v_cmp_eq_u32_e64 s[0:1], 0, v0
	s_waitcnt lgkmcnt(0)
	s_barrier
	s_and_saveexec_b64 s[4:5], s[0:1]
	s_cbranch_execz .LBB66_10
; %bb.9:
	v_mov_b32_e32 v20, 0
	ds_read2_b64 v[4:7], v20 offset0:1 offset1:2
	ds_read2_b64 v[8:11], v20 offset0:3 offset1:4
	;; [unrolled: 1-line block ×4, first 2 shown]
	s_waitcnt lgkmcnt(3)
	v_add_f64 v[2:3], v[2:3], v[4:5]
	v_add_f64 v[2:3], v[2:3], v[6:7]
	s_waitcnt lgkmcnt(2)
	v_add_f64 v[2:3], v[2:3], v[8:9]
	v_add_f64 v[2:3], v[2:3], v[10:11]
	s_waitcnt lgkmcnt(1)
	v_add_f64 v[6:7], v[2:3], v[12:13]
	ds_read2_b64 v[2:5], v20 offset0:9 offset1:10
	v_add_f64 v[6:7], v[6:7], v[14:15]
	s_waitcnt lgkmcnt(1)
	v_add_f64 v[6:7], v[6:7], v[16:17]
	v_add_f64 v[10:11], v[6:7], v[18:19]
	ds_read2_b64 v[6:9], v20 offset0:11 offset1:12
	s_waitcnt lgkmcnt(1)
	v_add_f64 v[2:3], v[10:11], v[2:3]
	ds_read2_b64 v[10:13], v20 offset0:13 offset1:14
	v_add_f64 v[2:3], v[2:3], v[4:5]
	ds_read_b64 v[4:5], v20 offset:120
	s_waitcnt lgkmcnt(2)
	v_add_f64 v[2:3], v[2:3], v[6:7]
	v_add_f64 v[2:3], v[2:3], v[8:9]
	s_waitcnt lgkmcnt(1)
	v_add_f64 v[2:3], v[2:3], v[10:11]
	v_add_f64 v[2:3], v[2:3], v[12:13]
	s_waitcnt lgkmcnt(0)
	v_add_f64 v[2:3], v[2:3], v[4:5]
	ds_write_b64 v20, v[2:3]
.LBB66_10:
	s_or_b64 exec, exec, s[4:5]
	s_waitcnt lgkmcnt(0)
	s_barrier
	s_and_saveexec_b64 s[0:1], vcc
	s_cbranch_execz .LBB66_13
; %bb.11:
	s_mul_i32 s0, s8, s17
	s_mul_hi_u32 s1, s8, s16
	s_add_i32 s0, s1, s0
	s_mul_i32 s1, s27, s16
	s_add_i32 s1, s0, s1
	s_mul_i32 s0, s8, s16
	s_lshl_b64 s[0:1], s[0:1], 3
	s_add_u32 s0, s14, s0
	s_addc_u32 s1, s15, s1
	v_mov_b32_e32 v2, 0
	s_load_dwordx2 s[0:1], s[0:1], 0x0
	ds_read_b64 v[2:3], v2
	v_mad_i64_i32 v[4:5], s[4:5], s2, v0, 0
	s_ashr_i32 s3, s2, 31
	s_lshl_b64 s[4:5], s[10:11], 3
	s_waitcnt lgkmcnt(0)
	v_mul_f64 v[2:3], v[2:3], -s[0:1]
	s_add_i32 s0, s25, s24
	s_add_i32 s21, s0, s26
	s_lshl_b64 s[0:1], s[20:21], 3
	s_lshl_b64 s[6:7], s[6:7], 3
	s_add_u32 s6, s18, s6
	s_addc_u32 s7, s19, s7
	s_add_u32 s4, s6, s4
	s_addc_u32 s5, s7, s5
	s_add_u32 s0, s4, s0
	v_lshlrev_b64 v[4:5], 3, v[4:5]
	s_addc_u32 s1, s5, s1
	v_mov_b32_e32 v6, s1
	v_add_co_u32_e32 v4, vcc, s0, v4
	s_lshl_b64 s[0:1], s[2:3], 13
	v_add_u32_e32 v1, 0x80, v1
	v_addc_co_u32_e32 v5, vcc, v6, v5, vcc
	s_mov_b64 s[2:3], 0
	v_mov_b32_e32 v6, s1
.LBB66_12:                              ; =>This Inner Loop Header: Depth=1
	global_load_dwordx2 v[8:9], v[4:5], off
	ds_read_b64 v[10:11], v1
	v_add_u32_e32 v0, 0x400, v0
	v_cmp_le_i32_e32 vcc, s9, v0
	s_or_b64 s[2:3], vcc, s[2:3]
	v_add_u32_e32 v1, 0x2000, v1
	s_waitcnt vmcnt(0) lgkmcnt(0)
	v_fmac_f64_e32 v[8:9], v[2:3], v[10:11]
	global_store_dwordx2 v[4:5], v[8:9], off
	v_add_co_u32_e32 v4, vcc, s0, v4
	v_addc_co_u32_e32 v5, vcc, v5, v6, vcc
	s_andn2_b64 exec, exec, s[2:3]
	s_cbranch_execnz .LBB66_12
.LBB66_13:
	s_endpgm
	.section	.rodata,"a",@progbits
	.p2align	6, 0x0
	.amdhsa_kernel _ZN9rocsolver6v33100L17larf_right_kernelILi1024EdiPdEEvT1_S3_T2_lS3_lPKT0_lS4_lS3_l
		.amdhsa_group_segment_fixed_size 0
		.amdhsa_private_segment_fixed_size 0
		.amdhsa_kernarg_size 88
		.amdhsa_user_sgpr_count 6
		.amdhsa_user_sgpr_private_segment_buffer 1
		.amdhsa_user_sgpr_dispatch_ptr 0
		.amdhsa_user_sgpr_queue_ptr 0
		.amdhsa_user_sgpr_kernarg_segment_ptr 1
		.amdhsa_user_sgpr_dispatch_id 0
		.amdhsa_user_sgpr_flat_scratch_init 0
		.amdhsa_user_sgpr_kernarg_preload_length 0
		.amdhsa_user_sgpr_kernarg_preload_offset 0
		.amdhsa_user_sgpr_private_segment_size 0
		.amdhsa_uses_dynamic_stack 0
		.amdhsa_system_sgpr_private_segment_wavefront_offset 0
		.amdhsa_system_sgpr_workgroup_id_x 1
		.amdhsa_system_sgpr_workgroup_id_y 1
		.amdhsa_system_sgpr_workgroup_id_z 1
		.amdhsa_system_sgpr_workgroup_info 0
		.amdhsa_system_vgpr_workitem_id 0
		.amdhsa_next_free_vgpr 21
		.amdhsa_next_free_sgpr 36
		.amdhsa_accum_offset 24
		.amdhsa_reserve_vcc 1
		.amdhsa_reserve_flat_scratch 0
		.amdhsa_float_round_mode_32 0
		.amdhsa_float_round_mode_16_64 0
		.amdhsa_float_denorm_mode_32 3
		.amdhsa_float_denorm_mode_16_64 3
		.amdhsa_dx10_clamp 1
		.amdhsa_ieee_mode 1
		.amdhsa_fp16_overflow 0
		.amdhsa_tg_split 0
		.amdhsa_exception_fp_ieee_invalid_op 0
		.amdhsa_exception_fp_denorm_src 0
		.amdhsa_exception_fp_ieee_div_zero 0
		.amdhsa_exception_fp_ieee_overflow 0
		.amdhsa_exception_fp_ieee_underflow 0
		.amdhsa_exception_fp_ieee_inexact 0
		.amdhsa_exception_int_div_zero 0
	.end_amdhsa_kernel
	.section	.text._ZN9rocsolver6v33100L17larf_right_kernelILi1024EdiPdEEvT1_S3_T2_lS3_lPKT0_lS4_lS3_l,"axG",@progbits,_ZN9rocsolver6v33100L17larf_right_kernelILi1024EdiPdEEvT1_S3_T2_lS3_lPKT0_lS4_lS3_l,comdat
.Lfunc_end66:
	.size	_ZN9rocsolver6v33100L17larf_right_kernelILi1024EdiPdEEvT1_S3_T2_lS3_lPKT0_lS4_lS3_l, .Lfunc_end66-_ZN9rocsolver6v33100L17larf_right_kernelILi1024EdiPdEEvT1_S3_T2_lS3_lPKT0_lS4_lS3_l
                                        ; -- End function
	.section	.AMDGPU.csdata,"",@progbits
; Kernel info:
; codeLenInByte = 1456
; NumSgprs: 40
; NumVgprs: 21
; NumAgprs: 0
; TotalNumVgprs: 21
; ScratchSize: 0
; MemoryBound: 0
; FloatMode: 240
; IeeeMode: 1
; LDSByteSize: 0 bytes/workgroup (compile time only)
; SGPRBlocks: 4
; VGPRBlocks: 2
; NumSGPRsForWavesPerEU: 40
; NumVGPRsForWavesPerEU: 21
; AccumOffset: 24
; Occupancy: 8
; WaveLimiterHint : 0
; COMPUTE_PGM_RSRC2:SCRATCH_EN: 0
; COMPUTE_PGM_RSRC2:USER_SGPR: 6
; COMPUTE_PGM_RSRC2:TRAP_HANDLER: 0
; COMPUTE_PGM_RSRC2:TGID_X_EN: 1
; COMPUTE_PGM_RSRC2:TGID_Y_EN: 1
; COMPUTE_PGM_RSRC2:TGID_Z_EN: 1
; COMPUTE_PGM_RSRC2:TIDIG_COMP_CNT: 0
; COMPUTE_PGM_RSRC3_GFX90A:ACCUM_OFFSET: 5
; COMPUTE_PGM_RSRC3_GFX90A:TG_SPLIT: 0
	.section	.text._ZN9rocsolver6v33100L12restore_diagIdidPdEEvPT1_llT2_lT0_lS6_,"axG",@progbits,_ZN9rocsolver6v33100L12restore_diagIdidPdEEvPT1_llT2_lT0_lS6_,comdat
	.globl	_ZN9rocsolver6v33100L12restore_diagIdidPdEEvPT1_llT2_lT0_lS6_ ; -- Begin function _ZN9rocsolver6v33100L12restore_diagIdidPdEEvPT1_llT2_lT0_lS6_
	.p2align	8
	.type	_ZN9rocsolver6v33100L12restore_diagIdidPdEEvPT1_llT2_lT0_lS6_,@function
_ZN9rocsolver6v33100L12restore_diagIdidPdEEvPT1_llT2_lT0_lS6_: ; @_ZN9rocsolver6v33100L12restore_diagIdidPdEEvPT1_llT2_lT0_lS6_
; %bb.0:
	s_load_dword s0, s[4:5], 0x4c
	s_load_dword s1, s[4:5], 0x38
	v_bfe_u32 v0, v0, 10, 10
	s_waitcnt lgkmcnt(0)
	s_lshr_b32 s0, s0, 16
	s_mul_i32 s7, s7, s0
	v_add_u32_e32 v0, s7, v0
	v_cmp_gt_i32_e32 vcc, s1, v0
	s_and_saveexec_b64 s[0:1], vcc
	s_cbranch_execz .LBB67_2
; %bb.1:
	s_load_dwordx2 s[0:1], s[4:5], 0x30
	s_load_dwordx2 s[2:3], s[4:5], 0x20
	s_load_dword s7, s[4:5], 0x28
	s_load_dwordx8 s[8:15], s[4:5], 0x0
	s_ashr_i32 s4, s6, 31
	s_waitcnt lgkmcnt(0)
	s_mul_i32 s1, s6, s1
	s_mul_hi_u32 s5, s6, s0
	s_add_i32 s1, s5, s1
	s_mul_i32 s5, s4, s0
	s_add_i32 s1, s1, s5
	s_mul_i32 s0, s6, s0
	s_lshl_b64 s[0:1], s[0:1], 3
	s_add_u32 s5, s14, s0
	s_addc_u32 s14, s15, s1
	s_lshl_b64 s[0:1], s[2:3], 3
	s_add_u32 s2, s5, s0
	s_addc_u32 s3, s14, s1
	s_mul_i32 s0, s6, s13
	s_mul_hi_u32 s1, s6, s12
	s_add_i32 s0, s1, s0
	s_mul_i32 s4, s4, s12
	s_add_i32 s1, s0, s4
	s_mul_i32 s0, s6, s12
	s_lshl_b64 s[0:1], s[0:1], 3
	s_add_u32 s4, s8, s0
	s_addc_u32 s5, s9, s1
	s_lshl_b64 s[0:1], s[10:11], 3
	s_add_u32 s4, s4, s0
	s_addc_u32 s5, s5, s1
	v_mad_u64_u32 v[2:3], s[0:1], v0, s7, v[0:1]
	v_ashrrev_i32_e32 v1, 31, v0
	v_lshlrev_b64 v[0:1], 3, v[0:1]
	v_mov_b32_e32 v3, s5
	v_add_co_u32_e32 v0, vcc, s4, v0
	v_addc_co_u32_e32 v1, vcc, v3, v1, vcc
	global_load_dwordx2 v[0:1], v[0:1], off
	v_ashrrev_i32_e32 v3, 31, v2
	v_lshlrev_b64 v[2:3], 3, v[2:3]
	v_mov_b32_e32 v4, s3
	v_add_co_u32_e32 v2, vcc, s2, v2
	v_addc_co_u32_e32 v3, vcc, v4, v3, vcc
	s_waitcnt vmcnt(0)
	global_store_dwordx2 v[2:3], v[0:1], off
.LBB67_2:
	s_endpgm
	.section	.rodata,"a",@progbits
	.p2align	6, 0x0
	.amdhsa_kernel _ZN9rocsolver6v33100L12restore_diagIdidPdEEvPT1_llT2_lT0_lS6_
		.amdhsa_group_segment_fixed_size 0
		.amdhsa_private_segment_fixed_size 0
		.amdhsa_kernarg_size 320
		.amdhsa_user_sgpr_count 6
		.amdhsa_user_sgpr_private_segment_buffer 1
		.amdhsa_user_sgpr_dispatch_ptr 0
		.amdhsa_user_sgpr_queue_ptr 0
		.amdhsa_user_sgpr_kernarg_segment_ptr 1
		.amdhsa_user_sgpr_dispatch_id 0
		.amdhsa_user_sgpr_flat_scratch_init 0
		.amdhsa_user_sgpr_kernarg_preload_length 0
		.amdhsa_user_sgpr_kernarg_preload_offset 0
		.amdhsa_user_sgpr_private_segment_size 0
		.amdhsa_uses_dynamic_stack 0
		.amdhsa_system_sgpr_private_segment_wavefront_offset 0
		.amdhsa_system_sgpr_workgroup_id_x 1
		.amdhsa_system_sgpr_workgroup_id_y 1
		.amdhsa_system_sgpr_workgroup_id_z 0
		.amdhsa_system_sgpr_workgroup_info 0
		.amdhsa_system_vgpr_workitem_id 1
		.amdhsa_next_free_vgpr 5
		.amdhsa_next_free_sgpr 16
		.amdhsa_accum_offset 8
		.amdhsa_reserve_vcc 1
		.amdhsa_reserve_flat_scratch 0
		.amdhsa_float_round_mode_32 0
		.amdhsa_float_round_mode_16_64 0
		.amdhsa_float_denorm_mode_32 3
		.amdhsa_float_denorm_mode_16_64 3
		.amdhsa_dx10_clamp 1
		.amdhsa_ieee_mode 1
		.amdhsa_fp16_overflow 0
		.amdhsa_tg_split 0
		.amdhsa_exception_fp_ieee_invalid_op 0
		.amdhsa_exception_fp_denorm_src 0
		.amdhsa_exception_fp_ieee_div_zero 0
		.amdhsa_exception_fp_ieee_overflow 0
		.amdhsa_exception_fp_ieee_underflow 0
		.amdhsa_exception_fp_ieee_inexact 0
		.amdhsa_exception_int_div_zero 0
	.end_amdhsa_kernel
	.section	.text._ZN9rocsolver6v33100L12restore_diagIdidPdEEvPT1_llT2_lT0_lS6_,"axG",@progbits,_ZN9rocsolver6v33100L12restore_diagIdidPdEEvPT1_llT2_lT0_lS6_,comdat
.Lfunc_end67:
	.size	_ZN9rocsolver6v33100L12restore_diagIdidPdEEvPT1_llT2_lT0_lS6_, .Lfunc_end67-_ZN9rocsolver6v33100L12restore_diagIdidPdEEvPT1_llT2_lT0_lS6_
                                        ; -- End function
	.section	.AMDGPU.csdata,"",@progbits
; Kernel info:
; codeLenInByte = 268
; NumSgprs: 20
; NumVgprs: 5
; NumAgprs: 0
; TotalNumVgprs: 5
; ScratchSize: 0
; MemoryBound: 0
; FloatMode: 240
; IeeeMode: 1
; LDSByteSize: 0 bytes/workgroup (compile time only)
; SGPRBlocks: 2
; VGPRBlocks: 0
; NumSGPRsForWavesPerEU: 20
; NumVGPRsForWavesPerEU: 5
; AccumOffset: 8
; Occupancy: 8
; WaveLimiterHint : 0
; COMPUTE_PGM_RSRC2:SCRATCH_EN: 0
; COMPUTE_PGM_RSRC2:USER_SGPR: 6
; COMPUTE_PGM_RSRC2:TRAP_HANDLER: 0
; COMPUTE_PGM_RSRC2:TGID_X_EN: 1
; COMPUTE_PGM_RSRC2:TGID_Y_EN: 1
; COMPUTE_PGM_RSRC2:TGID_Z_EN: 0
; COMPUTE_PGM_RSRC2:TIDIG_COMP_CNT: 1
; COMPUTE_PGM_RSRC3_GFX90A:ACCUM_OFFSET: 1
; COMPUTE_PGM_RSRC3_GFX90A:TG_SPLIT: 0
	.section	.text._ZN9rocsolver6v33100L14set_triangularIdPdTnNSt9enable_ifIXnt18rocblas_is_complexIT_EEiE4typeELi0EEEviiT0_iilPS4_lS8_il15rocblas_direct_15rocblas_storev_b,"axG",@progbits,_ZN9rocsolver6v33100L14set_triangularIdPdTnNSt9enable_ifIXnt18rocblas_is_complexIT_EEiE4typeELi0EEEviiT0_iilPS4_lS8_il15rocblas_direct_15rocblas_storev_b,comdat
	.globl	_ZN9rocsolver6v33100L14set_triangularIdPdTnNSt9enable_ifIXnt18rocblas_is_complexIT_EEiE4typeELi0EEEviiT0_iilPS4_lS8_il15rocblas_direct_15rocblas_storev_b ; -- Begin function _ZN9rocsolver6v33100L14set_triangularIdPdTnNSt9enable_ifIXnt18rocblas_is_complexIT_EEiE4typeELi0EEEviiT0_iilPS4_lS8_il15rocblas_direct_15rocblas_storev_b
	.p2align	8
	.type	_ZN9rocsolver6v33100L14set_triangularIdPdTnNSt9enable_ifIXnt18rocblas_is_complexIT_EEiE4typeELi0EEEviiT0_iilPS4_lS8_il15rocblas_direct_15rocblas_storev_b,@function
_ZN9rocsolver6v33100L14set_triangularIdPdTnNSt9enable_ifIXnt18rocblas_is_complexIT_EEiE4typeELi0EEEviiT0_iilPS4_lS8_il15rocblas_direct_15rocblas_storev_b: ; @_ZN9rocsolver6v33100L14set_triangularIdPdTnNSt9enable_ifIXnt18rocblas_is_complexIT_EEiE4typeELi0EEEviiT0_iilPS4_lS8_il15rocblas_direct_15rocblas_storev_b
; %bb.0:
	s_load_dword s0, s[4:5], 0x64
	s_load_dwordx2 s[20:21], s[4:5], 0x0
	v_and_b32_e32 v1, 0x3ff, v0
	v_bfe_u32 v0, v0, 10, 10
	s_waitcnt lgkmcnt(0)
	s_lshr_b32 s1, s0, 16
	s_and_b32 s0, s0, 0xffff
	s_mul_i32 s6, s6, s0
	s_mul_i32 s7, s7, s1
	v_add_u32_e32 v2, s6, v1
	v_add_u32_e32 v0, s7, v0
	v_max_u32_e32 v1, v2, v0
	v_cmp_gt_u32_e32 vcc, s21, v1
	s_and_saveexec_b64 s[0:1], vcc
	s_cbranch_execz .LBB68_36
; %bb.1:
	s_load_dwordx8 s[12:19], s[4:5], 0x18
	s_load_dword s22, s[4:5], 0x38
	s_load_dwordx2 s[0:1], s[4:5], 0x40
	v_cmp_ne_u32_e32 vcc, v0, v2
	s_waitcnt lgkmcnt(0)
	s_mul_i32 s3, s8, s17
	s_mul_hi_u32 s6, s8, s16
	s_mul_i32 s2, s8, s16
	s_add_i32 s3, s6, s3
	s_lshl_b64 s[2:3], s[2:3], 3
	s_add_u32 s16, s14, s2
	s_mul_i32 s1, s8, s1
	s_mul_hi_u32 s2, s8, s0
	s_addc_u32 s17, s15, s3
	s_add_i32 s1, s2, s1
	s_mul_i32 s0, s8, s0
	s_lshl_b64 s[0:1], s[0:1], 3
	s_add_u32 s14, s18, s0
	s_addc_u32 s15, s19, s1
	s_and_saveexec_b64 s[0:1], vcc
	s_xor_b64 s[10:11], exec, s[0:1]
	s_cbranch_execz .LBB68_34
; %bb.2:
	s_load_dwordx4 s[0:3], s[4:5], 0x8
	s_mul_i32 s9, s8, s13
	s_mul_hi_u32 s13, s8, s12
	s_add_i32 s9, s13, s9
	s_mul_i32 s8, s8, s12
	s_load_dwordx4 s[4:7], s[4:5], 0x48
	s_waitcnt lgkmcnt(0)
	s_ashr_i32 s19, s2, 31
	s_lshl_b64 s[8:9], s[8:9], 3
	s_mov_b32 s18, s2
	s_add_u32 s2, s0, s8
	s_addc_u32 s7, s1, s9
	s_lshl_b64 s[0:1], s[18:19], 3
	s_add_u32 s2, s2, s0
	s_addc_u32 s12, s7, s1
	s_bitcmp1_b32 s6, 0
	s_cselect_b64 s[0:1], -1, 0
	s_xor_b64 s[0:1], s[0:1], -1
	s_mov_b64 s[6:7], -1
	s_cmpk_lg_i32 s4, 0xab
	v_mov_b32_e32 v3, 0
	s_cbranch_scc0 .LBB68_18
; %bb.3:
	v_cmp_le_u32_e32 vcc, v0, v2
	s_and_saveexec_b64 s[6:7], vcc
	s_xor_b64 s[6:7], exec, s[6:7]
	s_cbranch_execz .LBB68_5
; %bb.4:
	v_mad_u64_u32 v[4:5], s[8:9], v2, s22, 0
	s_ashr_i32 s4, s22, 31
	v_mov_b32_e32 v6, v5
	v_mad_u64_u32 v[6:7], s[8:9], v2, s4, v[6:7]
	v_mov_b32_e32 v5, v6
	v_lshlrev_b64 v[4:5], 3, v[4:5]
	v_mov_b32_e32 v1, 0
	v_mov_b32_e32 v6, s15
	v_add_co_u32_e32 v7, vcc, s14, v4
	v_addc_co_u32_e32 v6, vcc, v6, v5, vcc
	v_lshlrev_b64 v[4:5], 3, v[0:1]
	v_add_co_u32_e32 v4, vcc, v7, v4
	v_addc_co_u32_e32 v5, vcc, v6, v5, vcc
	v_mov_b32_e32 v6, v1
	v_mov_b32_e32 v7, v1
	global_store_dwordx2 v[4:5], v[6:7], off
.LBB68_5:
	s_andn2_saveexec_b64 s[6:7], s[6:7]
	s_cbranch_execz .LBB68_17
; %bb.6:
	v_lshlrev_b64 v[4:5], 3, v[2:3]
	v_mov_b32_e32 v1, s17
	v_add_co_u32_e32 v4, vcc, s16, v4
	v_addc_co_u32_e32 v5, vcc, v1, v5, vcc
	global_load_dwordx2 v[4:5], v[4:5], off
	s_cmpk_lg_i32 s5, 0xb5
	s_mov_b64 s[8:9], -1
	s_cbranch_scc0 .LBB68_12
; %bb.7:
	v_mov_b32_e32 v1, 0
	s_andn2_b64 vcc, exec, s[0:1]
	v_lshlrev_b64 v[6:7], 3, v[0:1]
	s_cbranch_vccnz .LBB68_9
; %bb.8:
	s_sub_i32 s4, s20, s21
	v_add_u32_e32 v1, s4, v2
	v_mad_u64_u32 v[8:9], s[8:9], v1, s3, 0
	s_ashr_i32 s4, s3, 31
	v_mov_b32_e32 v10, v9
	v_mad_u64_u32 v[10:11], s[8:9], v1, s4, v[10:11]
	v_mov_b32_e32 v9, v10
	v_lshlrev_b64 v[8:9], 3, v[8:9]
	v_mov_b32_e32 v1, s12
	v_add_co_u32_e32 v8, vcc, s2, v8
	v_addc_co_u32_e32 v1, vcc, v1, v9, vcc
	v_add_co_u32_e32 v8, vcc, v8, v6
	v_addc_co_u32_e32 v9, vcc, v1, v7, vcc
	global_load_dwordx2 v[8:9], v[8:9], off
	v_mad_u64_u32 v[10:11], s[8:9], v2, s22, 0
	s_ashr_i32 s4, s22, 31
	v_mov_b32_e32 v12, v11
	v_mad_u64_u32 v[12:13], s[8:9], v2, s4, v[12:13]
	v_mov_b32_e32 v11, v12
	v_lshlrev_b64 v[10:11], 3, v[10:11]
	v_mov_b32_e32 v1, s15
	v_add_co_u32_e32 v10, vcc, s14, v10
	v_addc_co_u32_e32 v1, vcc, v1, v11, vcc
	v_add_co_u32_e32 v10, vcc, v10, v6
	v_addc_co_u32_e32 v11, vcc, v1, v7, vcc
	s_mov_b64 s[8:9], 0
	s_waitcnt vmcnt(0)
	v_mul_f64 v[8:9], v[8:9], -v[4:5]
	global_store_dwordx2 v[10:11], v[8:9], off
.LBB68_9:
	s_andn2_b64 vcc, exec, s[8:9]
	s_cbranch_vccnz .LBB68_11
; %bb.10:
	v_mad_u64_u32 v[8:9], s[8:9], v2, s22, 0
	s_ashr_i32 s4, s22, 31
	v_mov_b32_e32 v10, v9
	v_mad_u64_u32 v[10:11], s[8:9], v2, s4, v[10:11]
	v_mov_b32_e32 v9, v10
	v_lshlrev_b64 v[8:9], 3, v[8:9]
	v_mov_b32_e32 v1, s15
	v_add_co_u32_e32 v8, vcc, s14, v8
	v_addc_co_u32_e32 v1, vcc, v1, v9, vcc
	v_add_co_u32_e32 v8, vcc, v8, v6
	s_sub_i32 s4, s20, s21
	v_addc_co_u32_e32 v9, vcc, v1, v7, vcc
	v_add_u32_e32 v1, s4, v2
	v_mad_u64_u32 v[12:13], s[8:9], v1, s3, 0
	s_ashr_i32 s4, s3, 31
	v_mov_b32_e32 v14, v13
	v_mad_u64_u32 v[14:15], s[8:9], v1, s4, v[14:15]
	v_mov_b32_e32 v13, v14
	v_lshlrev_b64 v[12:13], 3, v[12:13]
	v_mov_b32_e32 v1, s12
	v_add_co_u32_e32 v12, vcc, s2, v12
	v_addc_co_u32_e32 v1, vcc, v1, v13, vcc
	v_add_co_u32_e32 v6, vcc, v12, v6
	v_addc_co_u32_e32 v7, vcc, v1, v7, vcc
	global_load_dwordx2 v[10:11], v[8:9], off
	s_nop 0
	global_load_dwordx2 v[6:7], v[6:7], off
	s_waitcnt vmcnt(0)
	v_add_f64 v[6:7], v[10:11], v[6:7]
	v_mul_f64 v[6:7], v[6:7], -v[4:5]
	global_store_dwordx2 v[8:9], v[6:7], off
.LBB68_11:
	s_mov_b64 s[8:9], 0
.LBB68_12:
	s_andn2_b64 vcc, exec, s[8:9]
	s_cbranch_vccnz .LBB68_17
; %bb.13:
	s_andn2_b64 vcc, exec, s[0:1]
	s_mov_b64 s[8:9], -1
	s_cbranch_vccnz .LBB68_15
; %bb.14:
	s_sub_i32 s4, s20, s21
	v_mad_u64_u32 v[8:9], s[8:9], v0, s3, 0
	v_add_u32_e32 v6, s4, v2
	s_ashr_i32 s4, s3, 31
	v_mov_b32_e32 v10, v9
	v_mad_u64_u32 v[10:11], s[8:9], v0, s4, v[10:11]
	v_mov_b32_e32 v9, v10
	v_lshlrev_b64 v[8:9], 3, v[8:9]
	v_mov_b32_e32 v7, 0
	v_mov_b32_e32 v1, s12
	v_add_co_u32_e32 v10, vcc, s2, v8
	v_addc_co_u32_e32 v1, vcc, v1, v9, vcc
	v_lshlrev_b64 v[8:9], 3, v[6:7]
	v_add_co_u32_e32 v8, vcc, v10, v8
	v_addc_co_u32_e32 v9, vcc, v1, v9, vcc
	global_load_dwordx2 v[8:9], v[8:9], off
	v_mad_u64_u32 v[10:11], s[8:9], v2, s22, 0
	s_ashr_i32 s4, s22, 31
	v_mov_b32_e32 v6, v11
	v_mov_b32_e32 v1, v7
	v_mad_u64_u32 v[6:7], s[8:9], v2, s4, v[6:7]
	v_mov_b32_e32 v11, v6
	v_lshlrev_b64 v[6:7], 3, v[10:11]
	v_mov_b32_e32 v14, s15
	v_lshlrev_b64 v[12:13], 3, v[0:1]
	v_add_co_u32_e32 v1, vcc, s14, v6
	v_addc_co_u32_e32 v7, vcc, v14, v7, vcc
	v_add_co_u32_e32 v6, vcc, v1, v12
	v_addc_co_u32_e32 v7, vcc, v7, v13, vcc
	s_mov_b64 s[8:9], 0
	s_waitcnt vmcnt(0)
	v_mul_f64 v[8:9], v[8:9], -v[4:5]
	global_store_dwordx2 v[6:7], v[8:9], off
.LBB68_15:
	s_andn2_b64 vcc, exec, s[8:9]
	s_cbranch_vccnz .LBB68_17
; %bb.16:
	v_mad_u64_u32 v[6:7], s[8:9], v2, s22, 0
	s_ashr_i32 s4, s22, 31
	v_mov_b32_e32 v8, v7
	v_mad_u64_u32 v[8:9], s[8:9], v2, s4, v[8:9]
	v_mov_b32_e32 v7, v8
	v_lshlrev_b64 v[6:7], 3, v[6:7]
	s_sub_i32 s4, s20, s21
	v_mad_u64_u32 v[12:13], s[8:9], v0, s3, 0
	v_mov_b32_e32 v1, 0
	v_mov_b32_e32 v8, s15
	v_add_co_u32_e32 v9, vcc, s14, v6
	v_add_u32_e32 v10, s4, v2
	s_ashr_i32 s4, s3, 31
	v_mov_b32_e32 v14, v13
	v_addc_co_u32_e32 v8, vcc, v8, v7, vcc
	v_lshlrev_b64 v[6:7], 3, v[0:1]
	v_mad_u64_u32 v[14:15], s[8:9], v0, s4, v[14:15]
	v_add_co_u32_e32 v6, vcc, v9, v6
	v_mov_b32_e32 v13, v14
	v_addc_co_u32_e32 v7, vcc, v8, v7, vcc
	v_lshlrev_b64 v[12:13], 3, v[12:13]
	v_mov_b32_e32 v11, v1
	v_mov_b32_e32 v1, s12
	v_add_co_u32_e32 v12, vcc, s2, v12
	v_addc_co_u32_e32 v1, vcc, v1, v13, vcc
	v_lshlrev_b64 v[10:11], 3, v[10:11]
	v_add_co_u32_e32 v10, vcc, v12, v10
	v_addc_co_u32_e32 v11, vcc, v1, v11, vcc
	global_load_dwordx2 v[8:9], v[6:7], off
	s_nop 0
	global_load_dwordx2 v[10:11], v[10:11], off
	s_waitcnt vmcnt(0)
	v_add_f64 v[8:9], v[8:9], v[10:11]
	v_mul_f64 v[4:5], v[8:9], -v[4:5]
	global_store_dwordx2 v[6:7], v[4:5], off
.LBB68_17:
	s_or_b64 exec, exec, s[6:7]
	s_mov_b64 s[6:7], 0
.LBB68_18:
	s_andn2_b64 vcc, exec, s[6:7]
	s_cbranch_vccnz .LBB68_34
; %bb.19:
	v_cmp_ge_u32_e32 vcc, v0, v2
	s_and_saveexec_b64 s[6:7], vcc
	s_xor_b64 s[6:7], exec, s[6:7]
	s_cbranch_execz .LBB68_21
; %bb.20:
	s_waitcnt vmcnt(0)
	v_mad_u64_u32 v[4:5], s[8:9], v2, s22, 0
	s_ashr_i32 s4, s22, 31
	v_mov_b32_e32 v6, v5
	v_mad_u64_u32 v[2:3], s[8:9], v2, s4, v[6:7]
	v_mov_b32_e32 v5, v2
	v_lshlrev_b64 v[2:3], 3, v[4:5]
	v_mov_b32_e32 v1, 0
	v_mov_b32_e32 v4, s15
	v_add_co_u32_e32 v5, vcc, s14, v2
	v_addc_co_u32_e32 v4, vcc, v4, v3, vcc
	v_lshlrev_b64 v[2:3], 3, v[0:1]
	v_add_co_u32_e32 v2, vcc, v5, v2
	v_addc_co_u32_e32 v3, vcc, v4, v3, vcc
	v_mov_b32_e32 v0, v1
	global_store_dwordx2 v[2:3], v[0:1], off
                                        ; implicit-def: $vgpr2_vgpr3
                                        ; implicit-def: $vgpr0
.LBB68_21:
	s_andn2_saveexec_b64 s[6:7], s[6:7]
	s_cbranch_execz .LBB68_33
; %bb.22:
	s_waitcnt vmcnt(0)
	v_lshlrev_b64 v[4:5], 3, v[2:3]
	v_mov_b32_e32 v1, s17
	v_add_co_u32_e32 v6, vcc, s16, v4
	v_addc_co_u32_e32 v7, vcc, v1, v5, vcc
	global_load_dwordx2 v[6:7], v[6:7], off
	v_cndmask_b32_e64 v3, 0, 1, s[0:1]
	s_cmpk_lg_i32 s5, 0xb5
	v_mov_b32_e32 v1, 0
	s_mov_b64 s[4:5], -1
	v_cmp_ne_u32_e64 s[0:1], 1, v3
	s_cbranch_scc0 .LBB68_28
; %bb.23:
	s_and_b64 vcc, exec, s[0:1]
	s_cbranch_vccnz .LBB68_25
; %bb.24:
	v_mad_u64_u32 v[8:9], s[4:5], v2, s3, 0
	s_ashr_i32 s8, s3, 31
	v_mov_b32_e32 v10, v9
	v_mad_u64_u32 v[10:11], s[4:5], v2, s8, v[10:11]
	v_mov_b32_e32 v9, v10
	v_lshlrev_b64 v[8:9], 3, v[8:9]
	v_mov_b32_e32 v3, s12
	v_add_co_u32_e32 v10, vcc, s2, v8
	v_addc_co_u32_e32 v3, vcc, v3, v9, vcc
	v_lshlrev_b64 v[8:9], 3, v[0:1]
	v_add_co_u32_e32 v10, vcc, v10, v8
	v_addc_co_u32_e32 v11, vcc, v3, v9, vcc
	global_load_dwordx2 v[10:11], v[10:11], off
	v_mad_u64_u32 v[12:13], s[4:5], v2, s22, 0
	s_ashr_i32 s8, s22, 31
	v_mov_b32_e32 v14, v13
	v_mad_u64_u32 v[14:15], s[4:5], v2, s8, v[14:15]
	v_mov_b32_e32 v13, v14
	v_lshlrev_b64 v[12:13], 3, v[12:13]
	v_mov_b32_e32 v3, s15
	v_add_co_u32_e32 v12, vcc, s14, v12
	v_addc_co_u32_e32 v3, vcc, v3, v13, vcc
	v_add_co_u32_e32 v8, vcc, v12, v8
	v_addc_co_u32_e32 v9, vcc, v3, v9, vcc
	s_mov_b64 s[4:5], 0
	s_waitcnt vmcnt(0)
	v_mul_f64 v[10:11], v[10:11], -v[6:7]
	global_store_dwordx2 v[8:9], v[10:11], off
.LBB68_25:
	s_andn2_b64 vcc, exec, s[4:5]
	s_cbranch_vccnz .LBB68_27
; %bb.26:
	v_mad_u64_u32 v[8:9], s[4:5], v2, s22, 0
	s_ashr_i32 s8, s22, 31
	v_mov_b32_e32 v10, v9
	v_mad_u64_u32 v[10:11], s[4:5], v2, s8, v[10:11]
	v_mov_b32_e32 v9, v10
	v_lshlrev_b64 v[8:9], 3, v[8:9]
	v_mad_u64_u32 v[14:15], s[4:5], v2, s3, 0
	v_mov_b32_e32 v3, s15
	v_add_co_u32_e32 v10, vcc, s14, v8
	s_ashr_i32 s8, s3, 31
	v_mov_b32_e32 v16, v15
	v_addc_co_u32_e32 v3, vcc, v3, v9, vcc
	v_lshlrev_b64 v[8:9], 3, v[0:1]
	v_mad_u64_u32 v[16:17], s[4:5], v2, s8, v[16:17]
	v_add_co_u32_e32 v10, vcc, v10, v8
	v_mov_b32_e32 v15, v16
	v_addc_co_u32_e32 v11, vcc, v3, v9, vcc
	v_lshlrev_b64 v[14:15], 3, v[14:15]
	v_mov_b32_e32 v3, s12
	v_add_co_u32_e32 v14, vcc, s2, v14
	v_addc_co_u32_e32 v3, vcc, v3, v15, vcc
	v_add_co_u32_e32 v8, vcc, v14, v8
	v_addc_co_u32_e32 v9, vcc, v3, v9, vcc
	global_load_dwordx2 v[12:13], v[10:11], off
	s_nop 0
	global_load_dwordx2 v[8:9], v[8:9], off
	s_waitcnt vmcnt(0)
	v_add_f64 v[8:9], v[12:13], v[8:9]
	v_mul_f64 v[8:9], v[8:9], -v[6:7]
	global_store_dwordx2 v[10:11], v[8:9], off
.LBB68_27:
	s_mov_b64 s[4:5], 0
.LBB68_28:
	s_andn2_b64 vcc, exec, s[4:5]
	s_cbranch_vccnz .LBB68_33
; %bb.29:
	s_mov_b64 s[4:5], -1
	s_and_b64 vcc, exec, s[0:1]
	v_lshlrev_b64 v[8:9], 3, v[0:1]
	s_cbranch_vccnz .LBB68_31
; %bb.30:
	v_mad_u64_u32 v[10:11], s[0:1], v0, s3, 0
	s_ashr_i32 s4, s3, 31
	v_mov_b32_e32 v12, v11
	v_mad_u64_u32 v[12:13], s[0:1], v0, s4, v[12:13]
	v_mov_b32_e32 v11, v12
	v_lshlrev_b64 v[10:11], 3, v[10:11]
	v_mov_b32_e32 v1, s12
	v_add_co_u32_e32 v3, vcc, s2, v10
	v_addc_co_u32_e32 v1, vcc, v1, v11, vcc
	v_add_co_u32_e32 v10, vcc, v3, v4
	v_addc_co_u32_e32 v11, vcc, v1, v5, vcc
	global_load_dwordx2 v[10:11], v[10:11], off
	v_mad_u64_u32 v[12:13], s[0:1], v2, s22, 0
	s_ashr_i32 s4, s22, 31
	v_mov_b32_e32 v14, v13
	v_mad_u64_u32 v[14:15], s[0:1], v2, s4, v[14:15]
	v_mov_b32_e32 v13, v14
	v_lshlrev_b64 v[12:13], 3, v[12:13]
	v_mov_b32_e32 v1, s15
	v_add_co_u32_e32 v3, vcc, s14, v12
	v_addc_co_u32_e32 v1, vcc, v1, v13, vcc
	v_add_co_u32_e32 v12, vcc, v3, v8
	v_addc_co_u32_e32 v13, vcc, v1, v9, vcc
	s_mov_b64 s[4:5], 0
	s_waitcnt vmcnt(0)
	v_mul_f64 v[10:11], v[10:11], -v[6:7]
	global_store_dwordx2 v[12:13], v[10:11], off
.LBB68_31:
	s_andn2_b64 vcc, exec, s[4:5]
	s_cbranch_vccnz .LBB68_33
; %bb.32:
	v_mad_u64_u32 v[10:11], s[0:1], v2, s22, 0
	s_ashr_i32 s4, s22, 31
	v_mov_b32_e32 v12, v11
	v_mad_u64_u32 v[2:3], s[0:1], v2, s4, v[12:13]
	v_mov_b32_e32 v11, v2
	v_lshlrev_b64 v[2:3], 3, v[10:11]
	v_mov_b32_e32 v1, s15
	v_add_co_u32_e32 v2, vcc, s14, v2
	v_addc_co_u32_e32 v1, vcc, v1, v3, vcc
	v_mad_u64_u32 v[10:11], s[0:1], v0, s3, 0
	v_add_co_u32_e32 v2, vcc, v2, v8
	s_ashr_i32 s4, s3, 31
	v_mov_b32_e32 v12, v11
	v_addc_co_u32_e32 v3, vcc, v1, v9, vcc
	v_mad_u64_u32 v[0:1], s[0:1], v0, s4, v[12:13]
	v_mov_b32_e32 v11, v0
	v_lshlrev_b64 v[0:1], 3, v[10:11]
	v_mov_b32_e32 v10, s12
	v_add_co_u32_e32 v0, vcc, s2, v0
	v_addc_co_u32_e32 v1, vcc, v10, v1, vcc
	v_add_co_u32_e32 v0, vcc, v0, v4
	v_addc_co_u32_e32 v1, vcc, v1, v5, vcc
	global_load_dwordx2 v[8:9], v[2:3], off
	s_nop 0
	global_load_dwordx2 v[0:1], v[0:1], off
	s_waitcnt vmcnt(0)
	v_add_f64 v[0:1], v[8:9], v[0:1]
	v_mul_f64 v[0:1], v[0:1], -v[6:7]
	global_store_dwordx2 v[2:3], v[0:1], off
.LBB68_33:
	s_or_b64 exec, exec, s[6:7]
                                        ; implicit-def: $vgpr2
.LBB68_34:
	s_andn2_saveexec_b64 s[0:1], s[10:11]
	s_cbranch_execz .LBB68_36
; %bb.35:
	v_mov_b32_e32 v3, 0
	v_lshlrev_b64 v[0:1], 3, v[2:3]
	v_mov_b32_e32 v3, s17
	s_waitcnt vmcnt(0)
	v_add_co_u32_e32 v4, vcc, s16, v0
	v_addc_co_u32_e32 v5, vcc, v3, v1, vcc
	global_load_dwordx2 v[4:5], v[4:5], off
	v_mad_u64_u32 v[6:7], s[0:1], v2, s22, 0
	s_ashr_i32 s2, s22, 31
	v_mov_b32_e32 v8, v7
	v_mad_u64_u32 v[2:3], s[0:1], v2, s2, v[8:9]
	v_mov_b32_e32 v7, v2
	v_lshlrev_b64 v[2:3], 3, v[6:7]
	v_mov_b32_e32 v6, s15
	v_add_co_u32_e32 v2, vcc, s14, v2
	v_addc_co_u32_e32 v3, vcc, v6, v3, vcc
	v_add_co_u32_e32 v0, vcc, v2, v0
	v_addc_co_u32_e32 v1, vcc, v3, v1, vcc
	s_waitcnt vmcnt(0)
	global_store_dwordx2 v[0:1], v[4:5], off
.LBB68_36:
	s_endpgm
	.section	.rodata,"a",@progbits
	.p2align	6, 0x0
	.amdhsa_kernel _ZN9rocsolver6v33100L14set_triangularIdPdTnNSt9enable_ifIXnt18rocblas_is_complexIT_EEiE4typeELi0EEEviiT0_iilPS4_lS8_il15rocblas_direct_15rocblas_storev_b
		.amdhsa_group_segment_fixed_size 0
		.amdhsa_private_segment_fixed_size 0
		.amdhsa_kernarg_size 344
		.amdhsa_user_sgpr_count 6
		.amdhsa_user_sgpr_private_segment_buffer 1
		.amdhsa_user_sgpr_dispatch_ptr 0
		.amdhsa_user_sgpr_queue_ptr 0
		.amdhsa_user_sgpr_kernarg_segment_ptr 1
		.amdhsa_user_sgpr_dispatch_id 0
		.amdhsa_user_sgpr_flat_scratch_init 0
		.amdhsa_user_sgpr_kernarg_preload_length 0
		.amdhsa_user_sgpr_kernarg_preload_offset 0
		.amdhsa_user_sgpr_private_segment_size 0
		.amdhsa_uses_dynamic_stack 0
		.amdhsa_system_sgpr_private_segment_wavefront_offset 0
		.amdhsa_system_sgpr_workgroup_id_x 1
		.amdhsa_system_sgpr_workgroup_id_y 1
		.amdhsa_system_sgpr_workgroup_id_z 1
		.amdhsa_system_sgpr_workgroup_info 0
		.amdhsa_system_vgpr_workitem_id 1
		.amdhsa_next_free_vgpr 18
		.amdhsa_next_free_sgpr 23
		.amdhsa_accum_offset 20
		.amdhsa_reserve_vcc 1
		.amdhsa_reserve_flat_scratch 0
		.amdhsa_float_round_mode_32 0
		.amdhsa_float_round_mode_16_64 0
		.amdhsa_float_denorm_mode_32 3
		.amdhsa_float_denorm_mode_16_64 3
		.amdhsa_dx10_clamp 1
		.amdhsa_ieee_mode 1
		.amdhsa_fp16_overflow 0
		.amdhsa_tg_split 0
		.amdhsa_exception_fp_ieee_invalid_op 0
		.amdhsa_exception_fp_denorm_src 0
		.amdhsa_exception_fp_ieee_div_zero 0
		.amdhsa_exception_fp_ieee_overflow 0
		.amdhsa_exception_fp_ieee_underflow 0
		.amdhsa_exception_fp_ieee_inexact 0
		.amdhsa_exception_int_div_zero 0
	.end_amdhsa_kernel
	.section	.text._ZN9rocsolver6v33100L14set_triangularIdPdTnNSt9enable_ifIXnt18rocblas_is_complexIT_EEiE4typeELi0EEEviiT0_iilPS4_lS8_il15rocblas_direct_15rocblas_storev_b,"axG",@progbits,_ZN9rocsolver6v33100L14set_triangularIdPdTnNSt9enable_ifIXnt18rocblas_is_complexIT_EEiE4typeELi0EEEviiT0_iilPS4_lS8_il15rocblas_direct_15rocblas_storev_b,comdat
.Lfunc_end68:
	.size	_ZN9rocsolver6v33100L14set_triangularIdPdTnNSt9enable_ifIXnt18rocblas_is_complexIT_EEiE4typeELi0EEEviiT0_iilPS4_lS8_il15rocblas_direct_15rocblas_storev_b, .Lfunc_end68-_ZN9rocsolver6v33100L14set_triangularIdPdTnNSt9enable_ifIXnt18rocblas_is_complexIT_EEiE4typeELi0EEEviiT0_iilPS4_lS8_il15rocblas_direct_15rocblas_storev_b
                                        ; -- End function
	.section	.AMDGPU.csdata,"",@progbits
; Kernel info:
; codeLenInByte = 2160
; NumSgprs: 27
; NumVgprs: 18
; NumAgprs: 0
; TotalNumVgprs: 18
; ScratchSize: 0
; MemoryBound: 0
; FloatMode: 240
; IeeeMode: 1
; LDSByteSize: 0 bytes/workgroup (compile time only)
; SGPRBlocks: 3
; VGPRBlocks: 2
; NumSGPRsForWavesPerEU: 27
; NumVGPRsForWavesPerEU: 18
; AccumOffset: 20
; Occupancy: 8
; WaveLimiterHint : 0
; COMPUTE_PGM_RSRC2:SCRATCH_EN: 0
; COMPUTE_PGM_RSRC2:USER_SGPR: 6
; COMPUTE_PGM_RSRC2:TRAP_HANDLER: 0
; COMPUTE_PGM_RSRC2:TGID_X_EN: 1
; COMPUTE_PGM_RSRC2:TGID_Y_EN: 1
; COMPUTE_PGM_RSRC2:TGID_Z_EN: 1
; COMPUTE_PGM_RSRC2:TIDIG_COMP_CNT: 1
; COMPUTE_PGM_RSRC3_GFX90A:ACCUM_OFFSET: 4
; COMPUTE_PGM_RSRC3_GFX90A:TG_SPLIT: 0
	.section	.text._ZN9rocsolver6v33100L7set_tauIdEEviPT_l,"axG",@progbits,_ZN9rocsolver6v33100L7set_tauIdEEviPT_l,comdat
	.globl	_ZN9rocsolver6v33100L7set_tauIdEEviPT_l ; -- Begin function _ZN9rocsolver6v33100L7set_tauIdEEviPT_l
	.p2align	8
	.type	_ZN9rocsolver6v33100L7set_tauIdEEviPT_l,@function
_ZN9rocsolver6v33100L7set_tauIdEEviPT_l: ; @_ZN9rocsolver6v33100L7set_tauIdEEviPT_l
; %bb.0:
	s_load_dword s0, s[4:5], 0x24
	s_load_dword s1, s[4:5], 0x0
	s_waitcnt lgkmcnt(0)
	s_and_b32 s0, s0, 0xffff
	s_mul_i32 s6, s6, s0
	v_add_u32_e32 v0, s6, v0
	v_cmp_gt_u32_e32 vcc, s1, v0
	s_and_saveexec_b64 s[0:1], vcc
	s_cbranch_execz .LBB69_2
; %bb.1:
	s_load_dwordx4 s[0:3], s[4:5], 0x8
	v_mov_b32_e32 v1, 0
	v_lshlrev_b64 v[0:1], 3, v[0:1]
	s_waitcnt lgkmcnt(0)
	s_mul_i32 s3, s7, s3
	s_mul_hi_u32 s4, s7, s2
	s_mul_i32 s2, s7, s2
	s_add_i32 s3, s4, s3
	s_lshl_b64 s[2:3], s[2:3], 3
	s_add_u32 s0, s0, s2
	s_addc_u32 s1, s1, s3
	v_mov_b32_e32 v2, s1
	v_add_co_u32_e32 v0, vcc, s0, v0
	v_addc_co_u32_e32 v1, vcc, v2, v1, vcc
	global_load_dwordx2 v[2:3], v[0:1], off
	s_waitcnt vmcnt(0)
	v_xor_b32_e32 v3, 0x80000000, v3
	global_store_dwordx2 v[0:1], v[2:3], off
.LBB69_2:
	s_endpgm
	.section	.rodata,"a",@progbits
	.p2align	6, 0x0
	.amdhsa_kernel _ZN9rocsolver6v33100L7set_tauIdEEviPT_l
		.amdhsa_group_segment_fixed_size 0
		.amdhsa_private_segment_fixed_size 0
		.amdhsa_kernarg_size 280
		.amdhsa_user_sgpr_count 6
		.amdhsa_user_sgpr_private_segment_buffer 1
		.amdhsa_user_sgpr_dispatch_ptr 0
		.amdhsa_user_sgpr_queue_ptr 0
		.amdhsa_user_sgpr_kernarg_segment_ptr 1
		.amdhsa_user_sgpr_dispatch_id 0
		.amdhsa_user_sgpr_flat_scratch_init 0
		.amdhsa_user_sgpr_kernarg_preload_length 0
		.amdhsa_user_sgpr_kernarg_preload_offset 0
		.amdhsa_user_sgpr_private_segment_size 0
		.amdhsa_uses_dynamic_stack 0
		.amdhsa_system_sgpr_private_segment_wavefront_offset 0
		.amdhsa_system_sgpr_workgroup_id_x 1
		.amdhsa_system_sgpr_workgroup_id_y 1
		.amdhsa_system_sgpr_workgroup_id_z 0
		.amdhsa_system_sgpr_workgroup_info 0
		.amdhsa_system_vgpr_workitem_id 0
		.amdhsa_next_free_vgpr 4
		.amdhsa_next_free_sgpr 8
		.amdhsa_accum_offset 4
		.amdhsa_reserve_vcc 1
		.amdhsa_reserve_flat_scratch 0
		.amdhsa_float_round_mode_32 0
		.amdhsa_float_round_mode_16_64 0
		.amdhsa_float_denorm_mode_32 3
		.amdhsa_float_denorm_mode_16_64 3
		.amdhsa_dx10_clamp 1
		.amdhsa_ieee_mode 1
		.amdhsa_fp16_overflow 0
		.amdhsa_tg_split 0
		.amdhsa_exception_fp_ieee_invalid_op 0
		.amdhsa_exception_fp_denorm_src 0
		.amdhsa_exception_fp_ieee_div_zero 0
		.amdhsa_exception_fp_ieee_overflow 0
		.amdhsa_exception_fp_ieee_underflow 0
		.amdhsa_exception_fp_ieee_inexact 0
		.amdhsa_exception_int_div_zero 0
	.end_amdhsa_kernel
	.section	.text._ZN9rocsolver6v33100L7set_tauIdEEviPT_l,"axG",@progbits,_ZN9rocsolver6v33100L7set_tauIdEEviPT_l,comdat
.Lfunc_end69:
	.size	_ZN9rocsolver6v33100L7set_tauIdEEviPT_l, .Lfunc_end69-_ZN9rocsolver6v33100L7set_tauIdEEviPT_l
                                        ; -- End function
	.section	.AMDGPU.csdata,"",@progbits
; Kernel info:
; codeLenInByte = 144
; NumSgprs: 12
; NumVgprs: 4
; NumAgprs: 0
; TotalNumVgprs: 4
; ScratchSize: 0
; MemoryBound: 0
; FloatMode: 240
; IeeeMode: 1
; LDSByteSize: 0 bytes/workgroup (compile time only)
; SGPRBlocks: 1
; VGPRBlocks: 0
; NumSGPRsForWavesPerEU: 12
; NumVGPRsForWavesPerEU: 4
; AccumOffset: 4
; Occupancy: 8
; WaveLimiterHint : 0
; COMPUTE_PGM_RSRC2:SCRATCH_EN: 0
; COMPUTE_PGM_RSRC2:USER_SGPR: 6
; COMPUTE_PGM_RSRC2:TRAP_HANDLER: 0
; COMPUTE_PGM_RSRC2:TGID_X_EN: 1
; COMPUTE_PGM_RSRC2:TGID_Y_EN: 1
; COMPUTE_PGM_RSRC2:TGID_Z_EN: 0
; COMPUTE_PGM_RSRC2:TIDIG_COMP_CNT: 0
; COMPUTE_PGM_RSRC3_GFX90A:ACCUM_OFFSET: 0
; COMPUTE_PGM_RSRC3_GFX90A:TG_SPLIT: 0
	.section	.text._ZN9rocsolver6v33100L20larft_kernel_forwardIdPdEEv15rocblas_storev_iiT0_iilPT_lS6_il,"axG",@progbits,_ZN9rocsolver6v33100L20larft_kernel_forwardIdPdEEv15rocblas_storev_iiT0_iilPT_lS6_il,comdat
	.globl	_ZN9rocsolver6v33100L20larft_kernel_forwardIdPdEEv15rocblas_storev_iiT0_iilPT_lS6_il ; -- Begin function _ZN9rocsolver6v33100L20larft_kernel_forwardIdPdEEv15rocblas_storev_iiT0_iilPT_lS6_il
	.p2align	8
	.type	_ZN9rocsolver6v33100L20larft_kernel_forwardIdPdEEv15rocblas_storev_iiT0_iilPT_lS6_il,@function
_ZN9rocsolver6v33100L20larft_kernel_forwardIdPdEEv15rocblas_storev_iiT0_iilPT_lS6_il: ; @_ZN9rocsolver6v33100L20larft_kernel_forwardIdPdEEv15rocblas_storev_iiT0_iilPT_lS6_il
; %bb.0:
	s_load_dword s2, s[4:5], 0x5c
	s_load_dword s30, s[4:5], 0x40
	s_load_dwordx2 s[0:1], s[4:5], 0x48
	s_load_dwordx4 s[16:19], s[4:5], 0x0
	s_load_dwordx8 s[8:15], s[4:5], 0x20
	s_waitcnt lgkmcnt(0)
	s_and_b32 s19, s2, 0xffff
	s_ashr_i32 s6, s7, 31
	s_mul_i32 s1, s7, s1
	s_mul_hi_u32 s2, s7, s0
	s_add_i32 s1, s2, s1
	s_mul_i32 s2, s6, s0
	s_add_i32 s1, s1, s2
	s_mul_i32 s0, s7, s0
	s_lshl_b64 s[0:1], s[0:1], 3
	s_add_u32 s31, s14, s0
	s_addc_u32 s33, s15, s1
	v_cmp_gt_i32_e64 s[0:1], s18, v0
	v_lshlrev_b32_e32 v1, 3, v0
	s_and_saveexec_b64 s[2:3], s[0:1]
	s_cbranch_execz .LBB70_5
; %bb.1:
	v_add_u32_e32 v2, 8, v1
	v_mul_lo_u32 v2, s18, v2
	s_lshl_b32 s22, s18, 3
	v_add3_u32 v6, v2, v1, 0
	s_add_i32 s23, s22, 8
	s_add_i32 s24, s30, 1
	v_mad_u64_u32 v[2:3], s[14:15], v0, s30, v[0:1]
	s_mul_i32 s23, s23, s19
	s_mul_i32 s24, s24, s19
	s_mov_b64 s[14:15], 0
	v_mov_b32_e32 v3, s33
	v_mov_b32_e32 v7, v0
.LBB70_2:                               ; =>This Loop Header: Depth=1
                                        ;     Child Loop BB70_3 Depth 2
	s_mov_b64 s[20:21], 0
	v_mov_b32_e32 v4, v2
	v_mov_b32_e32 v8, v6
	v_mov_b32_e32 v9, v7
.LBB70_3:                               ;   Parent Loop BB70_2 Depth=1
                                        ; =>  This Inner Loop Header: Depth=2
	v_ashrrev_i32_e32 v5, 31, v4
	v_lshlrev_b64 v[10:11], 3, v[4:5]
	v_add_co_u32_e32 v10, vcc, s31, v10
	v_addc_co_u32_e32 v11, vcc, v3, v11, vcc
	global_load_dwordx2 v[10:11], v[10:11], off
	v_add_u32_e32 v9, 1, v9
	v_cmp_le_i32_e32 vcc, s18, v9
	v_add_u32_e32 v4, s30, v4
	s_or_b64 s[20:21], vcc, s[20:21]
	s_waitcnt vmcnt(0)
	ds_write_b64 v8, v[10:11]
	v_add_u32_e32 v8, s22, v8
	s_andn2_b64 exec, exec, s[20:21]
	s_cbranch_execnz .LBB70_3
; %bb.4:                                ;   in Loop: Header=BB70_2 Depth=1
	s_or_b64 exec, exec, s[20:21]
	v_add_u32_e32 v7, s19, v7
	v_cmp_le_i32_e32 vcc, s18, v7
	v_add_u32_e32 v6, s23, v6
	s_or_b64 s[14:15], vcc, s[14:15]
	v_add_u32_e32 v2, s24, v2
	s_andn2_b64 exec, exec, s[14:15]
	s_cbranch_execnz .LBB70_2
.LBB70_5:
	s_or_b64 exec, exec, s[2:3]
	s_cmp_lt_i32 s18, 2
	s_waitcnt lgkmcnt(0)
	s_barrier
	s_cbranch_scc1 .LBB70_31
; %bb.6:
	s_load_dwordx4 s[20:23], s[4:5], 0x10
	s_mul_i32 s2, s7, s13
	s_mul_hi_u32 s3, s7, s12
	s_add_i32 s4, s3, s2
	s_mul_i32 s5, s6, s12
	s_add_i32 s5, s4, s5
	s_mul_i32 s4, s7, s12
	s_waitcnt lgkmcnt(0)
	s_ashr_i32 s3, s22, 31
	s_lshl_b64 s[4:5], s[4:5], 3
	s_mov_b32 s2, s22
	s_add_u32 s22, s10, s4
	s_addc_u32 s34, s11, s5
	s_lshl_b32 s35, s18, 3
	s_add_i32 s36, s35, 0
	s_cmpk_lg_i32 s16, 0xb5
	s_mul_i32 s4, s8, s6
	s_mul_hi_u32 s6, s8, s7
	s_cselect_b64 s[10:11], -1, 0
	s_add_i32 s4, s6, s4
	s_mul_i32 s6, s9, s7
	s_add_i32 s9, s4, s6
	s_mul_i32 s8, s8, s7
	s_lshl_b64 s[12:13], s[8:9], 3
	s_add_u32 s16, s12, 8
	s_addc_u32 s37, s13, 0
	s_lshl_b64 s[2:3], s[2:3], 3
	s_add_u32 s38, s20, s2
	s_addc_u32 s39, s21, s3
	s_ashr_i32 s9, s23, 31
	s_mov_b32 s8, s23
	s_lshl_b32 s6, s23, 1
	s_lshl_b64 s[8:9], s[8:9], 3
	s_lshl_b32 s40, s19, 3
	s_add_u32 s2, s12, s2
	s_addc_u32 s3, s13, s3
	s_add_u32 s2, s2, s20
	s_addc_u32 s3, s3, s21
	s_add_u32 s42, s2, 16
	v_add_u32_e32 v4, 8, v1
	s_mov_b32 s5, 0
	v_mov_b32_e32 v3, s13
	v_add_co_u32_e32 v2, vcc, s12, v1
	s_addc_u32 s43, s3, 0
	v_mul_lo_u32 v4, s18, v4
	s_add_i32 s45, s35, 8
	s_mov_b32 s4, 1
	v_addc_co_u32_e32 v3, vcc, 0, v3, vcc
	s_mov_b32 s41, s5
	v_mul_lo_u32 v10, v0, s23
	s_mul_i32 s44, s23, s19
	v_add3_u32 v11, v4, v1, 0
	s_mul_i32 s45, s45, s19
	v_add_u32_e32 v12, 0, v1
	s_mov_b32 s12, s23
	s_branch .LBB70_8
.LBB70_7:                               ;   in Loop: Header=BB70_8 Depth=1
	s_or_b64 exec, exec, s[2:3]
	s_add_i32 s4, s4, 1
	s_add_u32 s16, s16, 8
	s_addc_u32 s37, s37, 0
	s_add_i32 s6, s6, s23
	s_add_u32 s42, s42, 8
	s_addc_u32 s43, s43, 0
	s_add_i32 s12, s12, s23
	s_cmp_eq_u32 s4, s18
	s_waitcnt lgkmcnt(0)
	s_barrier
	s_cbranch_scc1 .LBB70_31
.LBB70_8:                               ; =>This Loop Header: Depth=1
                                        ;     Child Loop BB70_13 Depth 2
                                        ;       Child Loop BB70_15 Depth 3
                                        ;     Child Loop BB70_22 Depth 2
                                        ;       Child Loop BB70_24 Depth 3
	;; [unrolled: 2-line block ×3, first 2 shown]
	s_mul_i32 s2, s4, s18
	s_not_b32 s47, s4
	s_lshl_b32 s2, s2, 3
	s_add_i32 s47, s47, s17
	s_add_i32 s46, s36, s2
	s_mov_b64 s[14:15], -1
	s_and_b64 vcc, exec, s[10:11]
	v_cmp_gt_u32_e64 s[2:3], s4, v0
	s_cbranch_vccz .LBB70_17
; %bb.9:                                ;   in Loop: Header=BB70_8 Depth=1
	s_and_saveexec_b64 s[14:15], s[2:3]
	s_cbranch_execz .LBB70_16
; %bb.10:                               ;   in Loop: Header=BB70_8 Depth=1
	s_ashr_i32 s7, s6, 31
	s_lshl_b64 s[2:3], s[6:7], 3
	s_add_u32 s2, s38, s2
	s_addc_u32 s3, s39, s3
	s_cmp_gt_i32 s47, 0
	s_cselect_b64 s[20:21], -1, 0
	s_lshl_b64 s[24:25], s[4:5], 3
	s_add_u32 s24, s22, s24
	s_addc_u32 s25, s34, s25
	s_load_dwordx2 s[24:25], s[24:25], 0x0
	s_mov_b64 s[26:27], 0
	v_pk_mov_b32 v[4:5], v[2:3], v[2:3] op_sel:[0,1]
	v_mov_b32_e32 v8, v0
	s_branch .LBB70_13
.LBB70_11:                              ;   in Loop: Header=BB70_13 Depth=2
	v_pk_mov_b32 v[6:7], 0, 0
.LBB70_12:                              ;   in Loop: Header=BB70_13 Depth=2
	v_lshlrev_b32_e32 v9, 3, v8
	v_add_u32_e32 v13, s46, v9
	ds_read_b64 v[14:15], v13
	v_add_u32_e32 v8, s19, v8
	v_cmp_le_u32_e32 vcc, s4, v8
	v_mov_b32_e32 v13, s41
	s_or_b64 s[26:27], vcc, s[26:27]
	v_add_co_u32_e32 v4, vcc, s40, v4
	v_add_u32_e32 v9, 0, v9
	s_waitcnt lgkmcnt(0)
	v_fmac_f64_e32 v[14:15], s[24:25], v[6:7]
	v_addc_co_u32_e32 v5, vcc, v5, v13, vcc
	ds_write_b64 v9, v[14:15]
	s_andn2_b64 exec, exec, s[26:27]
	s_cbranch_execz .LBB70_16
.LBB70_13:                              ;   Parent Loop BB70_8 Depth=1
                                        ; =>  This Loop Header: Depth=2
                                        ;       Child Loop BB70_15 Depth 3
	s_andn2_b64 vcc, exec, s[20:21]
	s_cbranch_vccnz .LBB70_11
; %bb.14:                               ;   in Loop: Header=BB70_13 Depth=2
	s_mov_b32 s7, 0
	v_pk_mov_b32 v[6:7], 0, 0
	s_mov_b64 s[28:29], s[2:3]
.LBB70_15:                              ;   Parent Loop BB70_8 Depth=1
                                        ;     Parent Loop BB70_13 Depth=2
                                        ; =>    This Inner Loop Header: Depth=3
	v_mov_b32_e32 v9, s29
	v_add_co_u32_e32 v14, vcc, s28, v4
	v_addc_co_u32_e32 v15, vcc, v9, v5, vcc
	global_load_dwordx2 v[14:15], v[14:15], off
	s_add_u32 s48, s28, s16
	s_addc_u32 s49, s29, s37
	s_load_dwordx2 s[48:49], s[48:49], 0x0
	s_add_i32 s7, s7, 1
	s_add_u32 s28, s28, s8
	s_addc_u32 s29, s29, s9
	s_cmp_ge_i32 s7, s47
	s_waitcnt vmcnt(0) lgkmcnt(0)
	v_fmac_f64_e32 v[6:7], s[48:49], v[14:15]
	s_cbranch_scc0 .LBB70_15
	s_branch .LBB70_12
.LBB70_16:                              ;   in Loop: Header=BB70_8 Depth=1
	s_or_b64 exec, exec, s[14:15]
	s_mov_b64 s[14:15], 0
.LBB70_17:                              ;   in Loop: Header=BB70_8 Depth=1
	s_andn2_b64 vcc, exec, s[14:15]
	s_cbranch_vccnz .LBB70_26
; %bb.18:                               ;   in Loop: Header=BB70_8 Depth=1
	v_cmp_gt_u32_e32 vcc, s4, v0
	s_and_saveexec_b64 s[2:3], vcc
	s_cbranch_execz .LBB70_25
; %bb.19:                               ;   in Loop: Header=BB70_8 Depth=1
	s_ashr_i32 s13, s12, 31
	s_lshl_b64 s[14:15], s[12:13], 3
	s_add_u32 s14, s42, s14
	s_addc_u32 s15, s43, s15
	s_cmp_gt_i32 s47, 0
	s_cselect_b64 s[20:21], -1, 0
	s_lshl_b64 s[24:25], s[4:5], 3
	s_add_u32 s24, s22, s24
	s_addc_u32 s25, s34, s25
	s_load_dwordx2 s[24:25], s[24:25], 0x0
	s_mov_b64 s[26:27], 0
	v_mov_b32_e32 v4, v10
	v_mov_b32_e32 v13, v0
	s_branch .LBB70_22
.LBB70_20:                              ;   in Loop: Header=BB70_22 Depth=2
	v_pk_mov_b32 v[6:7], 0, 0
.LBB70_21:                              ;   in Loop: Header=BB70_22 Depth=2
	v_lshlrev_b32_e32 v5, 3, v13
	v_add_u32_e32 v8, s46, v5
	ds_read_b64 v[8:9], v8
	v_add_u32_e32 v13, s19, v13
	v_cmp_le_u32_e32 vcc, s4, v13
	v_add_u32_e32 v5, 0, v5
	s_or_b64 s[26:27], vcc, s[26:27]
	s_waitcnt lgkmcnt(0)
	v_fmac_f64_e32 v[8:9], s[24:25], v[6:7]
	v_add_u32_e32 v4, s44, v4
	ds_write_b64 v5, v[8:9]
	s_andn2_b64 exec, exec, s[26:27]
	s_cbranch_execz .LBB70_25
.LBB70_22:                              ;   Parent Loop BB70_8 Depth=1
                                        ; =>  This Loop Header: Depth=2
                                        ;       Child Loop BB70_24 Depth 3
	s_andn2_b64 vcc, exec, s[20:21]
	s_cbranch_vccnz .LBB70_20
; %bb.23:                               ;   in Loop: Header=BB70_22 Depth=2
	v_ashrrev_i32_e32 v5, 31, v4
	v_lshlrev_b64 v[6:7], 3, v[4:5]
	v_mov_b32_e32 v5, s43
	v_add_co_u32_e32 v8, vcc, s42, v6
	v_addc_co_u32_e32 v9, vcc, v5, v7, vcc
	s_mov_b32 s7, 0
	v_pk_mov_b32 v[6:7], 0, 0
	s_mov_b64 s[28:29], s[14:15]
.LBB70_24:                              ;   Parent Loop BB70_8 Depth=1
                                        ;     Parent Loop BB70_22 Depth=2
                                        ; =>    This Inner Loop Header: Depth=3
	global_load_dwordx2 v[14:15], v[8:9], off
	s_load_dwordx2 s[48:49], s[28:29], 0x0
	s_add_i32 s7, s7, 1
	s_add_u32 s28, s28, 8
	v_add_co_u32_e32 v8, vcc, 8, v8
	s_addc_u32 s29, s29, 0
	v_addc_co_u32_e32 v9, vcc, 0, v9, vcc
	s_cmp_ge_i32 s7, s47
	s_waitcnt vmcnt(0) lgkmcnt(0)
	v_fmac_f64_e32 v[6:7], s[48:49], v[14:15]
	s_cbranch_scc0 .LBB70_24
	s_branch .LBB70_21
.LBB70_25:                              ;   in Loop: Header=BB70_8 Depth=1
	s_or_b64 exec, exec, s[2:3]
.LBB70_26:                              ;   in Loop: Header=BB70_8 Depth=1
	v_cmp_gt_u32_e32 vcc, s4, v0
	s_waitcnt lgkmcnt(0)
	s_barrier
	s_and_saveexec_b64 s[2:3], vcc
	s_cbranch_execz .LBB70_7
; %bb.27:                               ;   in Loop: Header=BB70_8 Depth=1
	s_mov_b64 s[14:15], 0
	v_mov_b32_e32 v6, v12
	v_mov_b32_e32 v7, v11
	;; [unrolled: 1-line block ×3, first 2 shown]
.LBB70_28:                              ;   Parent Loop BB70_8 Depth=1
                                        ; =>  This Loop Header: Depth=2
                                        ;       Child Loop BB70_29 Depth 3
	v_pk_mov_b32 v[4:5], 0, 0
	s_mov_b64 s[20:21], 0
	v_mov_b32_e32 v9, v6
	v_mov_b32_e32 v13, v7
	v_mov_b32_e32 v14, v8
.LBB70_29:                              ;   Parent Loop BB70_8 Depth=1
                                        ;     Parent Loop BB70_28 Depth=2
                                        ; =>    This Inner Loop Header: Depth=3
	ds_read_b64 v[16:17], v13
	ds_read_b64 v[18:19], v9
	v_add_u32_e32 v14, 1, v14
	v_cmp_le_u32_e32 vcc, s4, v14
	v_add_u32_e32 v13, s35, v13
	v_add_u32_e32 v9, 8, v9
	s_or_b64 s[20:21], vcc, s[20:21]
	s_waitcnt lgkmcnt(0)
	v_fmac_f64_e32 v[4:5], v[16:17], v[18:19]
	s_andn2_b64 exec, exec, s[20:21]
	s_cbranch_execnz .LBB70_29
; %bb.30:                               ;   in Loop: Header=BB70_28 Depth=2
	s_or_b64 exec, exec, s[20:21]
	v_lshl_add_u32 v9, v8, 3, s46
	v_add_u32_e32 v8, s19, v8
	v_cmp_le_u32_e32 vcc, s4, v8
	v_add_u32_e32 v7, s45, v7
	s_or_b64 s[14:15], vcc, s[14:15]
	v_add_u32_e32 v6, s40, v6
	ds_write_b64 v9, v[4:5]
	s_andn2_b64 exec, exec, s[14:15]
	s_cbranch_execnz .LBB70_28
	s_branch .LBB70_7
.LBB70_31:
	s_and_saveexec_b64 s[2:3], s[0:1]
	s_cbranch_execz .LBB70_36
; %bb.32:
	v_mad_u64_u32 v[2:3], s[0:1], v0, s30, v[0:1]
	v_add_u32_e32 v3, 8, v1
	s_lshl_b32 s7, s18, 3
	s_add_i32 s6, s30, 1
	v_mul_lo_u32 v3, s18, v3
	s_add_i32 s8, s7, 8
	s_mul_i32 s6, s6, s19
	v_add3_u32 v1, v3, v1, 0
	s_mul_i32 s8, s8, s19
	s_mov_b64 s[2:3], 0
	v_mov_b32_e32 v3, s33
.LBB70_33:                              ; =>This Loop Header: Depth=1
                                        ;     Child Loop BB70_34 Depth 2
	s_mov_b64 s[4:5], 0
	v_mov_b32_e32 v6, v1
	v_mov_b32_e32 v4, v2
	;; [unrolled: 1-line block ×3, first 2 shown]
.LBB70_34:                              ;   Parent Loop BB70_33 Depth=1
                                        ; =>  This Inner Loop Header: Depth=2
	ds_read_b64 v[8:9], v6
	v_ashrrev_i32_e32 v5, 31, v4
	v_add_u32_e32 v7, 1, v7
	v_lshlrev_b64 v[10:11], 3, v[4:5]
	v_cmp_le_i32_e32 vcc, s18, v7
	v_add_co_u32_e64 v10, s[0:1], s31, v10
	v_add_u32_e32 v6, s7, v6
	v_add_u32_e32 v4, s30, v4
	v_addc_co_u32_e64 v11, s[0:1], v3, v11, s[0:1]
	s_or_b64 s[4:5], vcc, s[4:5]
	s_waitcnt lgkmcnt(0)
	global_store_dwordx2 v[10:11], v[8:9], off
	s_andn2_b64 exec, exec, s[4:5]
	s_cbranch_execnz .LBB70_34
; %bb.35:                               ;   in Loop: Header=BB70_33 Depth=1
	s_or_b64 exec, exec, s[4:5]
	v_add_u32_e32 v0, s19, v0
	v_cmp_le_i32_e32 vcc, s18, v0
	v_add_u32_e32 v2, s6, v2
	s_or_b64 s[2:3], vcc, s[2:3]
	v_add_u32_e32 v1, s8, v1
	s_andn2_b64 exec, exec, s[2:3]
	s_cbranch_execnz .LBB70_33
.LBB70_36:
	s_endpgm
	.section	.rodata,"a",@progbits
	.p2align	6, 0x0
	.amdhsa_kernel _ZN9rocsolver6v33100L20larft_kernel_forwardIdPdEEv15rocblas_storev_iiT0_iilPT_lS6_il
		.amdhsa_group_segment_fixed_size 0
		.amdhsa_private_segment_fixed_size 0
		.amdhsa_kernarg_size 336
		.amdhsa_user_sgpr_count 6
		.amdhsa_user_sgpr_private_segment_buffer 1
		.amdhsa_user_sgpr_dispatch_ptr 0
		.amdhsa_user_sgpr_queue_ptr 0
		.amdhsa_user_sgpr_kernarg_segment_ptr 1
		.amdhsa_user_sgpr_dispatch_id 0
		.amdhsa_user_sgpr_flat_scratch_init 0
		.amdhsa_user_sgpr_kernarg_preload_length 0
		.amdhsa_user_sgpr_kernarg_preload_offset 0
		.amdhsa_user_sgpr_private_segment_size 0
		.amdhsa_uses_dynamic_stack 0
		.amdhsa_system_sgpr_private_segment_wavefront_offset 0
		.amdhsa_system_sgpr_workgroup_id_x 1
		.amdhsa_system_sgpr_workgroup_id_y 1
		.amdhsa_system_sgpr_workgroup_id_z 0
		.amdhsa_system_sgpr_workgroup_info 0
		.amdhsa_system_vgpr_workitem_id 0
		.amdhsa_next_free_vgpr 20
		.amdhsa_next_free_sgpr 50
		.amdhsa_accum_offset 20
		.amdhsa_reserve_vcc 1
		.amdhsa_reserve_flat_scratch 0
		.amdhsa_float_round_mode_32 0
		.amdhsa_float_round_mode_16_64 0
		.amdhsa_float_denorm_mode_32 3
		.amdhsa_float_denorm_mode_16_64 3
		.amdhsa_dx10_clamp 1
		.amdhsa_ieee_mode 1
		.amdhsa_fp16_overflow 0
		.amdhsa_tg_split 0
		.amdhsa_exception_fp_ieee_invalid_op 0
		.amdhsa_exception_fp_denorm_src 0
		.amdhsa_exception_fp_ieee_div_zero 0
		.amdhsa_exception_fp_ieee_overflow 0
		.amdhsa_exception_fp_ieee_underflow 0
		.amdhsa_exception_fp_ieee_inexact 0
		.amdhsa_exception_int_div_zero 0
	.end_amdhsa_kernel
	.section	.text._ZN9rocsolver6v33100L20larft_kernel_forwardIdPdEEv15rocblas_storev_iiT0_iilPT_lS6_il,"axG",@progbits,_ZN9rocsolver6v33100L20larft_kernel_forwardIdPdEEv15rocblas_storev_iiT0_iilPT_lS6_il,comdat
.Lfunc_end70:
	.size	_ZN9rocsolver6v33100L20larft_kernel_forwardIdPdEEv15rocblas_storev_iiT0_iilPT_lS6_il, .Lfunc_end70-_ZN9rocsolver6v33100L20larft_kernel_forwardIdPdEEv15rocblas_storev_iiT0_iilPT_lS6_il
                                        ; -- End function
	.section	.AMDGPU.csdata,"",@progbits
; Kernel info:
; codeLenInByte = 1496
; NumSgprs: 54
; NumVgprs: 20
; NumAgprs: 0
; TotalNumVgprs: 20
; ScratchSize: 0
; MemoryBound: 0
; FloatMode: 240
; IeeeMode: 1
; LDSByteSize: 0 bytes/workgroup (compile time only)
; SGPRBlocks: 6
; VGPRBlocks: 2
; NumSGPRsForWavesPerEU: 54
; NumVGPRsForWavesPerEU: 20
; AccumOffset: 20
; Occupancy: 8
; WaveLimiterHint : 0
; COMPUTE_PGM_RSRC2:SCRATCH_EN: 0
; COMPUTE_PGM_RSRC2:USER_SGPR: 6
; COMPUTE_PGM_RSRC2:TRAP_HANDLER: 0
; COMPUTE_PGM_RSRC2:TGID_X_EN: 1
; COMPUTE_PGM_RSRC2:TGID_Y_EN: 1
; COMPUTE_PGM_RSRC2:TGID_Z_EN: 0
; COMPUTE_PGM_RSRC2:TIDIG_COMP_CNT: 0
; COMPUTE_PGM_RSRC3_GFX90A:ACCUM_OFFSET: 4
; COMPUTE_PGM_RSRC3_GFX90A:TG_SPLIT: 0
	.section	.text._ZN9rocsolver6v33100L21larft_kernel_backwardIdPdEEv15rocblas_storev_iiT0_iilPT_lS6_il,"axG",@progbits,_ZN9rocsolver6v33100L21larft_kernel_backwardIdPdEEv15rocblas_storev_iiT0_iilPT_lS6_il,comdat
	.globl	_ZN9rocsolver6v33100L21larft_kernel_backwardIdPdEEv15rocblas_storev_iiT0_iilPT_lS6_il ; -- Begin function _ZN9rocsolver6v33100L21larft_kernel_backwardIdPdEEv15rocblas_storev_iiT0_iilPT_lS6_il
	.p2align	8
	.type	_ZN9rocsolver6v33100L21larft_kernel_backwardIdPdEEv15rocblas_storev_iiT0_iilPT_lS6_il,@function
_ZN9rocsolver6v33100L21larft_kernel_backwardIdPdEEv15rocblas_storev_iiT0_iilPT_lS6_il: ; @_ZN9rocsolver6v33100L21larft_kernel_backwardIdPdEEv15rocblas_storev_iiT0_iilPT_lS6_il
; %bb.0:
	s_load_dword s2, s[4:5], 0x5c
	s_load_dword s28, s[4:5], 0x40
	s_load_dwordx2 s[0:1], s[4:5], 0x48
	s_load_dwordx4 s[16:19], s[4:5], 0x0
	s_load_dwordx8 s[8:15], s[4:5], 0x20
	s_waitcnt lgkmcnt(0)
	s_and_b32 s19, s2, 0xffff
	s_ashr_i32 s6, s7, 31
	s_mul_i32 s1, s7, s1
	s_mul_hi_u32 s2, s7, s0
	s_add_i32 s1, s2, s1
	s_mul_i32 s2, s6, s0
	s_add_i32 s1, s1, s2
	s_mul_i32 s0, s7, s0
	s_lshl_b64 s[0:1], s[0:1], 3
	s_add_u32 s29, s14, s0
	s_addc_u32 s30, s15, s1
	v_cmp_gt_i32_e64 s[0:1], s18, v0
	v_add_u32_e32 v1, 1, v0
	s_and_saveexec_b64 s[2:3], s[0:1]
	s_cbranch_execz .LBB71_5
; %bb.1:
	s_lshl_b32 s22, s18, 3
	s_add_i32 s14, s22, 0
	v_add_u32_e32 v4, 1, v0
	v_lshl_add_u32 v5, v0, 3, s14
	s_lshl_b32 s23, s19, 3
	s_mov_b64 s[14:15], 0
	v_mov_b32_e32 v6, s30
	v_mov_b32_e32 v7, v0
.LBB71_2:                               ; =>This Loop Header: Depth=1
                                        ;     Child Loop BB71_3 Depth 2
	s_mov_b64 s[20:21], 0
	v_mov_b32_e32 v2, v7
	v_mov_b32_e32 v8, v5
	s_mov_b32 s24, 0
.LBB71_3:                               ;   Parent Loop BB71_2 Depth=1
                                        ; =>  This Inner Loop Header: Depth=2
	v_ashrrev_i32_e32 v3, 31, v2
	v_lshlrev_b64 v[10:11], 3, v[2:3]
	v_add_co_u32_e32 v10, vcc, s29, v10
	v_addc_co_u32_e32 v11, vcc, v6, v11, vcc
	global_load_dwordx2 v[10:11], v[10:11], off
	s_add_i32 s24, s24, 1
	v_cmp_eq_u32_e32 vcc, s24, v4
	v_add_u32_e32 v2, s28, v2
	s_or_b64 s[20:21], vcc, s[20:21]
	s_waitcnt vmcnt(0)
	ds_write_b64 v8, v[10:11]
	v_add_u32_e32 v8, s22, v8
	s_andn2_b64 exec, exec, s[20:21]
	s_cbranch_execnz .LBB71_3
; %bb.4:                                ;   in Loop: Header=BB71_2 Depth=1
	s_or_b64 exec, exec, s[20:21]
	v_add_u32_e32 v7, s19, v7
	v_cmp_le_i32_e32 vcc, s18, v7
	v_add_u32_e32 v4, s19, v4
	s_or_b64 s[14:15], vcc, s[14:15]
	v_add_u32_e32 v5, s23, v5
	s_andn2_b64 exec, exec, s[14:15]
	s_cbranch_execnz .LBB71_2
.LBB71_5:
	s_or_b64 exec, exec, s[2:3]
	s_cmp_lt_i32 s18, 2
	s_waitcnt lgkmcnt(0)
	s_barrier
	s_cbranch_scc1 .LBB71_31
; %bb.6:
	s_load_dwordx4 s[20:23], s[4:5], 0x10
	s_mul_i32 s2, s7, s13
	s_mul_hi_u32 s3, s7, s12
	s_add_i32 s4, s3, s2
	s_mul_i32 s5, s6, s12
	s_add_i32 s5, s4, s5
	s_mul_i32 s4, s7, s12
	s_waitcnt lgkmcnt(0)
	s_ashr_i32 s3, s22, 31
	s_lshl_b64 s[4:5], s[4:5], 3
	s_mov_b32 s2, s22
	s_add_u32 s22, s10, s4
	s_addc_u32 s31, s11, s5
	s_lshl_b32 s33, s18, 3
	s_add_i32 s34, s33, 0
	s_add_i32 s4, s18, -2
	s_sub_i32 s35, s17, s18
	s_cmpk_lg_i32 s16, 0xb5
	s_mul_i32 s6, s8, s6
	s_mul_hi_u32 s12, s8, s7
	s_cselect_b64 s[10:11], -1, 0
	s_add_i32 s6, s12, s6
	s_mul_i32 s9, s9, s7
	s_add_i32 s9, s6, s9
	s_mul_i32 s8, s8, s7
	s_lshl_b64 s[6:7], s[8:9], 3
	s_lshl_b64 s[2:3], s[2:3], 3
	s_mov_b32 s5, 0
	s_add_u32 s8, s6, s2
	s_addc_u32 s9, s7, s3
	s_lshl_b64 s[2:3], s[4:5], 3
	s_add_u32 s6, s8, s2
	s_addc_u32 s7, s9, s3
	s_add_u32 s36, s20, s6
	s_addc_u32 s37, s21, s7
	s_ashr_i32 s7, s23, 31
	s_mov_b32 s6, s23
	s_lshl_b64 s[6:7], s[6:7], 3
	s_add_u32 s38, s20, s8
	s_addc_u32 s39, s21, s9
	v_lshlrev_b32_e32 v4, 3, v0
	s_add_u32 s2, s38, s2
	s_addc_u32 s3, s39, s3
	v_add_co_u32_e32 v3, vcc, s2, v4
	s_add_i32 s2, s18, -1
	v_mov_b32_e32 v2, s3
	s_mul_i32 s8, s23, s2
	s_add_i32 s2, s33, 8
	v_addc_co_u32_e32 v5, vcc, 0, v2, vcc
	s_mul_i32 s2, s18, s2
	v_add_co_u32_e32 v2, vcc, 8, v3
	s_add_i32 s2, s2, 0
	v_addc_co_u32_e32 v3, vcc, 0, v5, vcc
	s_lshl_b32 s40, s19, 3
	s_mov_b32 s41, s5
	v_mul_lo_u32 v10, v0, s23
	s_mul_i32 s42, s23, s19
	s_mul_i32 s12, s23, s4
	v_add3_u32 v11, s2, v4, -8
	s_xor_b32 s43, s33, -8
	s_branch .LBB71_8
.LBB71_7:                               ;   in Loop: Header=BB71_8 Depth=1
	s_or_b64 exec, exec, s[2:3]
	s_add_i32 s2, s4, -1
	s_add_u32 s36, s36, -8
	s_addc_u32 s37, s37, -1
	v_add_co_u32_e32 v2, vcc, -8, v2
	s_sub_i32 s8, s8, s23
	s_sub_i32 s12, s12, s23
	v_addc_co_u32_e32 v3, vcc, -1, v3, vcc
	v_add_u32_e32 v11, s43, v11
	s_cmp_lt_i32 s4, 1
	s_mov_b32 s4, s2
	s_waitcnt lgkmcnt(0)
	s_barrier
	s_cbranch_scc1 .LBB71_31
.LBB71_8:                               ; =>This Loop Header: Depth=1
                                        ;     Child Loop BB71_13 Depth 2
                                        ;       Child Loop BB71_15 Depth 3
                                        ;     Child Loop BB71_22 Depth 2
                                        ;       Child Loop BB71_24 Depth 3
	;; [unrolled: 2-line block ×3, first 2 shown]
	s_lshl_b32 s2, s4, 3
	s_not_b32 s44, s4
	s_add_i32 s45, s34, s2
	s_mul_i32 s2, s4, s18
	s_add_i32 s44, s44, s18
	s_lshl_b32 s2, s2, 3
	s_add_i32 s46, s4, s35
	s_add_i32 s45, s45, s2
	s_mov_b64 s[14:15], -1
	s_and_b64 vcc, exec, s[10:11]
	v_cmp_gt_i32_e64 s[2:3], s44, v0
	s_cbranch_vccz .LBB71_17
; %bb.9:                                ;   in Loop: Header=BB71_8 Depth=1
	s_and_saveexec_b64 s[14:15], s[2:3]
	s_cbranch_execz .LBB71_16
; %bb.10:                               ;   in Loop: Header=BB71_8 Depth=1
	s_cmp_gt_i32 s46, 0
	s_cselect_b64 s[2:3], -1, 0
	s_lshl_b64 s[16:17], s[4:5], 3
	s_add_u32 s16, s22, s16
	s_addc_u32 s17, s31, s17
	s_load_dwordx2 s[16:17], s[16:17], 0x0
	s_add_i32 s9, s45, 8
	s_mov_b64 s[20:21], 0
	v_pk_mov_b32 v[4:5], v[2:3], v[2:3] op_sel:[0,1]
	v_mov_b32_e32 v8, v0
	s_branch .LBB71_13
.LBB71_11:                              ;   in Loop: Header=BB71_13 Depth=2
	v_pk_mov_b32 v[6:7], 0, 0
.LBB71_12:                              ;   in Loop: Header=BB71_13 Depth=2
	v_lshlrev_b32_e32 v9, 3, v8
	v_add_u32_e32 v12, s9, v9
	ds_read_b64 v[12:13], v12
	v_add_u32_e32 v8, s19, v8
	v_cmp_le_i32_e32 vcc, s44, v8
	v_mov_b32_e32 v14, s41
	s_or_b64 s[20:21], vcc, s[20:21]
	v_add_co_u32_e32 v4, vcc, s40, v4
	v_add_u32_e32 v9, 0, v9
	s_waitcnt lgkmcnt(0)
	v_fmac_f64_e32 v[12:13], s[16:17], v[6:7]
	v_addc_co_u32_e32 v5, vcc, v5, v14, vcc
	ds_write_b64 v9, v[12:13]
	s_andn2_b64 exec, exec, s[20:21]
	s_cbranch_execz .LBB71_16
.LBB71_13:                              ;   Parent Loop BB71_8 Depth=1
                                        ; =>  This Loop Header: Depth=2
                                        ;       Child Loop BB71_15 Depth 3
	s_andn2_b64 vcc, exec, s[2:3]
	s_cbranch_vccnz .LBB71_11
; %bb.14:                               ;   in Loop: Header=BB71_13 Depth=2
	s_mov_b32 s13, 0
	s_mov_b64 s[24:25], 0
	v_pk_mov_b32 v[6:7], 0, 0
.LBB71_15:                              ;   Parent Loop BB71_8 Depth=1
                                        ;     Parent Loop BB71_13 Depth=2
                                        ; =>    This Inner Loop Header: Depth=3
	v_mov_b32_e32 v9, s25
	v_add_co_u32_e32 v12, vcc, s24, v4
	v_addc_co_u32_e32 v13, vcc, v5, v9, vcc
	global_load_dwordx2 v[12:13], v[12:13], off
	s_add_u32 s26, s36, s24
	s_addc_u32 s27, s37, s25
	s_load_dwordx2 s[26:27], s[26:27], 0x0
	s_add_i32 s13, s13, 1
	s_add_u32 s24, s24, s6
	s_addc_u32 s25, s25, s7
	s_cmp_ge_i32 s13, s46
	s_waitcnt vmcnt(0) lgkmcnt(0)
	v_fmac_f64_e32 v[6:7], s[26:27], v[12:13]
	s_cbranch_scc0 .LBB71_15
	s_branch .LBB71_12
.LBB71_16:                              ;   in Loop: Header=BB71_8 Depth=1
	s_or_b64 exec, exec, s[14:15]
	s_mov_b64 s[14:15], 0
.LBB71_17:                              ;   in Loop: Header=BB71_8 Depth=1
	s_andn2_b64 vcc, exec, s[14:15]
	s_cbranch_vccnz .LBB71_26
; %bb.18:                               ;   in Loop: Header=BB71_8 Depth=1
	v_cmp_gt_i32_e32 vcc, s44, v0
	s_and_saveexec_b64 s[2:3], vcc
	s_cbranch_execz .LBB71_25
; %bb.19:                               ;   in Loop: Header=BB71_8 Depth=1
	s_ashr_i32 s9, s8, 31
	s_ashr_i32 s13, s12, 31
	s_lshl_b64 s[24:25], s[8:9], 3
	s_lshl_b64 s[14:15], s[12:13], 3
	s_add_u32 s14, s38, s14
	s_addc_u32 s15, s39, s15
	s_cmp_gt_i32 s46, 0
	s_cselect_b64 s[16:17], -1, 0
	s_lshl_b64 s[20:21], s[4:5], 3
	s_add_u32 s20, s22, s20
	s_addc_u32 s21, s31, s21
	s_load_dwordx2 s[20:21], s[20:21], 0x0
	s_add_i32 s9, s45, 8
	s_add_u32 s13, s38, s24
	s_addc_u32 s47, s39, s25
	s_mov_b64 s[24:25], 0
	v_mov_b32_e32 v4, v10
	v_mov_b32_e32 v12, v0
	s_branch .LBB71_22
.LBB71_20:                              ;   in Loop: Header=BB71_22 Depth=2
	v_pk_mov_b32 v[6:7], 0, 0
.LBB71_21:                              ;   in Loop: Header=BB71_22 Depth=2
	v_lshlrev_b32_e32 v5, 3, v12
	v_add_u32_e32 v8, s9, v5
	ds_read_b64 v[8:9], v8
	v_add_u32_e32 v12, s19, v12
	v_cmp_le_i32_e32 vcc, s44, v12
	v_add_u32_e32 v5, 0, v5
	s_or_b64 s[24:25], vcc, s[24:25]
	s_waitcnt lgkmcnt(0)
	v_fmac_f64_e32 v[8:9], s[20:21], v[6:7]
	v_add_u32_e32 v4, s42, v4
	ds_write_b64 v5, v[8:9]
	s_andn2_b64 exec, exec, s[24:25]
	s_cbranch_execz .LBB71_25
.LBB71_22:                              ;   Parent Loop BB71_8 Depth=1
                                        ; =>  This Loop Header: Depth=2
                                        ;       Child Loop BB71_24 Depth 3
	s_andn2_b64 vcc, exec, s[16:17]
	s_cbranch_vccnz .LBB71_20
; %bb.23:                               ;   in Loop: Header=BB71_22 Depth=2
	v_ashrrev_i32_e32 v5, 31, v4
	v_lshlrev_b64 v[6:7], 3, v[4:5]
	v_mov_b32_e32 v5, s47
	v_add_co_u32_e32 v8, vcc, s13, v6
	v_addc_co_u32_e32 v9, vcc, v5, v7, vcc
	s_mov_b32 s48, 0
	v_pk_mov_b32 v[6:7], 0, 0
	s_mov_b64 s[26:27], s[14:15]
.LBB71_24:                              ;   Parent Loop BB71_8 Depth=1
                                        ;     Parent Loop BB71_22 Depth=2
                                        ; =>    This Inner Loop Header: Depth=3
	global_load_dwordx2 v[14:15], v[8:9], off
	s_load_dwordx2 s[50:51], s[26:27], 0x0
	s_add_i32 s48, s48, 1
	s_add_u32 s26, s26, 8
	v_add_co_u32_e32 v8, vcc, 8, v8
	s_addc_u32 s27, s27, 0
	v_addc_co_u32_e32 v9, vcc, 0, v9, vcc
	s_cmp_ge_i32 s48, s46
	s_waitcnt vmcnt(0) lgkmcnt(0)
	v_fmac_f64_e32 v[6:7], s[50:51], v[14:15]
	s_cbranch_scc0 .LBB71_24
	s_branch .LBB71_21
.LBB71_25:                              ;   in Loop: Header=BB71_8 Depth=1
	s_or_b64 exec, exec, s[2:3]
.LBB71_26:                              ;   in Loop: Header=BB71_8 Depth=1
	v_cmp_gt_i32_e32 vcc, s44, v0
	s_waitcnt lgkmcnt(0)
	s_barrier
	s_and_saveexec_b64 s[2:3], vcc
	s_cbranch_execz .LBB71_7
; %bb.27:                               ;   in Loop: Header=BB71_8 Depth=1
	s_add_i32 s45, s45, 8
	s_mov_b64 s[14:15], 0
	v_mov_b32_e32 v6, v11
	v_mov_b32_e32 v7, v0
.LBB71_28:                              ;   Parent Loop BB71_8 Depth=1
                                        ; =>  This Loop Header: Depth=2
                                        ;       Child Loop BB71_29 Depth 3
	s_mov_b32 s9, -1
	s_mov_b32 s13, 0
	v_pk_mov_b32 v[4:5], 0, 0
	s_mov_b64 s[16:17], 0
	v_mov_b32_e32 v8, v6
.LBB71_29:                              ;   Parent Loop BB71_8 Depth=1
                                        ;     Parent Loop BB71_28 Depth=2
                                        ; =>    This Inner Loop Header: Depth=3
	v_mov_b32_e32 v9, s13
	ds_read_b64 v[12:13], v8
	ds_read_b64 v[14:15], v9
	s_add_i32 s9, s9, 1
	s_add_i32 s13, s13, 8
	v_cmp_eq_u32_e32 vcc, s9, v7
	v_add_u32_e32 v8, s33, v8
	s_or_b64 s[16:17], vcc, s[16:17]
	s_waitcnt lgkmcnt(0)
	v_fmac_f64_e32 v[4:5], v[12:13], v[14:15]
	s_andn2_b64 exec, exec, s[16:17]
	s_cbranch_execnz .LBB71_29
; %bb.30:                               ;   in Loop: Header=BB71_28 Depth=2
	s_or_b64 exec, exec, s[16:17]
	v_lshl_add_u32 v8, v7, 3, s45
	v_add_u32_e32 v7, s19, v7
	v_cmp_le_i32_e32 vcc, s44, v7
	s_or_b64 s[14:15], vcc, s[14:15]
	v_add_u32_e32 v6, s40, v6
	ds_write_b64 v8, v[4:5]
	s_andn2_b64 exec, exec, s[14:15]
	s_cbranch_execnz .LBB71_28
	s_branch .LBB71_7
.LBB71_31:
	s_and_saveexec_b64 s[2:3], s[0:1]
	s_cbranch_execz .LBB71_36
; %bb.32:
	s_lshl_b32 s6, s18, 3
	s_add_i32 s0, s6, 0
	v_lshl_add_u32 v4, v0, 3, s0
	s_lshl_b32 s7, s19, 3
	s_mov_b64 s[2:3], 0
	v_mov_b32_e32 v5, s30
.LBB71_33:                              ; =>This Loop Header: Depth=1
                                        ;     Child Loop BB71_34 Depth 2
	s_mov_b64 s[4:5], 0
	v_mov_b32_e32 v6, v4
	v_mov_b32_e32 v2, v0
	s_mov_b32 s8, 0
.LBB71_34:                              ;   Parent Loop BB71_33 Depth=1
                                        ; =>  This Inner Loop Header: Depth=2
	ds_read_b64 v[8:9], v6
	v_ashrrev_i32_e32 v3, 31, v2
	s_add_i32 s8, s8, 1
	v_lshlrev_b64 v[10:11], 3, v[2:3]
	v_cmp_eq_u32_e32 vcc, s8, v1
	v_add_co_u32_e64 v10, s[0:1], s29, v10
	v_add_u32_e32 v6, s6, v6
	v_add_u32_e32 v2, s28, v2
	v_addc_co_u32_e64 v11, s[0:1], v5, v11, s[0:1]
	s_or_b64 s[4:5], vcc, s[4:5]
	s_waitcnt lgkmcnt(0)
	global_store_dwordx2 v[10:11], v[8:9], off
	s_andn2_b64 exec, exec, s[4:5]
	s_cbranch_execnz .LBB71_34
; %bb.35:                               ;   in Loop: Header=BB71_33 Depth=1
	s_or_b64 exec, exec, s[4:5]
	v_add_u32_e32 v0, s19, v0
	v_cmp_le_i32_e32 vcc, s18, v0
	v_add_u32_e32 v1, s19, v1
	s_or_b64 s[2:3], vcc, s[2:3]
	v_add_u32_e32 v4, s7, v4
	s_andn2_b64 exec, exec, s[2:3]
	s_cbranch_execnz .LBB71_33
.LBB71_36:
	s_endpgm
	.section	.rodata,"a",@progbits
	.p2align	6, 0x0
	.amdhsa_kernel _ZN9rocsolver6v33100L21larft_kernel_backwardIdPdEEv15rocblas_storev_iiT0_iilPT_lS6_il
		.amdhsa_group_segment_fixed_size 0
		.amdhsa_private_segment_fixed_size 0
		.amdhsa_kernarg_size 336
		.amdhsa_user_sgpr_count 6
		.amdhsa_user_sgpr_private_segment_buffer 1
		.amdhsa_user_sgpr_dispatch_ptr 0
		.amdhsa_user_sgpr_queue_ptr 0
		.amdhsa_user_sgpr_kernarg_segment_ptr 1
		.amdhsa_user_sgpr_dispatch_id 0
		.amdhsa_user_sgpr_flat_scratch_init 0
		.amdhsa_user_sgpr_kernarg_preload_length 0
		.amdhsa_user_sgpr_kernarg_preload_offset 0
		.amdhsa_user_sgpr_private_segment_size 0
		.amdhsa_uses_dynamic_stack 0
		.amdhsa_system_sgpr_private_segment_wavefront_offset 0
		.amdhsa_system_sgpr_workgroup_id_x 1
		.amdhsa_system_sgpr_workgroup_id_y 1
		.amdhsa_system_sgpr_workgroup_id_z 0
		.amdhsa_system_sgpr_workgroup_info 0
		.amdhsa_system_vgpr_workitem_id 0
		.amdhsa_next_free_vgpr 16
		.amdhsa_next_free_sgpr 52
		.amdhsa_accum_offset 16
		.amdhsa_reserve_vcc 1
		.amdhsa_reserve_flat_scratch 0
		.amdhsa_float_round_mode_32 0
		.amdhsa_float_round_mode_16_64 0
		.amdhsa_float_denorm_mode_32 3
		.amdhsa_float_denorm_mode_16_64 3
		.amdhsa_dx10_clamp 1
		.amdhsa_ieee_mode 1
		.amdhsa_fp16_overflow 0
		.amdhsa_tg_split 0
		.amdhsa_exception_fp_ieee_invalid_op 0
		.amdhsa_exception_fp_denorm_src 0
		.amdhsa_exception_fp_ieee_div_zero 0
		.amdhsa_exception_fp_ieee_overflow 0
		.amdhsa_exception_fp_ieee_underflow 0
		.amdhsa_exception_fp_ieee_inexact 0
		.amdhsa_exception_int_div_zero 0
	.end_amdhsa_kernel
	.section	.text._ZN9rocsolver6v33100L21larft_kernel_backwardIdPdEEv15rocblas_storev_iiT0_iilPT_lS6_il,"axG",@progbits,_ZN9rocsolver6v33100L21larft_kernel_backwardIdPdEEv15rocblas_storev_iiT0_iilPT_lS6_il,comdat
.Lfunc_end71:
	.size	_ZN9rocsolver6v33100L21larft_kernel_backwardIdPdEEv15rocblas_storev_iiT0_iilPT_lS6_il, .Lfunc_end71-_ZN9rocsolver6v33100L21larft_kernel_backwardIdPdEEv15rocblas_storev_iiT0_iilPT_lS6_il
                                        ; -- End function
	.section	.AMDGPU.csdata,"",@progbits
; Kernel info:
; codeLenInByte = 1488
; NumSgprs: 56
; NumVgprs: 16
; NumAgprs: 0
; TotalNumVgprs: 16
; ScratchSize: 0
; MemoryBound: 0
; FloatMode: 240
; IeeeMode: 1
; LDSByteSize: 0 bytes/workgroup (compile time only)
; SGPRBlocks: 6
; VGPRBlocks: 1
; NumSGPRsForWavesPerEU: 56
; NumVGPRsForWavesPerEU: 16
; AccumOffset: 16
; Occupancy: 8
; WaveLimiterHint : 0
; COMPUTE_PGM_RSRC2:SCRATCH_EN: 0
; COMPUTE_PGM_RSRC2:USER_SGPR: 6
; COMPUTE_PGM_RSRC2:TRAP_HANDLER: 0
; COMPUTE_PGM_RSRC2:TGID_X_EN: 1
; COMPUTE_PGM_RSRC2:TGID_Y_EN: 1
; COMPUTE_PGM_RSRC2:TGID_Z_EN: 0
; COMPUTE_PGM_RSRC2:TIDIG_COMP_CNT: 0
; COMPUTE_PGM_RSRC3_GFX90A:ACCUM_OFFSET: 3
; COMPUTE_PGM_RSRC3_GFX90A:TG_SPLIT: 0
	.section	.text._ZN9rocsolver6v33100L9copymatA1IdPdEEviiT0_iilPT_,"axG",@progbits,_ZN9rocsolver6v33100L9copymatA1IdPdEEviiT0_iilPT_,comdat
	.globl	_ZN9rocsolver6v33100L9copymatA1IdPdEEviiT0_iilPT_ ; -- Begin function _ZN9rocsolver6v33100L9copymatA1IdPdEEviiT0_iilPT_
	.p2align	8
	.type	_ZN9rocsolver6v33100L9copymatA1IdPdEEviiT0_iilPT_,@function
_ZN9rocsolver6v33100L9copymatA1IdPdEEviiT0_iilPT_: ; @_ZN9rocsolver6v33100L9copymatA1IdPdEEviiT0_iilPT_
; %bb.0:
	s_load_dword s0, s[4:5], 0x34
	s_load_dwordx2 s[2:3], s[4:5], 0x0
	v_and_b32_e32 v1, 0x3ff, v0
	v_bfe_u32 v0, v0, 10, 10
	s_waitcnt lgkmcnt(0)
	s_lshr_b32 s1, s0, 16
	s_and_b32 s0, s0, 0xffff
	s_mul_i32 s6, s6, s0
	s_mul_i32 s7, s7, s1
	v_add_u32_e32 v1, s6, v1
	v_add_u32_e32 v0, s7, v0
	v_cmp_gt_u32_e32 vcc, s2, v0
	v_cmp_gt_u32_e64 s[0:1], s3, v1
	s_and_b64 s[0:1], s[0:1], vcc
	s_and_saveexec_b64 s[6:7], s[0:1]
	s_cbranch_execz .LBB72_2
; %bb.1:
	s_ashr_i32 s0, s2, 31
	s_load_dwordx8 s[12:19], s[4:5], 0x8
	s_mul_hi_u32 s4, s2, s8
	s_mul_i32 s0, s0, s8
	s_ashr_i32 s1, s3, 31
	s_add_i32 s0, s4, s0
	s_mul_i32 s4, s2, s8
	s_mul_i32 s1, s4, s1
	s_mul_hi_u32 s5, s4, s3
	s_add_i32 s1, s5, s1
	s_mul_i32 s0, s0, s3
	s_add_i32 s1, s1, s0
	s_mul_i32 s0, s4, s3
	s_lshl_b64 s[0:1], s[0:1], 3
	s_waitcnt lgkmcnt(0)
	s_add_u32 s3, s18, s0
	s_mul_i32 s4, s8, s17
	s_mul_hi_u32 s5, s8, s16
	s_addc_u32 s6, s19, s1
	s_add_i32 s5, s5, s4
	s_mul_i32 s4, s8, s16
	s_ashr_i32 s1, s14, 31
	s_lshl_b64 s[4:5], s[4:5], 3
	s_mov_b32 s0, s14
	s_add_u32 s4, s12, s4
	s_addc_u32 s5, s13, s5
	s_lshl_b64 s[0:1], s[0:1], 3
	s_add_u32 s4, s4, s0
	s_addc_u32 s5, s5, s1
	v_mad_u64_u32 v[2:3], s[0:1], v1, s15, v[0:1]
	v_mov_b32_e32 v3, 0
	v_lshlrev_b64 v[4:5], 3, v[2:3]
	v_mov_b32_e32 v2, s5
	v_add_co_u32_e32 v4, vcc, s4, v4
	v_addc_co_u32_e32 v5, vcc, v2, v5, vcc
	global_load_dwordx2 v[4:5], v[4:5], off
	v_mad_u64_u32 v[0:1], s[0:1], v1, s2, v[0:1]
	v_mov_b32_e32 v1, v3
	v_lshlrev_b64 v[0:1], 3, v[0:1]
	v_mov_b32_e32 v2, s6
	v_add_co_u32_e32 v0, vcc, s3, v0
	v_addc_co_u32_e32 v1, vcc, v2, v1, vcc
	s_waitcnt vmcnt(0)
	global_store_dwordx2 v[0:1], v[4:5], off
.LBB72_2:
	s_endpgm
	.section	.rodata,"a",@progbits
	.p2align	6, 0x0
	.amdhsa_kernel _ZN9rocsolver6v33100L9copymatA1IdPdEEviiT0_iilPT_
		.amdhsa_group_segment_fixed_size 0
		.amdhsa_private_segment_fixed_size 0
		.amdhsa_kernarg_size 296
		.amdhsa_user_sgpr_count 6
		.amdhsa_user_sgpr_private_segment_buffer 1
		.amdhsa_user_sgpr_dispatch_ptr 0
		.amdhsa_user_sgpr_queue_ptr 0
		.amdhsa_user_sgpr_kernarg_segment_ptr 1
		.amdhsa_user_sgpr_dispatch_id 0
		.amdhsa_user_sgpr_flat_scratch_init 0
		.amdhsa_user_sgpr_kernarg_preload_length 0
		.amdhsa_user_sgpr_kernarg_preload_offset 0
		.amdhsa_user_sgpr_private_segment_size 0
		.amdhsa_uses_dynamic_stack 0
		.amdhsa_system_sgpr_private_segment_wavefront_offset 0
		.amdhsa_system_sgpr_workgroup_id_x 1
		.amdhsa_system_sgpr_workgroup_id_y 1
		.amdhsa_system_sgpr_workgroup_id_z 1
		.amdhsa_system_sgpr_workgroup_info 0
		.amdhsa_system_vgpr_workitem_id 1
		.amdhsa_next_free_vgpr 6
		.amdhsa_next_free_sgpr 20
		.amdhsa_accum_offset 8
		.amdhsa_reserve_vcc 1
		.amdhsa_reserve_flat_scratch 0
		.amdhsa_float_round_mode_32 0
		.amdhsa_float_round_mode_16_64 0
		.amdhsa_float_denorm_mode_32 3
		.amdhsa_float_denorm_mode_16_64 3
		.amdhsa_dx10_clamp 1
		.amdhsa_ieee_mode 1
		.amdhsa_fp16_overflow 0
		.amdhsa_tg_split 0
		.amdhsa_exception_fp_ieee_invalid_op 0
		.amdhsa_exception_fp_denorm_src 0
		.amdhsa_exception_fp_ieee_div_zero 0
		.amdhsa_exception_fp_ieee_overflow 0
		.amdhsa_exception_fp_ieee_underflow 0
		.amdhsa_exception_fp_ieee_inexact 0
		.amdhsa_exception_int_div_zero 0
	.end_amdhsa_kernel
	.section	.text._ZN9rocsolver6v33100L9copymatA1IdPdEEviiT0_iilPT_,"axG",@progbits,_ZN9rocsolver6v33100L9copymatA1IdPdEEviiT0_iilPT_,comdat
.Lfunc_end72:
	.size	_ZN9rocsolver6v33100L9copymatA1IdPdEEviiT0_iilPT_, .Lfunc_end72-_ZN9rocsolver6v33100L9copymatA1IdPdEEviiT0_iilPT_
                                        ; -- End function
	.section	.AMDGPU.csdata,"",@progbits
; Kernel info:
; codeLenInByte = 296
; NumSgprs: 24
; NumVgprs: 6
; NumAgprs: 0
; TotalNumVgprs: 6
; ScratchSize: 0
; MemoryBound: 0
; FloatMode: 240
; IeeeMode: 1
; LDSByteSize: 0 bytes/workgroup (compile time only)
; SGPRBlocks: 2
; VGPRBlocks: 0
; NumSGPRsForWavesPerEU: 24
; NumVGPRsForWavesPerEU: 6
; AccumOffset: 8
; Occupancy: 8
; WaveLimiterHint : 0
; COMPUTE_PGM_RSRC2:SCRATCH_EN: 0
; COMPUTE_PGM_RSRC2:USER_SGPR: 6
; COMPUTE_PGM_RSRC2:TRAP_HANDLER: 0
; COMPUTE_PGM_RSRC2:TGID_X_EN: 1
; COMPUTE_PGM_RSRC2:TGID_Y_EN: 1
; COMPUTE_PGM_RSRC2:TGID_Z_EN: 1
; COMPUTE_PGM_RSRC2:TIDIG_COMP_CNT: 1
; COMPUTE_PGM_RSRC3_GFX90A:ACCUM_OFFSET: 1
; COMPUTE_PGM_RSRC3_GFX90A:TG_SPLIT: 0
	.section	.text._ZN9rocsolver6v33100L8addmatA1IdPdEEviiT0_iilPT_,"axG",@progbits,_ZN9rocsolver6v33100L8addmatA1IdPdEEviiT0_iilPT_,comdat
	.globl	_ZN9rocsolver6v33100L8addmatA1IdPdEEviiT0_iilPT_ ; -- Begin function _ZN9rocsolver6v33100L8addmatA1IdPdEEviiT0_iilPT_
	.p2align	8
	.type	_ZN9rocsolver6v33100L8addmatA1IdPdEEviiT0_iilPT_,@function
_ZN9rocsolver6v33100L8addmatA1IdPdEEviiT0_iilPT_: ; @_ZN9rocsolver6v33100L8addmatA1IdPdEEviiT0_iilPT_
; %bb.0:
	s_load_dword s0, s[4:5], 0x34
	s_load_dwordx2 s[10:11], s[4:5], 0x0
	v_and_b32_e32 v1, 0x3ff, v0
	v_bfe_u32 v0, v0, 10, 10
	s_waitcnt lgkmcnt(0)
	s_lshr_b32 s1, s0, 16
	s_and_b32 s0, s0, 0xffff
	s_mul_i32 s6, s6, s0
	s_mul_i32 s7, s7, s1
	v_add_u32_e32 v1, s6, v1
	v_add_u32_e32 v0, s7, v0
	v_cmp_gt_u32_e32 vcc, s10, v0
	v_cmp_gt_u32_e64 s[0:1], s11, v1
	s_and_b64 s[0:1], s[0:1], vcc
	s_and_saveexec_b64 s[2:3], s[0:1]
	s_cbranch_execz .LBB73_2
; %bb.1:
	s_ashr_i32 s9, s10, 31
	s_load_dwordx8 s[0:7], s[4:5], 0x8
	s_ashr_i32 s12, s11, 31
	s_mul_hi_u32 s13, s10, s8
	s_mul_i32 s9, s9, s8
	s_mul_i32 s14, s10, s8
	s_add_i32 s9, s13, s9
	s_mul_i32 s12, s14, s12
	s_mul_hi_u32 s13, s14, s11
	s_add_i32 s12, s13, s12
	s_mul_i32 s9, s9, s11
	s_add_i32 s13, s12, s9
	s_mul_i32 s12, s14, s11
	s_lshl_b64 s[12:13], s[12:13], 3
	s_waitcnt lgkmcnt(0)
	s_add_u32 s9, s6, s12
	s_addc_u32 s11, s7, s13
	s_ashr_i32 s7, s2, 31
	s_mov_b32 s6, s2
	s_mul_i32 s2, s8, s5
	s_mul_hi_u32 s5, s8, s4
	s_add_i32 s5, s5, s2
	s_mul_i32 s4, s8, s4
	s_lshl_b64 s[4:5], s[4:5], 3
	s_add_u32 s2, s0, s4
	s_addc_u32 s4, s1, s5
	s_lshl_b64 s[0:1], s[6:7], 3
	s_add_u32 s2, s2, s0
	s_addc_u32 s4, s4, s1
	v_mad_u64_u32 v[2:3], s[0:1], v1, s10, v[0:1]
	v_mov_b32_e32 v3, 0
	v_lshlrev_b64 v[4:5], 3, v[2:3]
	v_mad_u64_u32 v[0:1], s[0:1], v1, s3, v[0:1]
	v_mov_b32_e32 v2, s11
	v_add_co_u32_e32 v4, vcc, s9, v4
	v_mov_b32_e32 v1, v3
	v_addc_co_u32_e32 v5, vcc, v2, v5, vcc
	v_lshlrev_b64 v[0:1], 3, v[0:1]
	v_mov_b32_e32 v2, s4
	v_add_co_u32_e32 v0, vcc, s2, v0
	v_addc_co_u32_e32 v1, vcc, v2, v1, vcc
	global_load_dwordx2 v[4:5], v[4:5], off
	s_nop 0
	global_load_dwordx2 v[2:3], v[0:1], off
	s_waitcnt vmcnt(0)
	v_add_f64 v[2:3], v[2:3], -v[4:5]
	global_store_dwordx2 v[0:1], v[2:3], off
.LBB73_2:
	s_endpgm
	.section	.rodata,"a",@progbits
	.p2align	6, 0x0
	.amdhsa_kernel _ZN9rocsolver6v33100L8addmatA1IdPdEEviiT0_iilPT_
		.amdhsa_group_segment_fixed_size 0
		.amdhsa_private_segment_fixed_size 0
		.amdhsa_kernarg_size 296
		.amdhsa_user_sgpr_count 6
		.amdhsa_user_sgpr_private_segment_buffer 1
		.amdhsa_user_sgpr_dispatch_ptr 0
		.amdhsa_user_sgpr_queue_ptr 0
		.amdhsa_user_sgpr_kernarg_segment_ptr 1
		.amdhsa_user_sgpr_dispatch_id 0
		.amdhsa_user_sgpr_flat_scratch_init 0
		.amdhsa_user_sgpr_kernarg_preload_length 0
		.amdhsa_user_sgpr_kernarg_preload_offset 0
		.amdhsa_user_sgpr_private_segment_size 0
		.amdhsa_uses_dynamic_stack 0
		.amdhsa_system_sgpr_private_segment_wavefront_offset 0
		.amdhsa_system_sgpr_workgroup_id_x 1
		.amdhsa_system_sgpr_workgroup_id_y 1
		.amdhsa_system_sgpr_workgroup_id_z 1
		.amdhsa_system_sgpr_workgroup_info 0
		.amdhsa_system_vgpr_workitem_id 1
		.amdhsa_next_free_vgpr 6
		.amdhsa_next_free_sgpr 15
		.amdhsa_accum_offset 8
		.amdhsa_reserve_vcc 1
		.amdhsa_reserve_flat_scratch 0
		.amdhsa_float_round_mode_32 0
		.amdhsa_float_round_mode_16_64 0
		.amdhsa_float_denorm_mode_32 3
		.amdhsa_float_denorm_mode_16_64 3
		.amdhsa_dx10_clamp 1
		.amdhsa_ieee_mode 1
		.amdhsa_fp16_overflow 0
		.amdhsa_tg_split 0
		.amdhsa_exception_fp_ieee_invalid_op 0
		.amdhsa_exception_fp_denorm_src 0
		.amdhsa_exception_fp_ieee_div_zero 0
		.amdhsa_exception_fp_ieee_overflow 0
		.amdhsa_exception_fp_ieee_underflow 0
		.amdhsa_exception_fp_ieee_inexact 0
		.amdhsa_exception_int_div_zero 0
	.end_amdhsa_kernel
	.section	.text._ZN9rocsolver6v33100L8addmatA1IdPdEEviiT0_iilPT_,"axG",@progbits,_ZN9rocsolver6v33100L8addmatA1IdPdEEviiT0_iilPT_,comdat
.Lfunc_end73:
	.size	_ZN9rocsolver6v33100L8addmatA1IdPdEEviiT0_iilPT_, .Lfunc_end73-_ZN9rocsolver6v33100L8addmatA1IdPdEEviiT0_iilPT_
                                        ; -- End function
	.section	.AMDGPU.csdata,"",@progbits
; Kernel info:
; codeLenInByte = 316
; NumSgprs: 19
; NumVgprs: 6
; NumAgprs: 0
; TotalNumVgprs: 6
; ScratchSize: 0
; MemoryBound: 0
; FloatMode: 240
; IeeeMode: 1
; LDSByteSize: 0 bytes/workgroup (compile time only)
; SGPRBlocks: 2
; VGPRBlocks: 0
; NumSGPRsForWavesPerEU: 19
; NumVGPRsForWavesPerEU: 6
; AccumOffset: 8
; Occupancy: 8
; WaveLimiterHint : 0
; COMPUTE_PGM_RSRC2:SCRATCH_EN: 0
; COMPUTE_PGM_RSRC2:USER_SGPR: 6
; COMPUTE_PGM_RSRC2:TRAP_HANDLER: 0
; COMPUTE_PGM_RSRC2:TGID_X_EN: 1
; COMPUTE_PGM_RSRC2:TGID_Y_EN: 1
; COMPUTE_PGM_RSRC2:TGID_Z_EN: 1
; COMPUTE_PGM_RSRC2:TIDIG_COMP_CNT: 1
; COMPUTE_PGM_RSRC3_GFX90A:ACCUM_OFFSET: 1
; COMPUTE_PGM_RSRC3_GFX90A:TG_SPLIT: 0
	.section	.text._ZN9rocsolver6v33100L15gesvdj_finalizeIddEEviPT0_lPT_ilS5_il,"axG",@progbits,_ZN9rocsolver6v33100L15gesvdj_finalizeIddEEviPT0_lPT_ilS5_il,comdat
	.globl	_ZN9rocsolver6v33100L15gesvdj_finalizeIddEEviPT0_lPT_ilS5_il ; -- Begin function _ZN9rocsolver6v33100L15gesvdj_finalizeIddEEviPT0_lPT_ilS5_il
	.p2align	8
	.type	_ZN9rocsolver6v33100L15gesvdj_finalizeIddEEviPT0_lPT_ilS5_il,@function
_ZN9rocsolver6v33100L15gesvdj_finalizeIddEEviPT0_lPT_ilS5_il: ; @_ZN9rocsolver6v33100L15gesvdj_finalizeIddEEviPT0_lPT_ilS5_il
; %bb.0:
	s_load_dword s0, s[4:5], 0x54
	s_load_dword s8, s[4:5], 0x0
	s_mov_b32 s2, 0
	s_waitcnt lgkmcnt(0)
	s_and_b32 s0, s0, 0xffff
	s_mul_i32 s6, s6, s0
	v_add_u32_e32 v0, s6, v0
	v_max_i32_e32 v1, 0, v0
	v_cmp_gt_i32_e32 vcc, s8, v1
	s_and_saveexec_b64 s[0:1], vcc
	s_cbranch_execz .LBB74_7
; %bb.1:
	s_load_dwordx4 s[12:15], s[4:5], 0x8
	s_load_dwordx2 s[0:1], s[4:5], 0x18
	s_load_dword s3, s[4:5], 0x20
	s_load_dwordx4 s[16:19], s[4:5], 0x28
	s_load_dword s9, s[4:5], 0x38
	s_load_dwordx2 s[20:21], s[4:5], 0x40
	s_ashr_i32 s6, s7, 31
	s_waitcnt lgkmcnt(0)
	s_mul_i32 s4, s7, s15
	s_mul_hi_u32 s5, s7, s14
	s_add_i32 s4, s5, s4
	s_mul_i32 s5, s6, s14
	s_add_i32 s5, s4, s5
	s_mul_i32 s4, s7, s14
	s_lshl_b64 s[4:5], s[4:5], 3
	s_add_u32 s4, s12, s4
	s_mul_i32 s10, s7, s17
	s_mul_hi_u32 s11, s7, s16
	s_addc_u32 s5, s13, s5
	s_add_i32 s10, s11, s10
	s_mul_i32 s11, s6, s16
	s_add_i32 s11, s10, s11
	s_mul_i32 s10, s7, s16
	s_lshl_b64 s[10:11], s[10:11], 3
	s_add_u32 s10, s0, s10
	s_addc_u32 s11, s1, s11
	s_mul_i32 s0, s7, s21
	s_mul_hi_u32 s1, s7, s20
	s_add_i32 s0, s1, s0
	s_mul_i32 s6, s6, s20
	s_add_i32 s1, s0, s6
	s_mul_i32 s0, s7, s20
	s_lshl_b64 s[0:1], s[0:1], 3
	s_add_u32 s12, s18, s0
	s_addc_u32 s13, s19, s1
	s_add_i32 s14, s3, 1
	v_cmp_eq_u32_e64 s[0:1], 0, v0
	v_mov_b32_e32 v4, 0
	s_branch .LBB74_3
.LBB74_2:                               ;   in Loop: Header=BB74_3 Depth=1
	s_add_i32 s8, s8, -1
	s_add_i32 s2, s2, s14
	s_add_u32 s4, s4, 8
	s_addc_u32 s5, s5, 0
	s_cmp_lg_u32 s8, 0
	v_add_u32_e32 v0, s9, v0
	s_cbranch_scc0 .LBB74_7
.LBB74_3:                               ; =>This Inner Loop Header: Depth=1
	s_ashr_i32 s3, s2, 31
	s_lshl_b64 s[6:7], s[2:3], 3
	s_add_u32 s6, s10, s6
	s_addc_u32 s7, s11, s7
	global_load_dwordx2 v[2:3], v4, s[6:7]
	s_and_saveexec_b64 s[6:7], s[0:1]
	s_cbranch_execz .LBB74_5
; %bb.4:                                ;   in Loop: Header=BB74_3 Depth=1
	s_waitcnt vmcnt(0)
	v_and_b32_e32 v7, 0x7fffffff, v3
	v_mov_b32_e32 v6, v2
	global_store_dwordx2 v4, v[6:7], s[4:5]
.LBB74_5:                               ;   in Loop: Header=BB74_3 Depth=1
	s_or_b64 exec, exec, s[6:7]
	s_waitcnt vmcnt(0)
	v_cmp_ngt_f64_e32 vcc, 0, v[2:3]
	s_cbranch_vccnz .LBB74_2
; %bb.6:                                ;   in Loop: Header=BB74_3 Depth=1
	v_ashrrev_i32_e32 v1, 31, v0
	v_lshlrev_b64 v[2:3], 3, v[0:1]
	v_mov_b32_e32 v1, s13
	v_add_co_u32_e32 v2, vcc, s12, v2
	v_addc_co_u32_e32 v3, vcc, v1, v3, vcc
	global_load_dwordx2 v[6:7], v[2:3], off
	s_waitcnt vmcnt(0)
	v_xor_b32_e32 v7, 0x80000000, v7
	global_store_dwordx2 v[2:3], v[6:7], off
	s_branch .LBB74_2
.LBB74_7:
	s_endpgm
	.section	.rodata,"a",@progbits
	.p2align	6, 0x0
	.amdhsa_kernel _ZN9rocsolver6v33100L15gesvdj_finalizeIddEEviPT0_lPT_ilS5_il
		.amdhsa_group_segment_fixed_size 0
		.amdhsa_private_segment_fixed_size 0
		.amdhsa_kernarg_size 328
		.amdhsa_user_sgpr_count 6
		.amdhsa_user_sgpr_private_segment_buffer 1
		.amdhsa_user_sgpr_dispatch_ptr 0
		.amdhsa_user_sgpr_queue_ptr 0
		.amdhsa_user_sgpr_kernarg_segment_ptr 1
		.amdhsa_user_sgpr_dispatch_id 0
		.amdhsa_user_sgpr_flat_scratch_init 0
		.amdhsa_user_sgpr_kernarg_preload_length 0
		.amdhsa_user_sgpr_kernarg_preload_offset 0
		.amdhsa_user_sgpr_private_segment_size 0
		.amdhsa_uses_dynamic_stack 0
		.amdhsa_system_sgpr_private_segment_wavefront_offset 0
		.amdhsa_system_sgpr_workgroup_id_x 1
		.amdhsa_system_sgpr_workgroup_id_y 1
		.amdhsa_system_sgpr_workgroup_id_z 0
		.amdhsa_system_sgpr_workgroup_info 0
		.amdhsa_system_vgpr_workitem_id 0
		.amdhsa_next_free_vgpr 8
		.amdhsa_next_free_sgpr 22
		.amdhsa_accum_offset 8
		.amdhsa_reserve_vcc 1
		.amdhsa_reserve_flat_scratch 0
		.amdhsa_float_round_mode_32 0
		.amdhsa_float_round_mode_16_64 0
		.amdhsa_float_denorm_mode_32 3
		.amdhsa_float_denorm_mode_16_64 3
		.amdhsa_dx10_clamp 1
		.amdhsa_ieee_mode 1
		.amdhsa_fp16_overflow 0
		.amdhsa_tg_split 0
		.amdhsa_exception_fp_ieee_invalid_op 0
		.amdhsa_exception_fp_denorm_src 0
		.amdhsa_exception_fp_ieee_div_zero 0
		.amdhsa_exception_fp_ieee_overflow 0
		.amdhsa_exception_fp_ieee_underflow 0
		.amdhsa_exception_fp_ieee_inexact 0
		.amdhsa_exception_int_div_zero 0
	.end_amdhsa_kernel
	.section	.text._ZN9rocsolver6v33100L15gesvdj_finalizeIddEEviPT0_lPT_ilS5_il,"axG",@progbits,_ZN9rocsolver6v33100L15gesvdj_finalizeIddEEviPT0_lPT_ilS5_il,comdat
.Lfunc_end74:
	.size	_ZN9rocsolver6v33100L15gesvdj_finalizeIddEEviPT0_lPT_ilS5_il, .Lfunc_end74-_ZN9rocsolver6v33100L15gesvdj_finalizeIddEEviPT0_lPT_ilS5_il
                                        ; -- End function
	.section	.AMDGPU.csdata,"",@progbits
; Kernel info:
; codeLenInByte = 400
; NumSgprs: 26
; NumVgprs: 8
; NumAgprs: 0
; TotalNumVgprs: 8
; ScratchSize: 0
; MemoryBound: 0
; FloatMode: 240
; IeeeMode: 1
; LDSByteSize: 0 bytes/workgroup (compile time only)
; SGPRBlocks: 3
; VGPRBlocks: 0
; NumSGPRsForWavesPerEU: 26
; NumVGPRsForWavesPerEU: 8
; AccumOffset: 8
; Occupancy: 8
; WaveLimiterHint : 0
; COMPUTE_PGM_RSRC2:SCRATCH_EN: 0
; COMPUTE_PGM_RSRC2:USER_SGPR: 6
; COMPUTE_PGM_RSRC2:TRAP_HANDLER: 0
; COMPUTE_PGM_RSRC2:TGID_X_EN: 1
; COMPUTE_PGM_RSRC2:TGID_Y_EN: 1
; COMPUTE_PGM_RSRC2:TGID_Z_EN: 0
; COMPUTE_PGM_RSRC2:TIDIG_COMP_CNT: 0
; COMPUTE_PGM_RSRC3_GFX90A:ACCUM_OFFSET: 1
; COMPUTE_PGM_RSRC3_GFX90A:TG_SPLIT: 0
	.section	.text._ZN9rocsolver6v33100L16org2r_init_identIdPdEEviiiT0_iil,"axG",@progbits,_ZN9rocsolver6v33100L16org2r_init_identIdPdEEviiiT0_iil,comdat
	.globl	_ZN9rocsolver6v33100L16org2r_init_identIdPdEEviiiT0_iil ; -- Begin function _ZN9rocsolver6v33100L16org2r_init_identIdPdEEviiiT0_iil
	.p2align	8
	.type	_ZN9rocsolver6v33100L16org2r_init_identIdPdEEviiiT0_iil,@function
_ZN9rocsolver6v33100L16org2r_init_identIdPdEEviiiT0_iil: ; @_ZN9rocsolver6v33100L16org2r_init_identIdPdEEviiiT0_iil
; %bb.0:
	s_load_dword s9, s[4:5], 0x34
	s_load_dwordx4 s[0:3], s[4:5], 0x0
	v_bfe_u32 v1, v0, 10, 10
	v_and_b32_e32 v0, 0x3ff, v0
	s_waitcnt lgkmcnt(0)
	s_lshr_b32 s3, s9, 16
	s_and_b32 s9, s9, 0xffff
	s_mul_i32 s7, s7, s3
	s_mul_i32 s6, s6, s9
	v_add_u32_e32 v2, s7, v1
	v_add_u32_e32 v6, s6, v0
	v_cmp_gt_u32_e32 vcc, s0, v6
	v_cmp_gt_u32_e64 s[0:1], s1, v2
	s_and_b64 s[0:1], vcc, s[0:1]
	s_and_saveexec_b64 s[6:7], s[0:1]
	s_cbranch_execz .LBB75_5
; %bb.1:
	s_load_dwordx2 s[0:1], s[4:5], 0x18
	v_cmp_ne_u32_e32 vcc, v6, v2
	s_mov_b64 s[10:11], 0
                                        ; implicit-def: $vgpr4_vgpr5
                                        ; implicit-def: $vgpr0
	s_and_saveexec_b64 s[6:7], vcc
	s_xor_b64 s[6:7], exec, s[6:7]
	s_cbranch_execnz .LBB75_6
; %bb.2:
	s_andn2_saveexec_b64 s[2:3], s[6:7]
	s_cbranch_execnz .LBB75_13
.LBB75_3:
	s_or_b64 exec, exec, s[2:3]
	s_and_b64 exec, exec, s[10:11]
	s_cbranch_execz .LBB75_5
.LBB75_4:
	s_load_dwordx2 s[2:3], s[4:5], 0x20
	s_load_dwordx2 s[6:7], s[4:5], 0x10
	s_waitcnt lgkmcnt(0)
	s_ashr_i32 s1, s0, 31
	v_mov_b32_e32 v1, 0
	v_lshlrev_b64 v[0:1], 3, v[0:1]
	s_mul_i32 s3, s8, s3
	s_mul_hi_u32 s4, s8, s2
	s_mul_i32 s2, s8, s2
	s_add_i32 s3, s4, s3
	s_lshl_b64 s[2:3], s[2:3], 3
	s_add_u32 s2, s6, s2
	s_addc_u32 s3, s7, s3
	s_lshl_b64 s[0:1], s[0:1], 3
	s_add_u32 s0, s2, s0
	s_addc_u32 s1, s3, s1
	v_mov_b32_e32 v2, s1
	v_add_co_u32_e32 v0, vcc, s0, v0
	v_addc_co_u32_e32 v1, vcc, v2, v1, vcc
	global_store_dwordx2 v[0:1], v[4:5], off
.LBB75_5:
	s_endpgm
.LBB75_6:
	v_cmp_le_u32_e32 vcc, v2, v6
                                        ; implicit-def: $sgpr12_sgpr13
                                        ; implicit-def: $vgpr0
	s_and_saveexec_b64 s[14:15], vcc
	s_xor_b64 s[14:15], exec, s[14:15]
	s_cbranch_execz .LBB75_10
; %bb.7:
	v_cmp_le_u32_e32 vcc, s2, v2
	s_mov_b64 s[2:3], 0
                                        ; implicit-def: $sgpr12_sgpr13
                                        ; implicit-def: $vgpr0
	s_and_saveexec_b64 s[10:11], vcc
	s_xor_b64 s[10:11], exec, s[10:11]
	s_cbranch_execz .LBB75_9
; %bb.8:
	s_waitcnt lgkmcnt(0)
	v_mad_u64_u32 v[0:1], s[12:13], v2, s1, v[6:7]
	s_mov_b64 s[2:3], exec
	s_mov_b64 s[12:13], 0
.LBB75_9:
	s_or_b64 exec, exec, s[10:11]
	s_and_b64 s[10:11], s[2:3], exec
                                        ; implicit-def: $vgpr6
                                        ; implicit-def: $vgpr2
.LBB75_10:
	s_or_saveexec_b64 s[2:3], s[14:15]
	v_pk_mov_b32 v[4:5], s[12:13], s[12:13] op_sel:[0,1]
	s_xor_b64 exec, exec, s[2:3]
	s_cbranch_execz .LBB75_12
; %bb.11:
	s_waitcnt lgkmcnt(0)
	v_mad_u64_u32 v[0:1], s[12:13], v2, s1, v[6:7]
	v_pk_mov_b32 v[4:5], 0, 0
	s_or_b64 s[10:11], s[10:11], exec
.LBB75_12:
	s_or_b64 exec, exec, s[2:3]
	s_and_b64 s[10:11], s[10:11], exec
                                        ; implicit-def: $vgpr2
	s_andn2_saveexec_b64 s[2:3], s[6:7]
	s_cbranch_execz .LBB75_3
.LBB75_13:
	v_mov_b32_e32 v4, 0
	s_waitcnt lgkmcnt(0)
	v_mad_u64_u32 v[0:1], s[6:7], v2, s1, v[2:3]
	v_mov_b32_e32 v5, 0x3ff00000
	s_or_b64 s[10:11], s[10:11], exec
	s_or_b64 exec, exec, s[2:3]
	s_and_b64 exec, exec, s[10:11]
	s_cbranch_execnz .LBB75_4
	s_branch .LBB75_5
	.section	.rodata,"a",@progbits
	.p2align	6, 0x0
	.amdhsa_kernel _ZN9rocsolver6v33100L16org2r_init_identIdPdEEviiiT0_iil
		.amdhsa_group_segment_fixed_size 0
		.amdhsa_private_segment_fixed_size 0
		.amdhsa_kernarg_size 296
		.amdhsa_user_sgpr_count 6
		.amdhsa_user_sgpr_private_segment_buffer 1
		.amdhsa_user_sgpr_dispatch_ptr 0
		.amdhsa_user_sgpr_queue_ptr 0
		.amdhsa_user_sgpr_kernarg_segment_ptr 1
		.amdhsa_user_sgpr_dispatch_id 0
		.amdhsa_user_sgpr_flat_scratch_init 0
		.amdhsa_user_sgpr_kernarg_preload_length 0
		.amdhsa_user_sgpr_kernarg_preload_offset 0
		.amdhsa_user_sgpr_private_segment_size 0
		.amdhsa_uses_dynamic_stack 0
		.amdhsa_system_sgpr_private_segment_wavefront_offset 0
		.amdhsa_system_sgpr_workgroup_id_x 1
		.amdhsa_system_sgpr_workgroup_id_y 1
		.amdhsa_system_sgpr_workgroup_id_z 1
		.amdhsa_system_sgpr_workgroup_info 0
		.amdhsa_system_vgpr_workitem_id 1
		.amdhsa_next_free_vgpr 8
		.amdhsa_next_free_sgpr 16
		.amdhsa_accum_offset 8
		.amdhsa_reserve_vcc 1
		.amdhsa_reserve_flat_scratch 0
		.amdhsa_float_round_mode_32 0
		.amdhsa_float_round_mode_16_64 0
		.amdhsa_float_denorm_mode_32 3
		.amdhsa_float_denorm_mode_16_64 3
		.amdhsa_dx10_clamp 1
		.amdhsa_ieee_mode 1
		.amdhsa_fp16_overflow 0
		.amdhsa_tg_split 0
		.amdhsa_exception_fp_ieee_invalid_op 0
		.amdhsa_exception_fp_denorm_src 0
		.amdhsa_exception_fp_ieee_div_zero 0
		.amdhsa_exception_fp_ieee_overflow 0
		.amdhsa_exception_fp_ieee_underflow 0
		.amdhsa_exception_fp_ieee_inexact 0
		.amdhsa_exception_int_div_zero 0
	.end_amdhsa_kernel
	.section	.text._ZN9rocsolver6v33100L16org2r_init_identIdPdEEviiiT0_iil,"axG",@progbits,_ZN9rocsolver6v33100L16org2r_init_identIdPdEEviiiT0_iil,comdat
.Lfunc_end75:
	.size	_ZN9rocsolver6v33100L16org2r_init_identIdPdEEviiiT0_iil, .Lfunc_end75-_ZN9rocsolver6v33100L16org2r_init_identIdPdEEviiiT0_iil
                                        ; -- End function
	.section	.AMDGPU.csdata,"",@progbits
; Kernel info:
; codeLenInByte = 404
; NumSgprs: 20
; NumVgprs: 8
; NumAgprs: 0
; TotalNumVgprs: 8
; ScratchSize: 0
; MemoryBound: 0
; FloatMode: 240
; IeeeMode: 1
; LDSByteSize: 0 bytes/workgroup (compile time only)
; SGPRBlocks: 2
; VGPRBlocks: 0
; NumSGPRsForWavesPerEU: 20
; NumVGPRsForWavesPerEU: 8
; AccumOffset: 8
; Occupancy: 8
; WaveLimiterHint : 0
; COMPUTE_PGM_RSRC2:SCRATCH_EN: 0
; COMPUTE_PGM_RSRC2:USER_SGPR: 6
; COMPUTE_PGM_RSRC2:TRAP_HANDLER: 0
; COMPUTE_PGM_RSRC2:TGID_X_EN: 1
; COMPUTE_PGM_RSRC2:TGID_Y_EN: 1
; COMPUTE_PGM_RSRC2:TGID_Z_EN: 1
; COMPUTE_PGM_RSRC2:TIDIG_COMP_CNT: 1
; COMPUTE_PGM_RSRC3_GFX90A:ACCUM_OFFSET: 1
; COMPUTE_PGM_RSRC3_GFX90A:TG_SPLIT: 0
	.section	.text._ZN9rocsolver6v33100L12subtract_tauIdPdEEviiT0_iilPT_l,"axG",@progbits,_ZN9rocsolver6v33100L12subtract_tauIdPdEEviiT0_iilPT_l,comdat
	.globl	_ZN9rocsolver6v33100L12subtract_tauIdPdEEviiT0_iilPT_l ; -- Begin function _ZN9rocsolver6v33100L12subtract_tauIdPdEEviiT0_iilPT_l
	.p2align	8
	.type	_ZN9rocsolver6v33100L12subtract_tauIdPdEEviiT0_iilPT_l,@function
_ZN9rocsolver6v33100L12subtract_tauIdPdEEviiT0_iilPT_l: ; @_ZN9rocsolver6v33100L12subtract_tauIdPdEEviiT0_iilPT_l
; %bb.0:
	s_load_dwordx2 s[12:13], s[4:5], 0x10
	s_load_dwordx4 s[0:3], s[4:5], 0x18
	s_load_dwordx4 s[8:11], s[4:5], 0x0
	s_load_dwordx2 s[14:15], s[4:5], 0x28
	v_mov_b32_e32 v2, 0
	s_waitcnt lgkmcnt(0)
	s_ashr_i32 s5, s12, 31
	s_mul_i32 s1, s6, s1
	s_mul_hi_u32 s7, s6, s0
	s_add_i32 s1, s7, s1
	s_mul_i32 s0, s6, s0
	s_lshl_b64 s[0:1], s[0:1], 3
	s_mov_b32 s4, s12
	s_add_u32 s7, s10, s0
	s_addc_u32 s10, s11, s1
	s_lshl_b64 s[0:1], s[4:5], 3
	s_add_u32 s4, s7, s0
	s_addc_u32 s5, s10, s1
	s_mul_i32 s0, s6, s15
	s_mul_hi_u32 s1, s6, s14
	s_add_i32 s1, s1, s0
	s_mul_i32 s0, s6, s14
	s_lshl_b64 s[0:1], s[0:1], 3
	s_add_u32 s0, s2, s0
	s_addc_u32 s1, s3, s1
	s_load_dwordx2 s[2:3], s[0:1], 0x0
	s_waitcnt lgkmcnt(0)
	s_xor_b32 s6, s3, 0x80000000
	v_mov_b32_e32 v0, s2
	v_mov_b32_e32 v1, s6
	global_store_dwordx2 v2, v[0:1], s[0:1]
	s_mul_i32 s0, s13, s9
	s_add_i32 s0, s0, s8
	s_ashr_i32 s1, s0, 31
	s_lshl_b64 s[0:1], s[0:1], 3
	s_add_u32 s0, s4, s0
	v_add_f64 v[0:1], -s[2:3], 1.0
	s_addc_u32 s1, s5, s1
	global_store_dwordx2 v2, v[0:1], s[0:1]
	s_endpgm
	.section	.rodata,"a",@progbits
	.p2align	6, 0x0
	.amdhsa_kernel _ZN9rocsolver6v33100L12subtract_tauIdPdEEviiT0_iilPT_l
		.amdhsa_group_segment_fixed_size 0
		.amdhsa_private_segment_fixed_size 0
		.amdhsa_kernarg_size 48
		.amdhsa_user_sgpr_count 6
		.amdhsa_user_sgpr_private_segment_buffer 1
		.amdhsa_user_sgpr_dispatch_ptr 0
		.amdhsa_user_sgpr_queue_ptr 0
		.amdhsa_user_sgpr_kernarg_segment_ptr 1
		.amdhsa_user_sgpr_dispatch_id 0
		.amdhsa_user_sgpr_flat_scratch_init 0
		.amdhsa_user_sgpr_kernarg_preload_length 0
		.amdhsa_user_sgpr_kernarg_preload_offset 0
		.amdhsa_user_sgpr_private_segment_size 0
		.amdhsa_uses_dynamic_stack 0
		.amdhsa_system_sgpr_private_segment_wavefront_offset 0
		.amdhsa_system_sgpr_workgroup_id_x 1
		.amdhsa_system_sgpr_workgroup_id_y 0
		.amdhsa_system_sgpr_workgroup_id_z 0
		.amdhsa_system_sgpr_workgroup_info 0
		.amdhsa_system_vgpr_workitem_id 0
		.amdhsa_next_free_vgpr 3
		.amdhsa_next_free_sgpr 16
		.amdhsa_accum_offset 4
		.amdhsa_reserve_vcc 0
		.amdhsa_reserve_flat_scratch 0
		.amdhsa_float_round_mode_32 0
		.amdhsa_float_round_mode_16_64 0
		.amdhsa_float_denorm_mode_32 3
		.amdhsa_float_denorm_mode_16_64 3
		.amdhsa_dx10_clamp 1
		.amdhsa_ieee_mode 1
		.amdhsa_fp16_overflow 0
		.amdhsa_tg_split 0
		.amdhsa_exception_fp_ieee_invalid_op 0
		.amdhsa_exception_fp_denorm_src 0
		.amdhsa_exception_fp_ieee_div_zero 0
		.amdhsa_exception_fp_ieee_overflow 0
		.amdhsa_exception_fp_ieee_underflow 0
		.amdhsa_exception_fp_ieee_inexact 0
		.amdhsa_exception_int_div_zero 0
	.end_amdhsa_kernel
	.section	.text._ZN9rocsolver6v33100L12subtract_tauIdPdEEviiT0_iilPT_l,"axG",@progbits,_ZN9rocsolver6v33100L12subtract_tauIdPdEEviiT0_iilPT_l,comdat
.Lfunc_end76:
	.size	_ZN9rocsolver6v33100L12subtract_tauIdPdEEviiT0_iilPT_l, .Lfunc_end76-_ZN9rocsolver6v33100L12subtract_tauIdPdEEviiT0_iilPT_l
                                        ; -- End function
	.section	.AMDGPU.csdata,"",@progbits
; Kernel info:
; codeLenInByte = 196
; NumSgprs: 20
; NumVgprs: 3
; NumAgprs: 0
; TotalNumVgprs: 3
; ScratchSize: 0
; MemoryBound: 0
; FloatMode: 240
; IeeeMode: 1
; LDSByteSize: 0 bytes/workgroup (compile time only)
; SGPRBlocks: 2
; VGPRBlocks: 0
; NumSGPRsForWavesPerEU: 20
; NumVGPRsForWavesPerEU: 3
; AccumOffset: 4
; Occupancy: 8
; WaveLimiterHint : 0
; COMPUTE_PGM_RSRC2:SCRATCH_EN: 0
; COMPUTE_PGM_RSRC2:USER_SGPR: 6
; COMPUTE_PGM_RSRC2:TRAP_HANDLER: 0
; COMPUTE_PGM_RSRC2:TGID_X_EN: 1
; COMPUTE_PGM_RSRC2:TGID_Y_EN: 0
; COMPUTE_PGM_RSRC2:TGID_Z_EN: 0
; COMPUTE_PGM_RSRC2:TIDIG_COMP_CNT: 0
; COMPUTE_PGM_RSRC3_GFX90A:ACCUM_OFFSET: 0
; COMPUTE_PGM_RSRC3_GFX90A:TG_SPLIT: 0
	.section	.text._ZN9rocsolver6v33100L6restauIdEEviPT_l,"axG",@progbits,_ZN9rocsolver6v33100L6restauIdEEviPT_l,comdat
	.globl	_ZN9rocsolver6v33100L6restauIdEEviPT_l ; -- Begin function _ZN9rocsolver6v33100L6restauIdEEviPT_l
	.p2align	8
	.type	_ZN9rocsolver6v33100L6restauIdEEviPT_l,@function
_ZN9rocsolver6v33100L6restauIdEEviPT_l: ; @_ZN9rocsolver6v33100L6restauIdEEviPT_l
; %bb.0:
	s_load_dword s0, s[4:5], 0x24
	s_load_dword s1, s[4:5], 0x0
	s_waitcnt lgkmcnt(0)
	s_and_b32 s0, s0, 0xffff
	s_mul_i32 s6, s6, s0
	v_add_u32_e32 v0, s6, v0
	v_cmp_gt_u32_e32 vcc, s1, v0
	s_and_saveexec_b64 s[0:1], vcc
	s_cbranch_execz .LBB77_2
; %bb.1:
	s_load_dwordx4 s[0:3], s[4:5], 0x8
	v_mov_b32_e32 v1, 0
	v_lshlrev_b64 v[0:1], 3, v[0:1]
	s_waitcnt lgkmcnt(0)
	s_mul_i32 s3, s7, s3
	s_mul_hi_u32 s4, s7, s2
	s_mul_i32 s2, s7, s2
	s_add_i32 s3, s4, s3
	s_lshl_b64 s[2:3], s[2:3], 3
	s_add_u32 s0, s0, s2
	s_addc_u32 s1, s1, s3
	v_mov_b32_e32 v2, s1
	v_add_co_u32_e32 v0, vcc, s0, v0
	v_addc_co_u32_e32 v1, vcc, v2, v1, vcc
	global_load_dwordx2 v[2:3], v[0:1], off
	s_waitcnt vmcnt(0)
	v_xor_b32_e32 v3, 0x80000000, v3
	global_store_dwordx2 v[0:1], v[2:3], off
.LBB77_2:
	s_endpgm
	.section	.rodata,"a",@progbits
	.p2align	6, 0x0
	.amdhsa_kernel _ZN9rocsolver6v33100L6restauIdEEviPT_l
		.amdhsa_group_segment_fixed_size 0
		.amdhsa_private_segment_fixed_size 0
		.amdhsa_kernarg_size 280
		.amdhsa_user_sgpr_count 6
		.amdhsa_user_sgpr_private_segment_buffer 1
		.amdhsa_user_sgpr_dispatch_ptr 0
		.amdhsa_user_sgpr_queue_ptr 0
		.amdhsa_user_sgpr_kernarg_segment_ptr 1
		.amdhsa_user_sgpr_dispatch_id 0
		.amdhsa_user_sgpr_flat_scratch_init 0
		.amdhsa_user_sgpr_kernarg_preload_length 0
		.amdhsa_user_sgpr_kernarg_preload_offset 0
		.amdhsa_user_sgpr_private_segment_size 0
		.amdhsa_uses_dynamic_stack 0
		.amdhsa_system_sgpr_private_segment_wavefront_offset 0
		.amdhsa_system_sgpr_workgroup_id_x 1
		.amdhsa_system_sgpr_workgroup_id_y 1
		.amdhsa_system_sgpr_workgroup_id_z 0
		.amdhsa_system_sgpr_workgroup_info 0
		.amdhsa_system_vgpr_workitem_id 0
		.amdhsa_next_free_vgpr 4
		.amdhsa_next_free_sgpr 8
		.amdhsa_accum_offset 4
		.amdhsa_reserve_vcc 1
		.amdhsa_reserve_flat_scratch 0
		.amdhsa_float_round_mode_32 0
		.amdhsa_float_round_mode_16_64 0
		.amdhsa_float_denorm_mode_32 3
		.amdhsa_float_denorm_mode_16_64 3
		.amdhsa_dx10_clamp 1
		.amdhsa_ieee_mode 1
		.amdhsa_fp16_overflow 0
		.amdhsa_tg_split 0
		.amdhsa_exception_fp_ieee_invalid_op 0
		.amdhsa_exception_fp_denorm_src 0
		.amdhsa_exception_fp_ieee_div_zero 0
		.amdhsa_exception_fp_ieee_overflow 0
		.amdhsa_exception_fp_ieee_underflow 0
		.amdhsa_exception_fp_ieee_inexact 0
		.amdhsa_exception_int_div_zero 0
	.end_amdhsa_kernel
	.section	.text._ZN9rocsolver6v33100L6restauIdEEviPT_l,"axG",@progbits,_ZN9rocsolver6v33100L6restauIdEEviPT_l,comdat
.Lfunc_end77:
	.size	_ZN9rocsolver6v33100L6restauIdEEviPT_l, .Lfunc_end77-_ZN9rocsolver6v33100L6restauIdEEviPT_l
                                        ; -- End function
	.section	.AMDGPU.csdata,"",@progbits
; Kernel info:
; codeLenInByte = 144
; NumSgprs: 12
; NumVgprs: 4
; NumAgprs: 0
; TotalNumVgprs: 4
; ScratchSize: 0
; MemoryBound: 0
; FloatMode: 240
; IeeeMode: 1
; LDSByteSize: 0 bytes/workgroup (compile time only)
; SGPRBlocks: 1
; VGPRBlocks: 0
; NumSGPRsForWavesPerEU: 12
; NumVGPRsForWavesPerEU: 4
; AccumOffset: 4
; Occupancy: 8
; WaveLimiterHint : 0
; COMPUTE_PGM_RSRC2:SCRATCH_EN: 0
; COMPUTE_PGM_RSRC2:USER_SGPR: 6
; COMPUTE_PGM_RSRC2:TRAP_HANDLER: 0
; COMPUTE_PGM_RSRC2:TGID_X_EN: 1
; COMPUTE_PGM_RSRC2:TGID_Y_EN: 1
; COMPUTE_PGM_RSRC2:TGID_Z_EN: 0
; COMPUTE_PGM_RSRC2:TIDIG_COMP_CNT: 0
; COMPUTE_PGM_RSRC3_GFX90A:ACCUM_OFFSET: 0
; COMPUTE_PGM_RSRC3_GFX90A:TG_SPLIT: 0
	.section	.text._ZN9rocsolver6v33100L8set_zeroIdPdEEviiT0_iil13rocblas_fill_,"axG",@progbits,_ZN9rocsolver6v33100L8set_zeroIdPdEEviiT0_iil13rocblas_fill_,comdat
	.globl	_ZN9rocsolver6v33100L8set_zeroIdPdEEviiT0_iil13rocblas_fill_ ; -- Begin function _ZN9rocsolver6v33100L8set_zeroIdPdEEviiT0_iil13rocblas_fill_
	.p2align	8
	.type	_ZN9rocsolver6v33100L8set_zeroIdPdEEviiT0_iil13rocblas_fill_,@function
_ZN9rocsolver6v33100L8set_zeroIdPdEEviiT0_iil13rocblas_fill_: ; @_ZN9rocsolver6v33100L8set_zeroIdPdEEviiT0_iil13rocblas_fill_
; %bb.0:
	s_load_dword s2, s[4:5], 0x34
	s_load_dwordx2 s[0:1], s[4:5], 0x0
	v_and_b32_e32 v1, 0x3ff, v0
	v_bfe_u32 v0, v0, 10, 10
	s_waitcnt lgkmcnt(0)
	s_lshr_b32 s3, s2, 16
	s_and_b32 s2, s2, 0xffff
	s_mul_i32 s6, s6, s2
	s_mul_i32 s7, s7, s3
	v_add_u32_e32 v2, s6, v1
	v_add_u32_e32 v0, s7, v0
	v_cmp_gt_u32_e32 vcc, s0, v2
	v_cmp_gt_u32_e64 s[0:1], s1, v0
	s_and_b64 s[0:1], vcc, s[0:1]
	s_and_saveexec_b64 s[2:3], s[0:1]
	s_cbranch_execz .LBB78_12
; %bb.1:
	s_load_dword s6, s[4:5], 0x20
	s_waitcnt lgkmcnt(0)
	s_cmpk_lt_i32 s6, 0x7a
	s_cbranch_scc1 .LBB78_4
; %bb.2:
	s_cmpk_gt_i32 s6, 0x7a
	s_cbranch_scc0 .LBB78_5
; %bb.3:
	s_cmpk_eq_i32 s6, 0x7b
	s_cselect_b64 s[0:1], -1, 0
	s_cbranch_execz .LBB78_6
	s_branch .LBB78_7
.LBB78_4:
	s_mov_b64 s[0:1], 0
	s_cbranch_execnz .LBB78_8
	s_branch .LBB78_10
.LBB78_5:
	s_mov_b64 s[0:1], 0
.LBB78_6:
	v_cmp_gt_u32_e32 vcc, v0, v2
	s_andn2_b64 s[0:1], s[0:1], exec
	s_and_b64 s[2:3], vcc, exec
	s_or_b64 s[0:1], s[0:1], s[2:3]
.LBB78_7:
	s_branch .LBB78_10
.LBB78_8:
	s_cmpk_eq_i32 s6, 0x79
	s_cbranch_scc0 .LBB78_10
; %bb.9:
	v_cmp_gt_u32_e32 vcc, v2, v0
	s_andn2_b64 s[0:1], s[0:1], exec
	s_and_b64 s[2:3], vcc, exec
	s_or_b64 s[0:1], s[0:1], s[2:3]
.LBB78_10:
	s_and_b64 exec, exec, s[0:1]
	s_cbranch_execz .LBB78_12
; %bb.11:
	s_load_dwordx4 s[0:3], s[4:5], 0x8
	s_load_dwordx2 s[6:7], s[4:5], 0x18
	s_waitcnt lgkmcnt(0)
	s_ashr_i32 s5, s2, 31
	s_mov_b32 s4, s2
	s_mul_i32 s2, s8, s7
	s_mul_hi_u32 s7, s8, s6
	s_add_i32 s7, s7, s2
	s_mul_i32 s6, s8, s6
	s_lshl_b64 s[6:7], s[6:7], 3
	s_add_u32 s2, s0, s6
	s_addc_u32 s6, s1, s7
	s_lshl_b64 s[0:1], s[4:5], 3
	s_add_u32 s2, s2, s0
	s_addc_u32 s4, s6, s1
	v_mad_u64_u32 v[0:1], s[0:1], v0, s3, v[2:3]
	v_mov_b32_e32 v1, 0
	v_lshlrev_b64 v[2:3], 3, v[0:1]
	v_mov_b32_e32 v0, s4
	v_add_co_u32_e32 v2, vcc, s2, v2
	v_addc_co_u32_e32 v3, vcc, v0, v3, vcc
	v_mov_b32_e32 v0, v1
	global_store_dwordx2 v[2:3], v[0:1], off
.LBB78_12:
	s_endpgm
	.section	.rodata,"a",@progbits
	.p2align	6, 0x0
	.amdhsa_kernel _ZN9rocsolver6v33100L8set_zeroIdPdEEviiT0_iil13rocblas_fill_
		.amdhsa_group_segment_fixed_size 0
		.amdhsa_private_segment_fixed_size 0
		.amdhsa_kernarg_size 296
		.amdhsa_user_sgpr_count 6
		.amdhsa_user_sgpr_private_segment_buffer 1
		.amdhsa_user_sgpr_dispatch_ptr 0
		.amdhsa_user_sgpr_queue_ptr 0
		.amdhsa_user_sgpr_kernarg_segment_ptr 1
		.amdhsa_user_sgpr_dispatch_id 0
		.amdhsa_user_sgpr_flat_scratch_init 0
		.amdhsa_user_sgpr_kernarg_preload_length 0
		.amdhsa_user_sgpr_kernarg_preload_offset 0
		.amdhsa_user_sgpr_private_segment_size 0
		.amdhsa_uses_dynamic_stack 0
		.amdhsa_system_sgpr_private_segment_wavefront_offset 0
		.amdhsa_system_sgpr_workgroup_id_x 1
		.amdhsa_system_sgpr_workgroup_id_y 1
		.amdhsa_system_sgpr_workgroup_id_z 1
		.amdhsa_system_sgpr_workgroup_info 0
		.amdhsa_system_vgpr_workitem_id 1
		.amdhsa_next_free_vgpr 4
		.amdhsa_next_free_sgpr 9
		.amdhsa_accum_offset 4
		.amdhsa_reserve_vcc 1
		.amdhsa_reserve_flat_scratch 0
		.amdhsa_float_round_mode_32 0
		.amdhsa_float_round_mode_16_64 0
		.amdhsa_float_denorm_mode_32 3
		.amdhsa_float_denorm_mode_16_64 3
		.amdhsa_dx10_clamp 1
		.amdhsa_ieee_mode 1
		.amdhsa_fp16_overflow 0
		.amdhsa_tg_split 0
		.amdhsa_exception_fp_ieee_invalid_op 0
		.amdhsa_exception_fp_denorm_src 0
		.amdhsa_exception_fp_ieee_div_zero 0
		.amdhsa_exception_fp_ieee_overflow 0
		.amdhsa_exception_fp_ieee_underflow 0
		.amdhsa_exception_fp_ieee_inexact 0
		.amdhsa_exception_int_div_zero 0
	.end_amdhsa_kernel
	.section	.text._ZN9rocsolver6v33100L8set_zeroIdPdEEviiT0_iil13rocblas_fill_,"axG",@progbits,_ZN9rocsolver6v33100L8set_zeroIdPdEEviiT0_iil13rocblas_fill_,comdat
.Lfunc_end78:
	.size	_ZN9rocsolver6v33100L8set_zeroIdPdEEviiT0_iil13rocblas_fill_, .Lfunc_end78-_ZN9rocsolver6v33100L8set_zeroIdPdEEviiT0_iil13rocblas_fill_
                                        ; -- End function
	.section	.AMDGPU.csdata,"",@progbits
; Kernel info:
; codeLenInByte = 316
; NumSgprs: 13
; NumVgprs: 4
; NumAgprs: 0
; TotalNumVgprs: 4
; ScratchSize: 0
; MemoryBound: 0
; FloatMode: 240
; IeeeMode: 1
; LDSByteSize: 0 bytes/workgroup (compile time only)
; SGPRBlocks: 1
; VGPRBlocks: 0
; NumSGPRsForWavesPerEU: 13
; NumVGPRsForWavesPerEU: 4
; AccumOffset: 4
; Occupancy: 8
; WaveLimiterHint : 0
; COMPUTE_PGM_RSRC2:SCRATCH_EN: 0
; COMPUTE_PGM_RSRC2:USER_SGPR: 6
; COMPUTE_PGM_RSRC2:TRAP_HANDLER: 0
; COMPUTE_PGM_RSRC2:TGID_X_EN: 1
; COMPUTE_PGM_RSRC2:TGID_Y_EN: 1
; COMPUTE_PGM_RSRC2:TGID_Z_EN: 1
; COMPUTE_PGM_RSRC2:TIDIG_COMP_CNT: 1
; COMPUTE_PGM_RSRC3_GFX90A:ACCUM_OFFSET: 0
; COMPUTE_PGM_RSRC3_GFX90A:TG_SPLIT: 0
	.section	.text._ZN9rocsolver6v33100L6iota_nI19rocblas_complex_numIfEEEvPT_jS4_,"axG",@progbits,_ZN9rocsolver6v33100L6iota_nI19rocblas_complex_numIfEEEvPT_jS4_,comdat
	.globl	_ZN9rocsolver6v33100L6iota_nI19rocblas_complex_numIfEEEvPT_jS4_ ; -- Begin function _ZN9rocsolver6v33100L6iota_nI19rocblas_complex_numIfEEEvPT_jS4_
	.p2align	8
	.type	_ZN9rocsolver6v33100L6iota_nI19rocblas_complex_numIfEEEvPT_jS4_,@function
_ZN9rocsolver6v33100L6iota_nI19rocblas_complex_numIfEEEvPT_jS4_: ; @_ZN9rocsolver6v33100L6iota_nI19rocblas_complex_numIfEEEvPT_jS4_
; %bb.0:
	s_load_dword s0, s[4:5], 0x8
	s_waitcnt lgkmcnt(0)
	v_cmp_gt_u32_e32 vcc, s0, v0
	s_and_saveexec_b64 s[0:1], vcc
	s_cbranch_execz .LBB79_2
; %bb.1:
	s_load_dwordx2 s[0:1], s[4:5], 0xc
	s_load_dwordx2 s[2:3], s[4:5], 0x0
	v_cvt_f32_ubyte0_e32 v2, v0
	v_mov_b32_e32 v3, 0
	v_lshlrev_b32_e32 v4, 3, v0
	s_waitcnt lgkmcnt(0)
	v_pk_add_f32 v[0:1], s[0:1], v[2:3]
	global_store_dwordx2 v4, v[0:1], s[2:3]
.LBB79_2:
	s_endpgm
	.section	.rodata,"a",@progbits
	.p2align	6, 0x0
	.amdhsa_kernel _ZN9rocsolver6v33100L6iota_nI19rocblas_complex_numIfEEEvPT_jS4_
		.amdhsa_group_segment_fixed_size 0
		.amdhsa_private_segment_fixed_size 0
		.amdhsa_kernarg_size 20
		.amdhsa_user_sgpr_count 6
		.amdhsa_user_sgpr_private_segment_buffer 1
		.amdhsa_user_sgpr_dispatch_ptr 0
		.amdhsa_user_sgpr_queue_ptr 0
		.amdhsa_user_sgpr_kernarg_segment_ptr 1
		.amdhsa_user_sgpr_dispatch_id 0
		.amdhsa_user_sgpr_flat_scratch_init 0
		.amdhsa_user_sgpr_kernarg_preload_length 0
		.amdhsa_user_sgpr_kernarg_preload_offset 0
		.amdhsa_user_sgpr_private_segment_size 0
		.amdhsa_uses_dynamic_stack 0
		.amdhsa_system_sgpr_private_segment_wavefront_offset 0
		.amdhsa_system_sgpr_workgroup_id_x 1
		.amdhsa_system_sgpr_workgroup_id_y 0
		.amdhsa_system_sgpr_workgroup_id_z 0
		.amdhsa_system_sgpr_workgroup_info 0
		.amdhsa_system_vgpr_workitem_id 0
		.amdhsa_next_free_vgpr 5
		.amdhsa_next_free_sgpr 6
		.amdhsa_accum_offset 8
		.amdhsa_reserve_vcc 1
		.amdhsa_reserve_flat_scratch 0
		.amdhsa_float_round_mode_32 0
		.amdhsa_float_round_mode_16_64 0
		.amdhsa_float_denorm_mode_32 3
		.amdhsa_float_denorm_mode_16_64 3
		.amdhsa_dx10_clamp 1
		.amdhsa_ieee_mode 1
		.amdhsa_fp16_overflow 0
		.amdhsa_tg_split 0
		.amdhsa_exception_fp_ieee_invalid_op 0
		.amdhsa_exception_fp_denorm_src 0
		.amdhsa_exception_fp_ieee_div_zero 0
		.amdhsa_exception_fp_ieee_overflow 0
		.amdhsa_exception_fp_ieee_underflow 0
		.amdhsa_exception_fp_ieee_inexact 0
		.amdhsa_exception_int_div_zero 0
	.end_amdhsa_kernel
	.section	.text._ZN9rocsolver6v33100L6iota_nI19rocblas_complex_numIfEEEvPT_jS4_,"axG",@progbits,_ZN9rocsolver6v33100L6iota_nI19rocblas_complex_numIfEEEvPT_jS4_,comdat
.Lfunc_end79:
	.size	_ZN9rocsolver6v33100L6iota_nI19rocblas_complex_numIfEEEvPT_jS4_, .Lfunc_end79-_ZN9rocsolver6v33100L6iota_nI19rocblas_complex_numIfEEEvPT_jS4_
                                        ; -- End function
	.section	.AMDGPU.csdata,"",@progbits
; Kernel info:
; codeLenInByte = 76
; NumSgprs: 10
; NumVgprs: 5
; NumAgprs: 0
; TotalNumVgprs: 5
; ScratchSize: 0
; MemoryBound: 0
; FloatMode: 240
; IeeeMode: 1
; LDSByteSize: 0 bytes/workgroup (compile time only)
; SGPRBlocks: 1
; VGPRBlocks: 0
; NumSGPRsForWavesPerEU: 10
; NumVGPRsForWavesPerEU: 5
; AccumOffset: 8
; Occupancy: 8
; WaveLimiterHint : 0
; COMPUTE_PGM_RSRC2:SCRATCH_EN: 0
; COMPUTE_PGM_RSRC2:USER_SGPR: 6
; COMPUTE_PGM_RSRC2:TRAP_HANDLER: 0
; COMPUTE_PGM_RSRC2:TGID_X_EN: 1
; COMPUTE_PGM_RSRC2:TGID_Y_EN: 0
; COMPUTE_PGM_RSRC2:TGID_Z_EN: 0
; COMPUTE_PGM_RSRC2:TIDIG_COMP_CNT: 0
; COMPUTE_PGM_RSRC3_GFX90A:ACCUM_OFFSET: 1
; COMPUTE_PGM_RSRC3_GFX90A:TG_SPLIT: 0
	.section	.text._ZN9rocsolver6v33100L16syev_scalar_caseI19rocblas_complex_numIfEfPS3_TnNSt9enable_ifIX18rocblas_is_complexIT_EEiE4typeELi0EEEv14rocblas_evect_T1_lPT0_li,"axG",@progbits,_ZN9rocsolver6v33100L16syev_scalar_caseI19rocblas_complex_numIfEfPS3_TnNSt9enable_ifIX18rocblas_is_complexIT_EEiE4typeELi0EEEv14rocblas_evect_T1_lPT0_li,comdat
	.globl	_ZN9rocsolver6v33100L16syev_scalar_caseI19rocblas_complex_numIfEfPS3_TnNSt9enable_ifIX18rocblas_is_complexIT_EEiE4typeELi0EEEv14rocblas_evect_T1_lPT0_li ; -- Begin function _ZN9rocsolver6v33100L16syev_scalar_caseI19rocblas_complex_numIfEfPS3_TnNSt9enable_ifIX18rocblas_is_complexIT_EEiE4typeELi0EEEv14rocblas_evect_T1_lPT0_li
	.p2align	8
	.type	_ZN9rocsolver6v33100L16syev_scalar_caseI19rocblas_complex_numIfEfPS3_TnNSt9enable_ifIX18rocblas_is_complexIT_EEiE4typeELi0EEEv14rocblas_evect_T1_lPT0_li,@function
_ZN9rocsolver6v33100L16syev_scalar_caseI19rocblas_complex_numIfEfPS3_TnNSt9enable_ifIX18rocblas_is_complexIT_EEiE4typeELi0EEEv14rocblas_evect_T1_lPT0_li: ; @_ZN9rocsolver6v33100L16syev_scalar_caseI19rocblas_complex_numIfEfPS3_TnNSt9enable_ifIX18rocblas_is_complexIT_EEiE4typeELi0EEEv14rocblas_evect_T1_lPT0_li
; %bb.0:
	s_load_dword s0, s[4:5], 0x3c
	s_load_dword s1, s[4:5], 0x28
	s_waitcnt lgkmcnt(0)
	s_and_b32 s0, s0, 0xffff
	s_mul_i32 s6, s6, s0
	v_add_u32_e32 v2, s6, v0
	v_cmp_gt_i32_e32 vcc, s1, v2
	s_and_saveexec_b64 s[0:1], vcc
	s_cbranch_execz .LBB80_3
; %bb.1:
	s_load_dwordx8 s[8:15], s[4:5], 0x8
	v_ashrrev_i32_e32 v3, 31, v2
	s_load_dword s2, s[4:5], 0x0
	s_waitcnt lgkmcnt(0)
	v_mul_lo_u32 v4, v2, s11
	v_mul_lo_u32 v5, v3, s10
	v_mad_u64_u32 v[0:1], s[0:1], v2, s10, 0
	v_add3_u32 v1, v1, v4, v5
	v_lshlrev_b64 v[0:1], 3, v[0:1]
	v_mov_b32_e32 v4, s9
	v_add_co_u32_e32 v0, vcc, s8, v0
	v_addc_co_u32_e32 v1, vcc, v4, v1, vcc
	global_load_dword v4, v[0:1], off
	v_mul_lo_u32 v5, v2, s15
	v_mul_lo_u32 v6, v3, s14
	v_mad_u64_u32 v[2:3], s[0:1], v2, s14, 0
	v_add3_u32 v3, v3, v5, v6
	v_lshlrev_b64 v[2:3], 2, v[2:3]
	v_mov_b32_e32 v5, s13
	v_add_co_u32_e32 v2, vcc, s12, v2
	v_addc_co_u32_e32 v3, vcc, v5, v3, vcc
	s_cmpk_lg_i32 s2, 0xd3
	s_waitcnt vmcnt(0)
	global_store_dword v[2:3], v4, off
	s_cbranch_scc1 .LBB80_3
; %bb.2:
	v_mov_b32_e32 v2, 1.0
	v_mov_b32_e32 v3, 0
	global_store_dwordx2 v[0:1], v[2:3], off
.LBB80_3:
	s_endpgm
	.section	.rodata,"a",@progbits
	.p2align	6, 0x0
	.amdhsa_kernel _ZN9rocsolver6v33100L16syev_scalar_caseI19rocblas_complex_numIfEfPS3_TnNSt9enable_ifIX18rocblas_is_complexIT_EEiE4typeELi0EEEv14rocblas_evect_T1_lPT0_li
		.amdhsa_group_segment_fixed_size 0
		.amdhsa_private_segment_fixed_size 0
		.amdhsa_kernarg_size 304
		.amdhsa_user_sgpr_count 6
		.amdhsa_user_sgpr_private_segment_buffer 1
		.amdhsa_user_sgpr_dispatch_ptr 0
		.amdhsa_user_sgpr_queue_ptr 0
		.amdhsa_user_sgpr_kernarg_segment_ptr 1
		.amdhsa_user_sgpr_dispatch_id 0
		.amdhsa_user_sgpr_flat_scratch_init 0
		.amdhsa_user_sgpr_kernarg_preload_length 0
		.amdhsa_user_sgpr_kernarg_preload_offset 0
		.amdhsa_user_sgpr_private_segment_size 0
		.amdhsa_uses_dynamic_stack 0
		.amdhsa_system_sgpr_private_segment_wavefront_offset 0
		.amdhsa_system_sgpr_workgroup_id_x 1
		.amdhsa_system_sgpr_workgroup_id_y 0
		.amdhsa_system_sgpr_workgroup_id_z 0
		.amdhsa_system_sgpr_workgroup_info 0
		.amdhsa_system_vgpr_workitem_id 0
		.amdhsa_next_free_vgpr 7
		.amdhsa_next_free_sgpr 16
		.amdhsa_accum_offset 8
		.amdhsa_reserve_vcc 1
		.amdhsa_reserve_flat_scratch 0
		.amdhsa_float_round_mode_32 0
		.amdhsa_float_round_mode_16_64 0
		.amdhsa_float_denorm_mode_32 3
		.amdhsa_float_denorm_mode_16_64 3
		.amdhsa_dx10_clamp 1
		.amdhsa_ieee_mode 1
		.amdhsa_fp16_overflow 0
		.amdhsa_tg_split 0
		.amdhsa_exception_fp_ieee_invalid_op 0
		.amdhsa_exception_fp_denorm_src 0
		.amdhsa_exception_fp_ieee_div_zero 0
		.amdhsa_exception_fp_ieee_overflow 0
		.amdhsa_exception_fp_ieee_underflow 0
		.amdhsa_exception_fp_ieee_inexact 0
		.amdhsa_exception_int_div_zero 0
	.end_amdhsa_kernel
	.section	.text._ZN9rocsolver6v33100L16syev_scalar_caseI19rocblas_complex_numIfEfPS3_TnNSt9enable_ifIX18rocblas_is_complexIT_EEiE4typeELi0EEEv14rocblas_evect_T1_lPT0_li,"axG",@progbits,_ZN9rocsolver6v33100L16syev_scalar_caseI19rocblas_complex_numIfEfPS3_TnNSt9enable_ifIX18rocblas_is_complexIT_EEiE4typeELi0EEEv14rocblas_evect_T1_lPT0_li,comdat
.Lfunc_end80:
	.size	_ZN9rocsolver6v33100L16syev_scalar_caseI19rocblas_complex_numIfEfPS3_TnNSt9enable_ifIX18rocblas_is_complexIT_EEiE4typeELi0EEEv14rocblas_evect_T1_lPT0_li, .Lfunc_end80-_ZN9rocsolver6v33100L16syev_scalar_caseI19rocblas_complex_numIfEfPS3_TnNSt9enable_ifIX18rocblas_is_complexIT_EEiE4typeELi0EEEv14rocblas_evect_T1_lPT0_li
                                        ; -- End function
	.section	.AMDGPU.csdata,"",@progbits
; Kernel info:
; codeLenInByte = 224
; NumSgprs: 20
; NumVgprs: 7
; NumAgprs: 0
; TotalNumVgprs: 7
; ScratchSize: 0
; MemoryBound: 0
; FloatMode: 240
; IeeeMode: 1
; LDSByteSize: 0 bytes/workgroup (compile time only)
; SGPRBlocks: 2
; VGPRBlocks: 0
; NumSGPRsForWavesPerEU: 20
; NumVGPRsForWavesPerEU: 7
; AccumOffset: 8
; Occupancy: 8
; WaveLimiterHint : 0
; COMPUTE_PGM_RSRC2:SCRATCH_EN: 0
; COMPUTE_PGM_RSRC2:USER_SGPR: 6
; COMPUTE_PGM_RSRC2:TRAP_HANDLER: 0
; COMPUTE_PGM_RSRC2:TGID_X_EN: 1
; COMPUTE_PGM_RSRC2:TGID_Y_EN: 0
; COMPUTE_PGM_RSRC2:TGID_Z_EN: 0
; COMPUTE_PGM_RSRC2:TIDIG_COMP_CNT: 0
; COMPUTE_PGM_RSRC3_GFX90A:ACCUM_OFFSET: 1
; COMPUTE_PGM_RSRC3_GFX90A:TG_SPLIT: 0
	.section	.text._ZN9rocsolver6v33100L18syevj_small_kernelI19rocblas_complex_numIfEfPS3_EEv14rocblas_esort_14rocblas_evect_13rocblas_fill_iT1_iilT0_S9_PS9_iPiSA_lSB_PT_,"axG",@progbits,_ZN9rocsolver6v33100L18syevj_small_kernelI19rocblas_complex_numIfEfPS3_EEv14rocblas_esort_14rocblas_evect_13rocblas_fill_iT1_iilT0_S9_PS9_iPiSA_lSB_PT_,comdat
	.globl	_ZN9rocsolver6v33100L18syevj_small_kernelI19rocblas_complex_numIfEfPS3_EEv14rocblas_esort_14rocblas_evect_13rocblas_fill_iT1_iilT0_S9_PS9_iPiSA_lSB_PT_ ; -- Begin function _ZN9rocsolver6v33100L18syevj_small_kernelI19rocblas_complex_numIfEfPS3_EEv14rocblas_esort_14rocblas_evect_13rocblas_fill_iT1_iilT0_S9_PS9_iPiSA_lSB_PT_
	.p2align	8
	.type	_ZN9rocsolver6v33100L18syevj_small_kernelI19rocblas_complex_numIfEfPS3_EEv14rocblas_esort_14rocblas_evect_13rocblas_fill_iT1_iilT0_S9_PS9_iPiSA_lSB_PT_,@function
_ZN9rocsolver6v33100L18syevj_small_kernelI19rocblas_complex_numIfEfPS3_EEv14rocblas_esort_14rocblas_evect_13rocblas_fill_iT1_iilT0_S9_PS9_iPiSA_lSB_PT_: ; @_ZN9rocsolver6v33100L18syevj_small_kernelI19rocblas_complex_numIfEfPS3_EEv14rocblas_esort_14rocblas_evect_13rocblas_fill_iT1_iilT0_S9_PS9_iPiSA_lSB_PT_
; %bb.0:
	s_load_dwordx8 s[16:23], s[4:5], 0x0
	s_load_dwordx2 s[0:1], s[4:5], 0x20
	s_load_dwordx2 s[8:9], s[4:5], 0x60
	s_ashr_i32 s43, s7, 31
	s_mov_b32 s42, s7
	s_waitcnt lgkmcnt(0)
	s_lshr_b32 s2, s19, 31
	s_add_i32 s2, s19, s2
	s_and_b32 s2, s2, -2
	s_sub_i32 s56, s19, s2
	s_add_i32 s56, s56, s19
	s_mul_i32 s1, s7, s1
	s_mul_hi_u32 s6, s7, s0
	s_lshr_b32 s2, s56, 31
	s_add_i32 s1, s6, s1
	s_mul_i32 s6, s43, s0
	s_add_i32 s2, s56, s2
	s_add_i32 s1, s1, s6
	s_mul_i32 s0, s7, s0
	s_ashr_i32 s36, s2, 1
	s_ashr_i32 s3, s22, 31
	s_lshl_b64 s[6:7], s[0:1], 3
	s_mov_b32 s2, s22
	s_add_u32 s0, s20, s6
	s_addc_u32 s1, s21, s7
	s_lshl_b64 s[50:51], s[2:3], 3
	s_add_u32 s34, s0, s50
	s_mul_i32 s0, s42, s19
	s_mul_i32 s0, s0, s19
	s_addc_u32 s35, s1, s51
	s_ashr_i32 s1, s0, 31
	s_lshl_b64 s[10:11], s[0:1], 3
	s_add_u32 s40, s8, s10
	s_addc_u32 s41, s9, s11
	s_min_i32 s33, s36, 0x100
	s_abs_i32 s0, s33
	v_cvt_f32_u32_e32 v1, s0
	s_sub_i32 s1, 0, s0
	s_ashr_i32 s57, s33, 31
	s_load_dwordx8 s[24:31], s[4:5], 0x40
	v_rcp_iflag_f32_e32 v1, v1
	v_mul_f32_e32 v1, 0x4f7ffffe, v1
	v_cvt_u32_f32_e32 v1, v1
	v_readfirstlane_b32 s2, v1
	s_mul_i32 s1, s1, s2
	s_mul_hi_u32 s1, s2, s1
	s_add_i32 s2, s2, s1
	s_lshr_b32 s1, s2, 22
	s_mul_i32 s3, s1, s0
	v_mul_hi_u32 v1, v0, s2
	s_sub_i32 s3, 0x400, s3
	v_mul_lo_u32 v2, v1, s0
	s_add_i32 s12, s1, 1
	s_sub_i32 s13, s3, s0
	v_sub_u32_e32 v2, v0, v2
	s_cmp_ge_u32 s3, s0
	v_add_u32_e32 v3, 1, v1
	v_cmp_le_u32_e32 vcc, s0, v2
	s_cselect_b32 s1, s12, s1
	v_cndmask_b32_e32 v1, v1, v3, vcc
	v_subrev_u32_e32 v3, s0, v2
	s_cselect_b32 s3, s13, s3
	s_add_i32 s12, s1, 1
	v_cndmask_b32_e32 v2, v2, v3, vcc
	s_cmp_ge_u32 s3, s0
	v_add_u32_e32 v3, 1, v1
	v_cmp_le_u32_e32 vcc, s0, v2
	s_cselect_b32 s1, s12, s1
	v_cndmask_b32_e32 v1, v1, v3, vcc
	s_xor_b32 s1, s1, s57
	v_xor_b32_e32 v25, s57, v1
	s_sub_i32 s38, s1, s57
	v_subrev_u32_e32 v2, s57, v25
	s_min_i32 s22, s36, s38
	v_mul_lo_u32 v24, v2, s33
	s_lshl_b32 s59, s22, 2
	v_sub_u32_e32 v26, v0, v24
	s_add_i32 s58, s59, 0
	v_cmp_eq_u32_e64 s[0:1], 0, v26
	s_and_saveexec_b64 s[12:13], s[0:1]
	s_cbranch_execz .LBB81_32
; %bb.1:
	s_cmpk_eq_i32 s18, 0x79
	v_cmp_gt_i32_e64 s[2:3], s19, v2
	s_cbranch_scc1 .LBB81_13
; %bb.2:
	s_mov_b32 s44, 0
	v_mov_b32_e32 v1, 0
	v_mov_b32_e32 v3, 0
	s_and_saveexec_b64 s[14:15], s[2:3]
	s_cbranch_execz .LBB81_15
; %bb.3:
	s_cmpk_lg_i32 s17, 0xd5
	s_cselect_b64 s[52:53], -1, 0
	s_add_u32 s37, s8, s10
	s_addc_u32 s39, s9, s11
	v_ashrrev_i32_e32 v3, 31, v2
	s_add_u32 s60, s37, 4
	v_lshlrev_b64 v[8:9], 3, v[2:3]
	s_addc_u32 s61, s39, 0
	v_mov_b32_e32 v1, s39
	v_add_co_u32_e32 v6, vcc, s37, v8
	s_ashr_i32 s39, s38, 31
	v_addc_co_u32_e32 v7, vcc, v1, v9, vcc
	s_ashr_i32 s37, s36, 31
	v_pk_mov_b32 v[10:11], s[38:39], s[38:39] op_sel:[0,1]
	v_cmp_lt_i64_e32 vcc, s[36:37], v[10:11]
	s_and_b64 s[46:47], vcc, exec
	s_cselect_b32 s47, s37, s39
	s_cselect_b32 s46, s36, s38
	s_ashr_i32 s49, s19, 31
	s_mov_b32 s48, s19
	s_lshl_b64 s[46:47], s[46:47], 3
	s_lshl_b64 s[48:49], s[48:49], 3
	s_add_u32 s6, s6, s50
	s_addc_u32 s7, s7, s51
	s_add_u32 s6, s20, s6
	s_addc_u32 s7, s21, s7
	v_mov_b32_e32 v1, s7
	v_add_co_u32_e32 v8, vcc, s6, v8
	v_addc_co_u32_e32 v9, vcc, v1, v9, vcc
	s_ashr_i32 s7, s23, 31
	s_mov_b32 s6, s23
	v_mov_b32_e32 v11, 0
	v_cndmask_b32_e64 v1, 0, 1, s[52:53]
	v_mul_lo_u32 v13, s23, v2
	s_mul_i32 s18, s23, s22
	v_mul_lo_u32 v4, s19, v2
	s_mul_i32 s62, s19, s22
	s_lshl_b64 s[50:51], s[6:7], 3
	s_mov_b64 s[20:21], 0
	v_mov_b32_e32 v27, s35
	v_mov_b32_e32 v28, s41
	v_cmp_ne_u32_e64 s[6:7], 1, v1
	v_mov_b32_e32 v10, 1.0
	v_mov_b32_e32 v12, v2
	v_mov_b32_e32 v1, v11
	;; [unrolled: 1-line block ×3, first 2 shown]
	s_branch .LBB81_6
.LBB81_4:                               ;   in Loop: Header=BB81_6 Depth=1
	s_or_b64 exec, exec, s[54:55]
.LBB81_5:                               ;   in Loop: Header=BB81_6 Depth=1
	s_or_b64 exec, exec, s[52:53]
	v_pk_mul_f32 v[14:15], v[14:15], v[14:15]
	v_add_f32_e32 v5, v14, v15
	v_add_f32_e32 v3, v3, v5
	v_mov_b32_e32 v5, s47
	v_add_co_u32_e32 v6, vcc, s46, v6
	v_add_u32_e32 v12, s22, v12
	v_addc_co_u32_e32 v7, vcc, v7, v5, vcc
	v_cmp_le_i32_e32 vcc, s19, v12
	s_or_b64 s[20:21], vcc, s[20:21]
	v_add_co_u32_e32 v8, vcc, s46, v8
	v_add_u32_e32 v13, s18, v13
	v_add_u32_e32 v4, s62, v4
	v_addc_co_u32_e32 v9, vcc, v9, v5, vcc
	s_andn2_b64 exec, exec, s[20:21]
	s_cbranch_execz .LBB81_14
.LBB81_6:                               ; =>This Loop Header: Depth=1
                                        ;     Child Loop BB81_11 Depth 2
	v_mad_u64_u32 v[14:15], s[52:53], v12, s23, v[12:13]
	v_ashrrev_i32_e32 v15, 31, v14
	v_lshlrev_b64 v[14:15], 3, v[14:15]
	v_add_co_u32_e32 v16, vcc, s34, v14
	v_addc_co_u32_e32 v17, vcc, v27, v15, vcc
	global_load_dwordx2 v[14:15], v[16:17], off
	v_mad_u64_u32 v[18:19], s[52:53], v12, s19, v[12:13]
	v_ashrrev_i32_e32 v19, 31, v18
	v_lshlrev_b64 v[18:19], 3, v[18:19]
	v_add_co_u32_e32 v18, vcc, s40, v18
	v_addc_co_u32_e32 v19, vcc, v28, v19, vcc
	s_and_b64 vcc, exec, s[6:7]
	s_waitcnt vmcnt(0)
	global_store_dwordx2 v[18:19], v[14:15], off
	s_cbranch_vccnz .LBB81_8
; %bb.7:                                ;   in Loop: Header=BB81_6 Depth=1
	global_store_dwordx2 v[16:17], v[10:11], off
.LBB81_8:                               ;   in Loop: Header=BB81_6 Depth=1
	v_cmp_lt_i32_e32 vcc, 0, v12
	s_and_saveexec_b64 s[52:53], vcc
	s_cbranch_execz .LBB81_5
; %bb.9:                                ;   in Loop: Header=BB81_6 Depth=1
	v_ashrrev_i32_e32 v5, 31, v4
	v_lshlrev_b64 v[16:17], 3, v[4:5]
	v_mov_b32_e32 v5, s61
	v_add_co_u32_e32 v16, vcc, s60, v16
	v_addc_co_u32_e32 v17, vcc, v5, v17, vcc
	s_mov_b32 s37, 0
	s_mov_b64 s[54:55], 0
	v_pk_mov_b32 v[18:19], v[8:9], v[8:9] op_sel:[0,1]
	v_pk_mov_b32 v[20:21], v[6:7], v[6:7] op_sel:[0,1]
	s_branch .LBB81_11
.LBB81_10:                              ;   in Loop: Header=BB81_11 Depth=2
	v_pk_mul_f32 v[22:23], v[22:23], v[22:23]
	v_add_co_u32_e32 v16, vcc, 8, v16
	v_add_f32_e32 v5, v22, v23
	v_addc_co_u32_e32 v17, vcc, 0, v17, vcc
	v_fmac_f32_e32 v1, 2.0, v5
	v_mov_b32_e32 v5, s49
	v_add_co_u32_e32 v20, vcc, s48, v20
	s_add_i32 s37, s37, 1
	v_addc_co_u32_e32 v21, vcc, v21, v5, vcc
	v_cmp_ge_i32_e32 vcc, s37, v12
	v_mov_b32_e32 v5, s51
	s_or_b64 s[54:55], vcc, s[54:55]
	v_add_co_u32_e32 v18, vcc, s50, v18
	v_addc_co_u32_e32 v19, vcc, v19, v5, vcc
	s_andn2_b64 exec, exec, s[54:55]
	s_cbranch_execz .LBB81_4
.LBB81_11:                              ;   Parent Loop BB81_6 Depth=1
                                        ; =>  This Inner Loop Header: Depth=2
	global_load_dwordx2 v[22:23], v[18:19], off
	s_and_b64 vcc, exec, s[6:7]
	s_waitcnt vmcnt(0)
	v_xor_b32_e32 v31, 0x80000000, v23
	v_mov_b32_e32 v30, v22
	global_store_dwordx2 v[20:21], v[22:23], off
	global_store_dwordx2 v[16:17], v[30:31], off offset:-4
	s_cbranch_vccnz .LBB81_10
; %bb.12:                               ;   in Loop: Header=BB81_11 Depth=2
	v_add_u32_e32 v30, s37, v13
	v_ashrrev_i32_e32 v31, 31, v30
	v_lshlrev_b64 v[30:31], 3, v[30:31]
	s_mov_b32 s45, s44
	v_add_co_u32_e32 v30, vcc, s34, v30
	v_pk_mov_b32 v[32:33], s[44:45], s[44:45] op_sel:[0,1]
	v_addc_co_u32_e32 v31, vcc, v27, v31, vcc
	global_store_dwordx2 v[18:19], v[32:33], off
	global_store_dwordx2 v[30:31], v[32:33], off
	s_branch .LBB81_10
.LBB81_13:
                                        ; implicit-def: $vgpr1
                                        ; implicit-def: $vgpr3
	s_branch .LBB81_16
.LBB81_14:
	s_or_b64 exec, exec, s[20:21]
.LBB81_15:
	s_or_b64 exec, exec, s[14:15]
	s_cbranch_execnz .LBB81_29
.LBB81_16:
	s_mov_b32 s14, 0
	v_mov_b32_e32 v1, 0
	v_mov_b32_e32 v3, 0
	s_and_saveexec_b64 s[6:7], s[2:3]
	s_cbranch_execz .LBB81_28
; %bb.17:
	s_cmpk_lg_i32 s17, 0xd5
	s_cselect_b64 s[2:3], -1, 0
	s_add_i32 s18, s19, -1
	s_add_u32 s15, s8, s10
	s_addc_u32 s20, s9, s11
	s_add_u32 s39, s15, 4
	v_mul_lo_u32 v1, s19, v2
	s_mul_i32 s15, s19, s18
	v_add_u32_e32 v4, s18, v1
	v_add_u32_e32 v1, s15, v25
	s_mul_i32 s15, s23, s18
	v_subrev_u32_e32 v22, s57, v1
	v_add_u32_e32 v1, s15, v25
	v_subrev_u32_e32 v23, s57, v1
	v_mov_b32_e32 v7, 0
	v_cndmask_b32_e64 v1, 0, 1, s[2:3]
	v_mul_lo_u32 v9, s23, v2
	s_mul_i32 s37, s23, s22
	s_addc_u32 s48, s20, 0
	s_mul_i32 s49, s19, s22
	s_mov_b64 s[20:21], 0
	v_mov_b32_e32 v27, s35
	v_mov_b32_e32 v28, s41
	v_cmp_ne_u32_e64 s[2:3], 1, v1
	v_mov_b32_e32 v6, 1.0
	v_mov_b32_e32 v8, v2
	v_mov_b32_e32 v1, v7
	;; [unrolled: 1-line block ×3, first 2 shown]
	s_branch .LBB81_20
.LBB81_18:                              ;   in Loop: Header=BB81_20 Depth=1
	s_or_b64 exec, exec, s[46:47]
.LBB81_19:                              ;   in Loop: Header=BB81_20 Depth=1
	s_or_b64 exec, exec, s[44:45]
	v_pk_mul_f32 v[10:11], v[10:11], v[10:11]
	v_add_u32_e32 v8, s22, v8
	v_add_f32_e32 v5, v10, v11
	v_cmp_le_i32_e32 vcc, s19, v8
	v_add_f32_e32 v3, v3, v5
	v_add_u32_e32 v9, s37, v9
	v_add_u32_e32 v4, s49, v4
	;; [unrolled: 1-line block ×3, first 2 shown]
	s_or_b64 s[20:21], vcc, s[20:21]
	v_add_u32_e32 v23, s22, v23
	s_andn2_b64 exec, exec, s[20:21]
	s_cbranch_execz .LBB81_27
.LBB81_20:                              ; =>This Loop Header: Depth=1
                                        ;     Child Loop BB81_25 Depth 2
	v_mad_u64_u32 v[10:11], s[44:45], v8, s23, v[8:9]
	v_ashrrev_i32_e32 v11, 31, v10
	v_lshlrev_b64 v[10:11], 3, v[10:11]
	v_add_co_u32_e32 v12, vcc, s34, v10
	v_addc_co_u32_e32 v13, vcc, v27, v11, vcc
	global_load_dwordx2 v[10:11], v[12:13], off
	v_mad_u64_u32 v[14:15], s[44:45], v8, s19, v[8:9]
	v_ashrrev_i32_e32 v15, 31, v14
	v_lshlrev_b64 v[14:15], 3, v[14:15]
	v_add_co_u32_e32 v14, vcc, s40, v14
	v_addc_co_u32_e32 v15, vcc, v28, v15, vcc
	s_and_b64 vcc, exec, s[2:3]
	s_waitcnt vmcnt(0)
	global_store_dwordx2 v[14:15], v[10:11], off
	s_cbranch_vccnz .LBB81_22
; %bb.21:                               ;   in Loop: Header=BB81_20 Depth=1
	global_store_dwordx2 v[12:13], v[6:7], off
.LBB81_22:                              ;   in Loop: Header=BB81_20 Depth=1
	v_cmp_gt_i32_e32 vcc, s18, v8
	s_and_saveexec_b64 s[44:45], vcc
	s_cbranch_execz .LBB81_19
; %bb.23:                               ;   in Loop: Header=BB81_20 Depth=1
	v_ashrrev_i32_e32 v5, 31, v4
	v_lshlrev_b64 v[12:13], 3, v[4:5]
	v_mov_b32_e32 v5, s48
	v_add_co_u32_e32 v12, vcc, s39, v12
	v_addc_co_u32_e32 v13, vcc, v5, v13, vcc
	s_mov_b64 s[46:47], 0
	v_mov_b32_e32 v14, v23
	v_mov_b32_e32 v16, v22
	s_mov_b32 s50, s18
	s_branch .LBB81_25
.LBB81_24:                              ;   in Loop: Header=BB81_25 Depth=2
	v_add_co_u32_e32 v12, vcc, -8, v12
	v_pk_mul_f32 v[18:19], v[20:21], v[20:21]
	s_add_i32 s50, s50, -1
	v_addc_co_u32_e32 v13, vcc, -1, v13, vcc
	v_add_f32_e32 v5, v18, v19
	v_cmp_le_i32_e32 vcc, s50, v8
	v_fmac_f32_e32 v1, 2.0, v5
	v_subrev_u32_e32 v16, s19, v16
	s_or_b64 s[46:47], vcc, s[46:47]
	v_subrev_u32_e32 v14, s23, v14
	s_andn2_b64 exec, exec, s[46:47]
	s_cbranch_execz .LBB81_18
.LBB81_25:                              ;   Parent Loop BB81_20 Depth=1
                                        ; =>  This Inner Loop Header: Depth=2
	v_ashrrev_i32_e32 v15, 31, v14
	v_lshlrev_b64 v[18:19], 3, v[14:15]
	v_add_co_u32_e32 v18, vcc, s34, v18
	v_addc_co_u32_e32 v19, vcc, v27, v19, vcc
	global_load_dwordx2 v[20:21], v[18:19], off
	v_ashrrev_i32_e32 v17, 31, v16
	v_lshlrev_b64 v[30:31], 3, v[16:17]
	v_add_co_u32_e32 v30, vcc, s40, v30
	v_addc_co_u32_e32 v31, vcc, v28, v31, vcc
	s_and_b64 vcc, exec, s[2:3]
	s_waitcnt vmcnt(0)
	global_store_dwordx2 v[30:31], v[20:21], off
	v_xor_b32_e32 v31, 0x80000000, v21
	v_mov_b32_e32 v30, v20
	global_store_dwordx2 v[12:13], v[30:31], off offset:-4
	s_cbranch_vccnz .LBB81_24
; %bb.26:                               ;   in Loop: Header=BB81_25 Depth=2
	v_add_u32_e32 v30, s50, v9
	v_ashrrev_i32_e32 v31, 31, v30
	v_lshlrev_b64 v[30:31], 3, v[30:31]
	s_mov_b32 s15, s14
	v_add_co_u32_e32 v30, vcc, s34, v30
	v_pk_mov_b32 v[32:33], s[14:15], s[14:15] op_sel:[0,1]
	v_addc_co_u32_e32 v31, vcc, v27, v31, vcc
	global_store_dwordx2 v[18:19], v[32:33], off
	global_store_dwordx2 v[30:31], v[32:33], off
	s_branch .LBB81_24
.LBB81_27:
	s_or_b64 exec, exec, s[20:21]
.LBB81_28:
	s_or_b64 exec, exec, s[6:7]
.LBB81_29:
	v_lshl_add_u32 v4, v2, 2, 0
	ds_write_b32 v4, v1
	v_lshl_add_u32 v1, v2, 3, s58
	v_mov_b32_e32 v4, 0
	v_cmp_gt_i32_e32 vcc, s36, v2
	ds_write2_b32 v1, v3, v4 offset1:1
	s_and_b64 exec, exec, vcc
	s_cbranch_execz .LBB81_32
; %bb.30:
	s_mul_i32 s2, s22, 12
	v_lshl_add_u32 v1, v25, 2, s2
	s_lshl_b32 s2, s57, 2
	v_subrev_u32_e32 v1, s2, v1
	v_lshlrev_b32_e32 v3, 1, v25
	s_lshl_b32 s2, s57, 1
	s_lshl_b32 s6, s36, 2
	v_add_u32_e32 v1, 0, v1
	v_subrev_u32_e32 v3, s2, v3
	s_lshl_b32 s7, s22, 1
	s_mov_b64 s[2:3], 0
	v_mov_b32_e32 v4, v2
.LBB81_31:                              ; =>This Inner Loop Header: Depth=1
	v_add_u32_e32 v4, s22, v4
	v_cmp_le_i32_e32 vcc, s36, v4
	ds_write_b32 v1, v3
	v_add_u32_e32 v5, 1, v3
	v_add_u32_e32 v6, s6, v1
	;; [unrolled: 1-line block ×4, first 2 shown]
	s_or_b64 s[2:3], vcc, s[2:3]
	ds_write_b32 v6, v5
	s_andn2_b64 exec, exec, s[2:3]
	s_cbranch_execnz .LBB81_31
.LBB81_32:
	s_or_b64 exec, exec, s[12:13]
	s_cmp_gt_i32 s22, 0
	s_mov_b32 s2, 0
	s_cselect_b64 s[20:21], -1, 0
	s_cmp_lt_i32 s22, 1
	v_mov_b32_e32 v5, 0
	v_mov_b32_e32 v4, 0
	s_waitcnt lgkmcnt(0)
	s_barrier
	s_cbranch_scc1 .LBB81_40
; %bb.33:
	s_cmp_lt_u32 s22, 8
	s_cbranch_scc1 .LBB81_37
; %bb.34:
	v_mov_b32_e32 v4, 0
	s_and_b32 s2, s22, 0x7ffffff8
	s_mov_b32 s3, 0
	s_mov_b32 s6, s58
	;; [unrolled: 1-line block ×3, first 2 shown]
	v_mov_b32_e32 v5, v4
.LBB81_35:                              ; =>This Inner Loop Header: Depth=1
	v_mov_b32_e32 v3, s6
	v_mov_b32_e32 v1, s3
	ds_read2_b32 v[14:15], v3 offset1:2
	ds_read2_b32 v[16:17], v3 offset0:4 offset1:6
	ds_read2_b32 v[18:19], v3 offset0:8 offset1:10
	ds_read2_b64 v[6:9], v1 offset1:1
	ds_read2_b32 v[20:21], v3 offset0:12 offset1:14
	ds_read2_b64 v[10:13], v1 offset0:2 offset1:3
	s_waitcnt lgkmcnt(5)
	v_mov_b32_e32 v22, v14
	s_waitcnt lgkmcnt(4)
	v_mov_b32_e32 v14, v16
	;; [unrolled: 2-line block ×3, first 2 shown]
	v_mov_b32_e32 v6, v15
	v_pk_add_f32 v[4:5], v[4:5], v[22:23]
	v_mov_b32_e32 v15, v8
	v_pk_add_f32 v[4:5], v[4:5], v[6:7]
	;; [unrolled: 2-line block ×3, first 2 shown]
	v_mov_b32_e32 v16, v18
	s_waitcnt lgkmcnt(0)
	v_mov_b32_e32 v17, v10
	v_pk_add_f32 v[4:5], v[4:5], v[8:9]
	v_mov_b32_e32 v10, v19
	v_pk_add_f32 v[4:5], v[4:5], v[16:17]
	v_mov_b32_e32 v18, v20
	v_mov_b32_e32 v19, v12
	v_pk_add_f32 v[4:5], v[4:5], v[10:11]
	s_add_i32 s7, s7, 8
	s_add_i32 s6, s6, 64
	;; [unrolled: 1-line block ×3, first 2 shown]
	v_mov_b32_e32 v12, v21
	v_pk_add_f32 v[4:5], v[4:5], v[18:19]
	s_cmp_lg_u32 s2, s7
	v_pk_add_f32 v[4:5], v[4:5], v[12:13]
	s_cbranch_scc1 .LBB81_35
; %bb.36:
	s_and_b32 s3, s22, 7
	s_cmp_eq_u32 s3, 0
	s_cbranch_scc0 .LBB81_38
	s_branch .LBB81_40
.LBB81_37:
	s_mov_b32 s3, s2
	v_pk_mov_b32 v[4:5], s[2:3], s[2:3] op_sel:[0,1]
	s_and_b32 s3, s22, 7
	s_cmp_eq_u32 s3, 0
	s_cbranch_scc1 .LBB81_40
.LBB81_38:
	s_lshl_b32 s6, s2, 3
	s_add_i32 s6, s6, s59
	s_lshl_b32 s2, s2, 2
	s_add_i32 s6, s6, 0
	s_add_i32 s2, s2, 0
.LBB81_39:                              ; =>This Inner Loop Header: Depth=1
	v_mov_b32_e32 v1, s2
	v_mov_b32_e32 v3, s6
	ds_read_b32 v7, v1
	ds_read_b32 v6, v3
	s_add_i32 s6, s6, 8
	s_add_i32 s2, s2, 4
	s_add_i32 s3, s3, -1
	s_cmp_lg_u32 s3, 0
	s_waitcnt lgkmcnt(0)
	v_pk_add_f32 v[4:5], v[4:5], v[6:7]
	s_cbranch_scc1 .LBB81_39
.LBB81_40:
	s_load_dwordx2 s[2:3], s[4:5], 0x28
	s_load_dword s18, s[4:5], 0x38
	v_add_f32_e32 v1, v4, v5
	s_mov_b32 s37, 0
	s_waitcnt lgkmcnt(0)
	v_mul_f32_e32 v1, s2, v1
	s_cmp_gt_i32 s18, 0
	v_mul_f32_e32 v1, s2, v1
	s_cselect_b64 s[6:7], -1, 0
	v_cmp_gt_f32_e32 vcc, v5, v1
	s_and_b64 s[6:7], s[6:7], vcc
	s_andn2_b64 vcc, exec, s[6:7]
	s_cbranch_vccnz .LBB81_130
; %bb.41:
	v_mov_b32_e32 v3, 0x800000
	v_div_scale_f32 v4, s[6:7], s3, s3, v3
	v_rcp_f32_e32 v5, v4
	s_mov_b32 s2, 0x800000
	v_mov_b32_e32 v6, s3
	v_div_scale_f32 v6, vcc, s2, v6, s2
	v_fma_f32 v7, -v4, v5, 1.0
	v_fmac_f32_e32 v5, v7, v5
	v_mul_f32_e32 v7, v6, v5
	v_fma_f32 v8, -v4, v7, v6
	v_fmac_f32_e32 v7, v8, v5
	v_fma_f32 v4, -v4, v7, v6
	v_div_fmas_f32 v4, v4, v5, v7
	v_div_fixup_f32 v30, v4, s3, v3
	s_abs_i32 s3, s22
	v_cvt_f32_u32_e32 v3, s3
	s_lshl_b32 s2, s22, 3
	s_sub_i32 s7, 0, s3
	s_add_i32 s76, s58, s2
	v_rcp_iflag_f32_e32 v3, v3
	s_lshl_b32 s2, s36, 2
	s_add_i32 s77, s76, s2
	s_add_i32 s2, s36, -1
	v_mul_f32_e32 v3, 0x4f7ffffe, v3
	v_cvt_u32_f32_e32 v3, v3
	s_xor_b32 s6, s2, s22
	s_abs_i32 s2, s2
	s_ashr_i32 s6, s6, 31
	v_readfirstlane_b32 s12, v3
	s_mul_i32 s7, s7, s12
	s_mul_hi_u32 s7, s12, s7
	s_add_i32 s12, s12, s7
	s_mul_hi_u32 s7, s2, s12
	s_mul_i32 s12, s7, s3
	s_sub_i32 s2, s2, s12
	s_add_i32 s12, s7, 1
	s_sub_i32 s13, s2, s3
	s_cmp_ge_u32 s2, s3
	s_cselect_b32 s7, s12, s7
	s_cselect_b32 s2, s13, s2
	s_add_i32 s12, s7, 1
	s_cmp_ge_u32 s2, s3
	s_cselect_b32 s2, s12, s7
	s_xor_b32 s2, s2, s6
	s_sub_i32 s78, s2, s6
	s_add_i32 s79, s56, -1
	s_cmp_gt_i32 s56, 1
	s_cselect_b64 s[46:47], -1, 0
	s_cmp_gt_i32 s78, -1
	s_cselect_b64 s[48:49], -1, 0
	s_add_i32 s80, s19, 1
	s_cmpk_lg_i32 s17, 0xd5
	s_cselect_b64 s[50:51], -1, 0
	s_max_i32 s81, s79, 1
	s_and_b32 s82, s22, 7
	s_cmp_gt_u32 s22, 7
	s_cselect_b64 s[52:53], -1, 0
	s_and_b32 s83, s22, 0x7ffffff8
	s_cmp_lg_u32 s82, 0
	v_sub_u32_e32 v3, s57, v25
	s_cselect_b64 s[54:55], -1, 0
	v_mad_u64_u32 v[4:5], s[12:13], s33, v3, v[0:1]
	s_lshl_b32 s56, s33, 1
	s_ashr_i32 s57, s56, 31
	s_mul_i32 s12, s19, s33
	v_lshl_add_u32 v32, v2, 3, s58
	v_lshlrev_b32_e32 v0, 1, v0
	v_lshlrev_b32_e32 v3, 1, v24
	s_lshl_b64 s[58:59], s[56:57], 3
	s_lshl_b32 s57, s12, 1
	v_sub_u32_e32 v0, v0, v3
	v_ashrrev_i32_e32 v3, 31, v2
	s_add_u32 s8, s8, s10
	v_lshlrev_b64 v[6:7], 3, v[2:3]
	s_addc_u32 s9, s9, s11
	v_mov_b32_e32 v3, s9
	v_add_co_u32_e32 v5, vcc, s8, v6
	v_addc_co_u32_e32 v3, vcc, v3, v7, vcc
	v_add_co_u32_e32 v6, vcc, 4, v5
	s_ashr_i32 s39, s38, 31
	v_addc_co_u32_e32 v7, vcc, 0, v3, vcc
	s_ashr_i32 s37, s36, 31
	v_pk_mov_b32 v[8:9], s[38:39], s[38:39] op_sel:[0,1]
	v_cmp_lt_i64_e32 vcc, s[36:37], v[8:9]
	s_and_b64 s[8:9], vcc, exec
	s_cselect_b32 s9, s37, s39
	s_cselect_b32 s8, s36, s38
	v_or_b32_e32 v33, 1, v0
	s_lshl_b64 s[60:61], s[8:9], 3
	s_ashr_i32 s9, s19, 31
	s_mov_b32 s8, s19
	s_mov_b32 s44, 0
	v_lshl_add_u32 v31, v2, 2, 0
	v_cmp_gt_i32_e64 s[2:3], s36, v26
	v_cmp_gt_i32_e64 s[6:7], s19, v2
	v_mul_lo_u32 v34, s19, v33
	v_mul_lo_u32 v35, s19, v0
	s_lshl_b64 s[62:63], s[8:9], 3
	s_mov_b32 s39, 0xf800000
	v_mov_b32_e32 v3, 0x260
	s_mov_b32 s84, 0x7f800000
	v_mov_b32_e32 v36, 0x7f800000
	v_mov_b32_e32 v37, 0xff800000
	s_mov_b32 s37, 0
                                        ; implicit-def: $vgpr12
                                        ; implicit-def: $vgpr9
                                        ; implicit-def: $vgpr10
                                        ; implicit-def: $vgpr18_vgpr19
	s_branch .LBB81_44
.LBB81_42:                              ;   in Loop: Header=BB81_44 Depth=1
	v_mov_b32_e32 v5, 0
.LBB81_43:                              ;   in Loop: Header=BB81_44 Depth=1
	s_add_i32 s37, s37, 1
	s_cmp_lt_i32 s37, s18
	s_cselect_b64 s[8:9], -1, 0
	v_cmp_gt_f32_e32 vcc, v5, v1
	s_and_b64 s[8:9], s[8:9], vcc
	s_and_b64 vcc, exec, s[8:9]
	s_cbranch_vccz .LBB81_130
.LBB81_44:                              ; =>This Loop Header: Depth=1
                                        ;     Child Loop BB81_47 Depth 2
                                        ;       Child Loop BB81_49 Depth 3
                                        ;         Child Loop BB81_84 Depth 4
                                        ;         Child Loop BB81_94 Depth 4
                                        ;     Child Loop BB81_116 Depth 2
                                        ;       Child Loop BB81_118 Depth 3
                                        ;     Child Loop BB81_125 Depth 2
                                        ;     Child Loop BB81_129 Depth 2
	s_andn2_b64 vcc, exec, s[46:47]
	s_cbranch_vccnz .LBB81_112
; %bb.45:                               ;   in Loop: Header=BB81_44 Depth=1
	s_mov_b32 s85, 0
	s_branch .LBB81_47
.LBB81_46:                              ;   in Loop: Header=BB81_47 Depth=2
	s_add_i32 s85, s85, 1
	s_cmp_eq_u32 s85, s81
	s_cbranch_scc1 .LBB81_112
.LBB81_47:                              ;   Parent Loop BB81_44 Depth=1
                                        ; =>  This Loop Header: Depth=2
                                        ;       Child Loop BB81_49 Depth 3
                                        ;         Child Loop BB81_84 Depth 4
                                        ;         Child Loop BB81_94 Depth 4
	s_andn2_b64 vcc, exec, s[48:49]
	s_cbranch_vccnz .LBB81_46
; %bb.48:                               ;   in Loop: Header=BB81_47 Depth=2
	s_mov_b32 s86, 0
.LBB81_49:                              ;   Parent Loop BB81_44 Depth=1
                                        ;     Parent Loop BB81_47 Depth=2
                                        ; =>    This Loop Header: Depth=3
                                        ;         Child Loop BB81_84 Depth 4
                                        ;         Child Loop BB81_94 Depth 4
	s_mul_i32 s8, s86, s22
	v_add_u32_e32 v15, s8, v2
	v_cmp_gt_i32_e64 s[8:9], s36, v15
	v_mov_b32_e32 v16, s19
	s_and_saveexec_b64 s[10:11], s[8:9]
	s_cbranch_execz .LBB81_51
; %bb.50:                               ;   in Loop: Header=BB81_49 Depth=3
	v_lshl_add_u32 v5, v15, 2, s76
	ds_read_b32 v16, v5
.LBB81_51:                              ;   in Loop: Header=BB81_49 Depth=3
	s_or_b64 exec, exec, s[10:11]
	v_mov_b32_e32 v14, s19
	v_lshl_add_u32 v5, v15, 2, s77
	s_and_saveexec_b64 s[10:11], s[8:9]
	s_cbranch_execz .LBB81_53
; %bb.52:                               ;   in Loop: Header=BB81_49 Depth=3
	ds_read_b32 v14, v5
.LBB81_53:                              ;   in Loop: Header=BB81_49 Depth=3
	s_or_b64 exec, exec, s[10:11]
	s_waitcnt lgkmcnt(0)
	v_cmp_gt_i32_e64 s[10:11], s19, v16
	s_and_b64 s[14:15], s[0:1], s[10:11]
	v_cmp_gt_i32_e64 s[12:13], s19, v14
	s_and_b64 s[64:65], s[14:15], s[12:13]
	s_and_saveexec_b64 s[66:67], s[64:65]
	s_cbranch_execz .LBB81_79
; %bb.54:                               ;   in Loop: Header=BB81_49 Depth=3
	v_mul_lo_u32 v8, v14, s19
	v_add_u32_e32 v12, v8, v16
	v_ashrrev_i32_e32 v13, 31, v12
	v_lshlrev_b64 v[12:13], 3, v[12:13]
	v_mov_b32_e32 v11, s41
	v_add_co_u32_e32 v12, vcc, s40, v12
	v_addc_co_u32_e32 v13, vcc, v11, v13, vcc
	global_load_dwordx2 v[20:21], v[12:13], off
                                        ; implicit-def: $vgpr11
	s_waitcnt vmcnt(0)
	v_cmp_gt_f32_e32 vcc, 0, v20
	v_cndmask_b32_e64 v12, v20, -v20, vcc
	v_cmp_gt_f32_e32 vcc, 0, v21
	v_cndmask_b32_e64 v13, v21, -v21, vcc
	v_cmp_ngt_f32_e32 vcc, v12, v13
	s_and_saveexec_b64 s[14:15], vcc
	s_xor_b64 s[68:69], exec, s[14:15]
	s_cbranch_execz .LBB81_58
; %bb.55:                               ;   in Loop: Header=BB81_49 Depth=3
	v_cmp_neq_f32_e32 vcc, 0, v21
	v_mov_b32_e32 v11, 0
	s_and_saveexec_b64 s[70:71], vcc
	s_cbranch_execz .LBB81_57
; %bb.56:                               ;   in Loop: Header=BB81_49 Depth=3
	v_div_scale_f32 v11, s[14:15], v13, v13, v12
	v_rcp_f32_e32 v17, v11
	v_div_scale_f32 v18, vcc, v12, v13, v12
	v_fma_f32 v19, -v11, v17, 1.0
	v_fmac_f32_e32 v17, v19, v17
	v_mul_f32_e32 v19, v18, v17
	v_fma_f32 v22, -v11, v19, v18
	v_fmac_f32_e32 v19, v22, v17
	v_fma_f32 v11, -v11, v19, v18
	v_div_fmas_f32 v11, v11, v17, v19
	v_div_fixup_f32 v11, v11, v13, v12
	v_fma_f32 v11, v11, v11, 1.0
	v_mul_f32_e32 v12, 0x4f800000, v11
	v_cmp_gt_f32_e32 vcc, s39, v11
	v_cndmask_b32_e32 v11, v11, v12, vcc
	v_sqrt_f32_e32 v12, v11
	v_add_u32_e32 v17, -1, v12
	v_fma_f32 v18, -v17, v12, v11
	v_cmp_ge_f32_e64 s[14:15], 0, v18
	v_add_u32_e32 v18, 1, v12
	v_cndmask_b32_e64 v17, v12, v17, s[14:15]
	v_fma_f32 v12, -v18, v12, v11
	v_cmp_lt_f32_e64 s[14:15], 0, v12
	v_cndmask_b32_e64 v12, v17, v18, s[14:15]
	v_mul_f32_e32 v17, 0x37800000, v12
	v_cndmask_b32_e32 v12, v12, v17, vcc
	v_cmp_class_f32_e32 vcc, v11, v3
	v_cndmask_b32_e32 v11, v12, v11, vcc
	v_mul_f32_e32 v11, v13, v11
.LBB81_57:                              ;   in Loop: Header=BB81_49 Depth=3
	s_or_b64 exec, exec, s[70:71]
                                        ; implicit-def: $vgpr12
                                        ; implicit-def: $vgpr13
.LBB81_58:                              ;   in Loop: Header=BB81_49 Depth=3
	s_andn2_saveexec_b64 s[68:69], s[68:69]
	s_cbranch_execz .LBB81_60
; %bb.59:                               ;   in Loop: Header=BB81_49 Depth=3
	v_div_scale_f32 v11, s[14:15], v12, v12, v13
	v_rcp_f32_e32 v17, v11
	v_div_scale_f32 v18, vcc, v13, v12, v13
	v_fma_f32 v19, -v11, v17, 1.0
	v_fmac_f32_e32 v17, v19, v17
	v_mul_f32_e32 v19, v18, v17
	v_fma_f32 v22, -v11, v19, v18
	v_fmac_f32_e32 v19, v22, v17
	v_fma_f32 v11, -v11, v19, v18
	v_div_fmas_f32 v11, v11, v17, v19
	v_div_fixup_f32 v11, v11, v12, v13
	v_fma_f32 v11, v11, v11, 1.0
	v_mul_f32_e32 v13, 0x4f800000, v11
	v_cmp_gt_f32_e32 vcc, s39, v11
	v_cndmask_b32_e32 v11, v11, v13, vcc
	v_sqrt_f32_e32 v13, v11
	v_add_u32_e32 v17, -1, v13
	v_fma_f32 v18, -v17, v13, v11
	v_cmp_ge_f32_e64 s[14:15], 0, v18
	v_add_u32_e32 v18, 1, v13
	v_cndmask_b32_e64 v17, v13, v17, s[14:15]
	v_fma_f32 v13, -v18, v13, v11
	v_cmp_lt_f32_e64 s[14:15], 0, v13
	v_cndmask_b32_e64 v13, v17, v18, s[14:15]
	v_mul_f32_e32 v17, 0x37800000, v13
	v_cndmask_b32_e32 v13, v13, v17, vcc
	v_cmp_class_f32_e32 vcc, v11, v3
	v_cndmask_b32_e32 v11, v13, v11, vcc
	v_mul_f32_e32 v11, v12, v11
.LBB81_60:                              ;   in Loop: Header=BB81_49 Depth=3
	s_or_b64 exec, exec, s[68:69]
	v_mul_f32_e32 v12, v11, v11
	s_mov_b32 s45, s44
	v_cmp_nlt_f32_e32 vcc, v12, v30
	v_pk_mov_b32 v[18:19], s[44:45], s[44:45] op_sel:[0,1]
	v_mov_b32_e32 v12, 1.0
	s_and_saveexec_b64 s[68:69], vcc
	s_cbranch_execz .LBB81_78
; %bb.61:                               ;   in Loop: Header=BB81_49 Depth=3
	v_add_u32_e32 v12, v8, v14
	v_ashrrev_i32_e32 v13, 31, v12
	v_lshlrev_b64 v[12:13], 3, v[12:13]
	v_mul_lo_u32 v18, v16, s80
	v_mov_b32_e32 v8, s41
	v_add_co_u32_e32 v12, vcc, s40, v12
	v_ashrrev_i32_e32 v19, 31, v18
	v_addc_co_u32_e32 v13, vcc, v8, v13, vcc
	v_lshlrev_b64 v[18:19], 3, v[18:19]
	v_add_co_u32_e32 v18, vcc, s40, v18
	v_addc_co_u32_e32 v19, vcc, v8, v19, vcc
	global_load_dword v8, v[12:13], off
	s_nop 0
	global_load_dword v12, v[18:19], off
	v_add_f32_e32 v13, v11, v11
	s_waitcnt vmcnt(0)
	v_sub_f32_e32 v17, v8, v12
	v_max_f32_e64 v8, |v17|, |v13|
	v_cvt_f64_f32_e32 v[18:19], v8
	v_frexp_exp_i32_f64_e32 v12, v[18:19]
	v_sub_u32_e32 v18, 0, v12
	v_ldexp_f32 v19, |v17|, v18
	v_ldexp_f32 v18, |v13|, v18
	v_mul_f32_e32 v18, v18, v18
	v_fmac_f32_e32 v18, v19, v19
	v_sqrt_f32_e32 v19, v18
	v_cmp_ngt_f32_e32 vcc, 0, v17
                                        ; implicit-def: $vgpr18
	s_and_saveexec_b64 s[14:15], vcc
	s_xor_b64 s[14:15], exec, s[14:15]
; %bb.62:                               ;   in Loop: Header=BB81_49 Depth=3
	v_ldexp_f32 v12, v19, v12
	v_cmp_neq_f32_e32 vcc, s84, v8
	v_cndmask_b32_e32 v18, v36, v12, vcc
                                        ; implicit-def: $vgpr19
                                        ; implicit-def: $vgpr12
                                        ; implicit-def: $vgpr8
; %bb.63:                               ;   in Loop: Header=BB81_49 Depth=3
	s_andn2_saveexec_b64 s[14:15], s[14:15]
; %bb.64:                               ;   in Loop: Header=BB81_49 Depth=3
	v_ldexp_f32 v12, -v19, v12
	v_cmp_neq_f32_e32 vcc, s84, v8
	v_cndmask_b32_e32 v18, v37, v12, vcc
; %bb.65:                               ;   in Loop: Header=BB81_49 Depth=3
	s_or_b64 exec, exec, s[14:15]
	v_cmp_neq_f32_e32 vcc, 0, v13
	v_mov_b32_e32 v8, 0
	v_mov_b32_e32 v12, 1.0
	s_and_saveexec_b64 s[70:71], vcc
	s_cbranch_execz .LBB81_73
; %bb.66:                               ;   in Loop: Header=BB81_49 Depth=3
	v_add_f32_e32 v17, v17, v18
	v_cmp_neq_f32_e32 vcc, 0, v17
	v_mov_b32_e32 v12, 0
	v_mov_b32_e32 v8, 1.0
	s_and_saveexec_b64 s[72:73], vcc
	s_cbranch_execz .LBB81_72
; %bb.67:                               ;   in Loop: Header=BB81_49 Depth=3
	v_cmp_ngt_f32_e64 s[14:15], |v13|, |v17|
                                        ; implicit-def: $vgpr12
                                        ; implicit-def: $vgpr8
	s_and_saveexec_b64 s[74:75], s[14:15]
	s_xor_b64 s[74:75], exec, s[74:75]
	s_cbranch_execz .LBB81_69
; %bb.68:                               ;   in Loop: Header=BB81_49 Depth=3
	v_div_scale_f32 v8, s[14:15], v17, v17, -v13
	v_rcp_f32_e32 v12, v8
	v_div_scale_f32 v18, vcc, -v13, v17, -v13
	v_fma_f32 v19, -v8, v12, 1.0
	v_fmac_f32_e32 v12, v19, v12
	v_mul_f32_e32 v19, v18, v12
	v_fma_f32 v22, -v8, v19, v18
	v_fmac_f32_e32 v19, v22, v12
	v_fma_f32 v8, -v8, v19, v18
	v_div_fmas_f32 v8, v8, v12, v19
	v_div_fixup_f32 v8, v8, v17, -v13
	v_fma_f32 v12, v8, v8, 1.0
	v_mul_f32_e32 v13, 0x4f800000, v12
	v_cmp_gt_f32_e32 vcc, s39, v12
	v_cndmask_b32_e32 v12, v12, v13, vcc
	v_sqrt_f32_e32 v13, v12
	v_add_u32_e32 v17, -1, v13
	v_fma_f32 v18, -v17, v13, v12
	v_cmp_ge_f32_e64 s[14:15], 0, v18
	v_add_u32_e32 v18, 1, v13
	v_cndmask_b32_e64 v17, v13, v17, s[14:15]
	v_fma_f32 v13, -v18, v13, v12
	v_cmp_lt_f32_e64 s[14:15], 0, v13
	v_cndmask_b32_e64 v13, v17, v18, s[14:15]
	v_mul_f32_e32 v17, 0x37800000, v13
	v_cndmask_b32_e32 v13, v13, v17, vcc
	v_cmp_class_f32_e32 vcc, v12, v3
	v_cndmask_b32_e32 v12, v13, v12, vcc
	v_div_scale_f32 v13, s[14:15], v12, v12, 1.0
	v_rcp_f32_e32 v17, v13
	v_fma_f32 v18, -v13, v17, 1.0
	v_fmac_f32_e32 v17, v18, v17
	v_div_scale_f32 v18, vcc, 1.0, v12, 1.0
	v_mul_f32_e32 v19, v18, v17
	v_fma_f32 v22, -v13, v19, v18
	v_fmac_f32_e32 v19, v22, v17
	v_fma_f32 v13, -v13, v19, v18
	v_div_fmas_f32 v13, v13, v17, v19
	v_div_fixup_f32 v12, v13, v12, 1.0
	v_mul_f32_e32 v8, v8, v12
                                        ; implicit-def: $vgpr13
                                        ; implicit-def: $vgpr17
.LBB81_69:                              ;   in Loop: Header=BB81_49 Depth=3
	s_andn2_saveexec_b64 s[74:75], s[74:75]
	s_cbranch_execz .LBB81_71
; %bb.70:                               ;   in Loop: Header=BB81_49 Depth=3
	v_div_scale_f32 v8, s[14:15], v13, v13, -v17
	v_rcp_f32_e32 v12, v8
	v_div_scale_f32 v18, vcc, -v17, v13, -v17
	v_fma_f32 v19, -v8, v12, 1.0
	v_fmac_f32_e32 v12, v19, v12
	v_mul_f32_e32 v19, v18, v12
	v_fma_f32 v22, -v8, v19, v18
	v_fmac_f32_e32 v19, v22, v12
	v_fma_f32 v8, -v8, v19, v18
	v_div_fmas_f32 v8, v8, v12, v19
	v_div_fixup_f32 v12, v8, v13, -v17
	v_fma_f32 v8, v12, v12, 1.0
	v_mul_f32_e32 v13, 0x4f800000, v8
	v_cmp_gt_f32_e32 vcc, s39, v8
	v_cndmask_b32_e32 v8, v8, v13, vcc
	v_sqrt_f32_e32 v13, v8
	v_add_u32_e32 v17, -1, v13
	v_fma_f32 v18, -v17, v13, v8
	v_cmp_ge_f32_e64 s[14:15], 0, v18
	v_add_u32_e32 v18, 1, v13
	v_cndmask_b32_e64 v17, v13, v17, s[14:15]
	v_fma_f32 v13, -v18, v13, v8
	v_cmp_lt_f32_e64 s[14:15], 0, v13
	v_cndmask_b32_e64 v13, v17, v18, s[14:15]
	v_mul_f32_e32 v17, 0x37800000, v13
	v_cndmask_b32_e32 v13, v13, v17, vcc
	v_cmp_class_f32_e32 vcc, v8, v3
	v_cndmask_b32_e32 v8, v13, v8, vcc
	v_div_scale_f32 v13, s[14:15], v8, v8, 1.0
	v_rcp_f32_e32 v17, v13
	v_fma_f32 v18, -v13, v17, 1.0
	v_fmac_f32_e32 v17, v18, v17
	v_div_scale_f32 v18, vcc, 1.0, v8, 1.0
	v_mul_f32_e32 v19, v18, v17
	v_fma_f32 v22, -v13, v19, v18
	v_fmac_f32_e32 v19, v22, v17
	v_fma_f32 v13, -v13, v19, v18
	v_div_fmas_f32 v13, v13, v17, v19
	v_div_fixup_f32 v8, v13, v8, 1.0
	v_mul_f32_e32 v12, v12, v8
.LBB81_71:                              ;   in Loop: Header=BB81_49 Depth=3
	s_or_b64 exec, exec, s[74:75]
.LBB81_72:                              ;   in Loop: Header=BB81_49 Depth=3
	s_or_b64 exec, exec, s[72:73]
.LBB81_73:                              ;   in Loop: Header=BB81_49 Depth=3
	s_or_b64 exec, exec, s[70:71]
	v_cmp_gt_f32_e32 vcc, 0, v11
	v_pk_mul_f32 v[22:23], v[20:21], v[8:9] op_sel_hi:[1,0]
	v_cndmask_b32_e64 v8, v11, -v11, vcc
	v_mov_b32_e32 v20, v23
	v_mov_b32_e32 v21, v22
	v_cmp_nlt_f32_e32 vcc, 0, v8
                                        ; implicit-def: $vgpr18_vgpr19
	s_and_saveexec_b64 s[14:15], vcc
	s_xor_b64 s[14:15], exec, s[14:15]
	s_cbranch_execz .LBB81_75
; %bb.74:                               ;   in Loop: Header=BB81_49 Depth=3
	v_div_scale_f32 v8, s[70:71], 0, 0, v11
	v_rcp_f32_e32 v13, v8
	v_div_scale_f32 v17, vcc, v11, 0, v11
	v_fma_f32 v18, -v8, v13, 1.0
	v_fmac_f32_e32 v13, v18, v13
	v_mul_f32_e32 v18, v17, v13
	v_fma_f32 v19, -v8, v18, v17
	v_fmac_f32_e32 v18, v19, v13
	v_fma_f32 v8, -v8, v18, v17
	v_div_fmas_f32 v8, v8, v13, v18
	v_div_fixup_f32 v8, v8, 0, v11
	v_fma_f32 v11, v11, v8, 0
	v_div_scale_f32 v13, s[70:71], v11, v11, 1.0
	v_rcp_f32_e32 v17, v13
	v_fma_f32 v18, -v13, v17, 1.0
	v_fmac_f32_e32 v17, v18, v17
	v_div_scale_f32 v18, vcc, 1.0, v11, 1.0
	v_mul_f32_e32 v19, v18, v17
	v_fma_f32 v24, -v13, v19, v18
	v_fmac_f32_e32 v19, v24, v17
	v_fma_f32 v13, -v13, v19, v18
	v_div_fmas_f32 v13, v13, v17, v19
	v_pk_fma_f32 v[24:25], v[8:9], v[22:23], v[20:21]
	v_pk_fma_f32 v[20:21], v[8:9], v[22:23], v[20:21] op_sel_hi:[0,1,1] neg_lo:[0,0,1] neg_hi:[0,0,1]
	v_div_fixup_f32 v18, v13, v11, 1.0
	v_mov_b32_e32 v25, v21
	v_pk_mul_f32 v[18:19], v[18:19], v[24:25] op_sel_hi:[0,1]
                                        ; implicit-def: $vgpr11
                                        ; implicit-def: $vgpr20_vgpr21
                                        ; implicit-def: $vgpr22_vgpr23
.LBB81_75:                              ;   in Loop: Header=BB81_49 Depth=3
	s_andn2_saveexec_b64 s[14:15], s[14:15]
	s_cbranch_execz .LBB81_77
; %bb.76:                               ;   in Loop: Header=BB81_49 Depth=3
	v_div_scale_f32 v8, s[70:71], v11, v11, 0
	v_rcp_f32_e32 v13, v8
	v_div_scale_f32 v17, vcc, 0, v11, 0
	v_fma_f32 v18, -v8, v13, 1.0
	v_fmac_f32_e32 v13, v18, v13
	v_mul_f32_e32 v18, v17, v13
	v_fma_f32 v19, -v8, v18, v17
	v_fmac_f32_e32 v18, v19, v13
	v_fma_f32 v8, -v8, v18, v17
	v_div_fmas_f32 v8, v8, v13, v18
	v_div_fixup_f32 v8, v8, v11, 0
	v_fmac_f32_e32 v11, 0, v8
	v_div_scale_f32 v13, s[70:71], v11, v11, 1.0
	v_rcp_f32_e32 v17, v13
	v_fma_f32 v18, -v13, v17, 1.0
	v_fmac_f32_e32 v17, v18, v17
	v_div_scale_f32 v18, vcc, 1.0, v11, 1.0
	v_mul_f32_e32 v19, v18, v17
	v_fma_f32 v24, -v13, v19, v18
	v_fmac_f32_e32 v19, v24, v17
	v_fma_f32 v13, -v13, v19, v18
	v_div_fmas_f32 v13, v13, v17, v19
	v_pk_fma_f32 v[24:25], v[8:9], v[20:21], v[22:23]
	v_pk_fma_f32 v[20:21], v[8:9], v[20:21], v[22:23] op_sel_hi:[0,1,1] neg_lo:[1,0,0] neg_hi:[1,0,0]
	v_div_fixup_f32 v18, v13, v11, 1.0
	v_mov_b32_e32 v25, v21
	v_pk_mul_f32 v[18:19], v[18:19], v[24:25] op_sel_hi:[0,1]
.LBB81_77:                              ;   in Loop: Header=BB81_49 Depth=3
	s_or_b64 exec, exec, s[14:15]
.LBB81_78:                              ;   in Loop: Header=BB81_49 Depth=3
	s_or_b64 exec, exec, s[68:69]
	ds_write_b32 v31, v12
	ds_write2_b32 v32, v18, v19 offset1:1
.LBB81_79:                              ;   in Loop: Header=BB81_49 Depth=3
	s_or_b64 exec, exec, s[66:67]
	s_and_b64 s[10:11], s[10:11], s[12:13]
	s_mov_b64 s[14:15], 0
	s_waitcnt lgkmcnt(0)
	s_barrier
	s_and_saveexec_b64 s[12:13], s[10:11]
	s_cbranch_execz .LBB81_91
; %bb.80:                               ;   in Loop: Header=BB81_49 Depth=3
	ds_read2_b32 v[18:19], v32 offset1:1
	ds_read_b32 v12, v31
	s_mov_b64 s[10:11], 0
	s_waitcnt lgkmcnt(1)
	v_xor_b32_e32 v9, 0x80000000, v19
	s_and_saveexec_b64 s[14:15], s[2:3]
	s_cbranch_execz .LBB81_90
; %bb.81:                               ;   in Loop: Header=BB81_49 Depth=3
	v_mad_u64_u32 v[22:23], s[10:11], v14, s19, v[0:1]
	v_mad_u64_u32 v[24:25], s[10:11], v16, s19, v[0:1]
	v_ashrrev_i32_e32 v23, 31, v22
	v_ashrrev_i32_e32 v25, 31, v24
	v_mul_lo_u32 v17, v16, s23
	v_mul_lo_u32 v38, v14, s23
	v_xor_b32_e32 v10, 0x80000000, v19
	v_mov_b32_e32 v11, v19
	v_mov_b32_e32 v20, v18
	;; [unrolled: 1-line block ×3, first 2 shown]
	s_waitcnt lgkmcnt(0)
	v_mov_b32_e32 v13, v12
	v_mov_b32_e32 v8, v19
	v_lshlrev_b64 v[22:23], 3, v[22:23]
	v_lshlrev_b64 v[24:25], 3, v[24:25]
	s_mov_b64 s[66:67], 0
	s_mov_b64 s[68:69], s[40:41]
	v_mov_b32_e32 v39, v0
	v_mov_b32_e32 v40, v4
	s_branch .LBB81_84
.LBB81_82:                              ;   in Loop: Header=BB81_84 Depth=4
	s_or_b64 exec, exec, s[70:71]
.LBB81_83:                              ;   in Loop: Header=BB81_84 Depth=4
	v_add_u32_e32 v40, s33, v40
	s_add_u32 s68, s68, s58
	s_addc_u32 s69, s69, s59
	v_cmp_le_i32_e32 vcc, s36, v40
	s_or_b64 s[66:67], vcc, s[66:67]
	v_add_u32_e32 v39, s56, v39
	s_andn2_b64 exec, exec, s[66:67]
	s_cbranch_execz .LBB81_89
.LBB81_84:                              ;   Parent Loop BB81_44 Depth=1
                                        ;     Parent Loop BB81_47 Depth=2
                                        ;       Parent Loop BB81_49 Depth=3
                                        ; =>      This Inner Loop Header: Depth=4
	v_mov_b32_e32 v29, s69
	v_add_co_u32_e32 v26, vcc, s68, v22
	v_addc_co_u32_e32 v27, vcc, v29, v23, vcc
	v_add_co_u32_e32 v28, vcc, s68, v24
	global_load_dwordx2 v[42:43], v[26:27], off
	v_addc_co_u32_e32 v29, vcc, v29, v25, vcc
	global_load_dwordx2 v[44:45], v[28:29], off
	v_add_u32_e32 v41, 1, v39
	v_cmp_gt_i32_e64 s[10:11], s19, v41
	s_waitcnt vmcnt(1)
	v_pk_mul_f32 v[46:47], v[18:19], v[42:43]
	v_mul_f32_e32 v50, v18, v43
	v_add_f32_e32 v46, v46, v47
	s_waitcnt vmcnt(0)
	v_pk_mul_f32 v[48:49], v[10:11], v[44:45]
	v_fma_f32 v47, -v8, v42, v50
	v_pk_fma_f32 v[48:49], v[20:21], v[44:45], v[48:49] op_sel:[0,0,1] op_sel_hi:[1,1,0] neg_lo:[1,0,0] neg_hi:[1,0,0]
	v_fmac_f32_e32 v46, v12, v44
	v_fmac_f32_e32 v47, v12, v45
	v_pk_fma_f32 v[42:43], v[12:13], v[42:43], v[48:49]
	global_store_dwordx2 v[28:29], v[46:47], off
	global_store_dwordx2 v[26:27], v[42:43], off
	s_and_saveexec_b64 s[70:71], s[10:11]
	s_cbranch_execz .LBB81_86
; %bb.85:                               ;   in Loop: Header=BB81_84 Depth=4
	global_load_dwordx2 v[42:43], v[26:27], off offset:8
	global_load_dwordx2 v[44:45], v[28:29], off offset:8
	s_waitcnt vmcnt(1)
	v_pk_mul_f32 v[46:47], v[18:19], v[42:43]
	v_mul_f32_e32 v41, v18, v43
	s_waitcnt vmcnt(0)
	v_pk_mul_f32 v[48:49], v[10:11], v[44:45]
	v_add_f32_e32 v46, v46, v47
	v_fma_f32 v47, -v8, v42, v41
	v_pk_fma_f32 v[48:49], v[20:21], v[44:45], v[48:49] op_sel:[0,0,1] op_sel_hi:[1,1,0] neg_lo:[1,0,0] neg_hi:[1,0,0]
	v_fmac_f32_e32 v46, v12, v44
	v_fmac_f32_e32 v47, v12, v45
	v_pk_fma_f32 v[42:43], v[12:13], v[42:43], v[48:49]
	global_store_dwordx2 v[28:29], v[46:47], off offset:8
	global_store_dwordx2 v[26:27], v[42:43], off offset:8
.LBB81_86:                              ;   in Loop: Header=BB81_84 Depth=4
	s_or_b64 exec, exec, s[70:71]
	s_andn2_b64 vcc, exec, s[50:51]
	s_cbranch_vccnz .LBB81_83
; %bb.87:                               ;   in Loop: Header=BB81_84 Depth=4
	v_add_u32_e32 v26, v17, v39
	v_ashrrev_i32_e32 v27, 31, v26
	v_lshlrev_b64 v[28:29], 3, v[26:27]
	v_add_u32_e32 v26, v38, v39
	v_ashrrev_i32_e32 v27, 31, v26
	v_lshlrev_b64 v[26:27], 3, v[26:27]
	v_mov_b32_e32 v42, s35
	v_add_co_u32_e32 v26, vcc, s34, v26
	v_addc_co_u32_e32 v27, vcc, v42, v27, vcc
	v_mov_b32_e32 v41, s35
	v_add_co_u32_e32 v28, vcc, s34, v28
	global_load_dwordx2 v[42:43], v[26:27], off
	v_addc_co_u32_e32 v29, vcc, v41, v29, vcc
	global_load_dwordx2 v[44:45], v[28:29], off
	s_waitcnt vmcnt(1)
	v_pk_mul_f32 v[46:47], v[18:19], v[42:43]
	v_mul_f32_e32 v41, v18, v43
	v_add_f32_e32 v46, v46, v47
	s_waitcnt vmcnt(0)
	v_pk_mul_f32 v[48:49], v[10:11], v[44:45]
	v_fma_f32 v47, -v8, v42, v41
	v_pk_fma_f32 v[48:49], v[20:21], v[44:45], v[48:49] op_sel:[0,0,1] op_sel_hi:[1,1,0] neg_lo:[1,0,0] neg_hi:[1,0,0]
	v_fmac_f32_e32 v46, v12, v44
	v_fmac_f32_e32 v47, v12, v45
	v_pk_fma_f32 v[42:43], v[12:13], v[42:43], v[48:49]
	global_store_dwordx2 v[28:29], v[46:47], off
	global_store_dwordx2 v[26:27], v[42:43], off
	s_and_saveexec_b64 s[70:71], s[10:11]
	s_cbranch_execz .LBB81_82
; %bb.88:                               ;   in Loop: Header=BB81_84 Depth=4
	global_load_dwordx2 v[42:43], v[26:27], off offset:8
	global_load_dwordx2 v[44:45], v[28:29], off offset:8
	s_waitcnt vmcnt(1)
	v_pk_mul_f32 v[46:47], v[18:19], v[42:43]
	v_mul_f32_e32 v41, v18, v43
	s_waitcnt vmcnt(0)
	v_pk_mul_f32 v[48:49], v[10:11], v[44:45]
	v_add_f32_e32 v46, v46, v47
	v_fma_f32 v47, -v8, v42, v41
	v_pk_fma_f32 v[48:49], v[20:21], v[44:45], v[48:49] op_sel:[0,0,1] op_sel_hi:[1,1,0] neg_lo:[1,0,0] neg_hi:[1,0,0]
	v_fmac_f32_e32 v46, v12, v44
	v_fmac_f32_e32 v47, v12, v45
	v_pk_fma_f32 v[42:43], v[12:13], v[42:43], v[48:49]
	global_store_dwordx2 v[28:29], v[46:47], off offset:8
	global_store_dwordx2 v[26:27], v[42:43], off offset:8
	s_branch .LBB81_82
.LBB81_89:                              ;   in Loop: Header=BB81_49 Depth=3
	s_or_b64 exec, exec, s[66:67]
	s_mov_b64 s[10:11], exec
.LBB81_90:                              ;   in Loop: Header=BB81_49 Depth=3
	s_or_b64 exec, exec, s[14:15]
	s_and_b64 s[14:15], s[10:11], exec
	v_mov_b32_e32 v10, v18
.LBB81_91:                              ;   in Loop: Header=BB81_49 Depth=3
	s_or_b64 exec, exec, s[12:13]
	s_waitcnt lgkmcnt(0)
	s_barrier
	s_and_saveexec_b64 s[10:11], s[14:15]
	s_cbranch_execz .LBB81_96
; %bb.92:                               ;   in Loop: Header=BB81_49 Depth=3
	v_xor_b32_e32 v8, 0x80000000, v9
	v_mov_b32_e32 v11, v10
	v_mov_b32_e32 v13, v12
	;; [unrolled: 1-line block ×3, first 2 shown]
	v_add_u32_e32 v17, v34, v16
	v_add_u32_e32 v21, v34, v14
	;; [unrolled: 1-line block ×4, first 2 shown]
	s_mov_b32 s45, 0
	s_mov_b64 s[12:13], 0
	v_mov_b32_e32 v24, v33
	v_mov_b32_e32 v25, v4
	s_branch .LBB81_94
.LBB81_93:                              ;   in Loop: Header=BB81_94 Depth=4
	s_or_b64 exec, exec, s[14:15]
	v_add_u32_e32 v25, s33, v25
	s_add_i32 s45, s45, s57
	v_cmp_le_i32_e32 vcc, s36, v25
	s_or_b64 s[12:13], vcc, s[12:13]
	v_add_u32_e32 v24, s56, v24
	s_andn2_b64 exec, exec, s[12:13]
	s_cbranch_execz .LBB81_96
.LBB81_94:                              ;   Parent Loop BB81_44 Depth=1
                                        ;     Parent Loop BB81_47 Depth=2
                                        ;       Parent Loop BB81_49 Depth=3
                                        ; =>      This Inner Loop Header: Depth=4
	v_add_u32_e32 v28, s45, v22
	v_ashrrev_i32_e32 v29, 31, v28
	v_add_u32_e32 v26, s45, v23
	v_lshlrev_b64 v[28:29], 3, v[28:29]
	v_ashrrev_i32_e32 v27, 31, v26
	v_mov_b32_e32 v38, s41
	v_add_co_u32_e32 v28, vcc, s40, v28
	v_lshlrev_b64 v[26:27], 3, v[26:27]
	v_addc_co_u32_e32 v29, vcc, v38, v29, vcc
	v_mov_b32_e32 v40, s41
	v_add_co_u32_e32 v26, vcc, s40, v26
	global_load_dwordx2 v[38:39], v[28:29], off
	v_addc_co_u32_e32 v27, vcc, v40, v27, vcc
	global_load_dwordx2 v[40:41], v[26:27], off
	v_cmp_gt_i32_e32 vcc, s19, v24
	s_waitcnt vmcnt(1)
	v_pk_mul_f32 v[42:43], v[18:19], v[38:39]
	v_mul_f32_e32 v45, v20, v38
	v_sub_f32_e32 v44, v42, v43
	s_waitcnt vmcnt(0)
	v_pk_mul_f32 v[46:47], v[8:9], v[40:41]
	v_fmac_f32_e32 v45, v18, v39
	v_pk_fma_f32 v[42:43], v[10:11], v[40:41], v[46:47] op_sel:[0,0,1] op_sel_hi:[1,1,0] neg_lo:[1,0,0] neg_hi:[1,0,0]
	v_fmac_f32_e32 v44, v12, v40
	v_fmac_f32_e32 v45, v12, v41
	v_pk_fma_f32 v[38:39], v[12:13], v[38:39], v[42:43]
	global_store_dwordx2 v[26:27], v[44:45], off
	global_store_dwordx2 v[28:29], v[38:39], off
	s_and_saveexec_b64 s[14:15], vcc
	s_cbranch_execz .LBB81_93
; %bb.95:                               ;   in Loop: Header=BB81_94 Depth=4
	v_add_u32_e32 v28, s45, v21
	v_ashrrev_i32_e32 v29, 31, v28
	v_add_u32_e32 v26, s45, v17
	v_lshlrev_b64 v[28:29], 3, v[28:29]
	v_ashrrev_i32_e32 v27, 31, v26
	v_mov_b32_e32 v38, s41
	v_add_co_u32_e32 v28, vcc, s40, v28
	v_lshlrev_b64 v[26:27], 3, v[26:27]
	v_addc_co_u32_e32 v29, vcc, v38, v29, vcc
	v_mov_b32_e32 v40, s41
	v_add_co_u32_e32 v26, vcc, s40, v26
	global_load_dwordx2 v[38:39], v[28:29], off
	v_addc_co_u32_e32 v27, vcc, v40, v27, vcc
	global_load_dwordx2 v[40:41], v[26:27], off
	s_waitcnt vmcnt(1)
	v_pk_mul_f32 v[42:43], v[18:19], v[38:39]
	v_mul_f32_e32 v45, v20, v38
	v_sub_f32_e32 v44, v42, v43
	s_waitcnt vmcnt(0)
	v_pk_mul_f32 v[46:47], v[8:9], v[40:41]
	v_fmac_f32_e32 v45, v18, v39
	v_pk_fma_f32 v[42:43], v[10:11], v[40:41], v[46:47] op_sel:[0,0,1] op_sel_hi:[1,1,0] neg_lo:[1,0,0] neg_hi:[1,0,0]
	v_fmac_f32_e32 v44, v12, v40
	v_fmac_f32_e32 v45, v12, v41
	v_pk_fma_f32 v[38:39], v[12:13], v[38:39], v[42:43]
	global_store_dwordx2 v[26:27], v[44:45], off
	global_store_dwordx2 v[28:29], v[38:39], off
	s_branch .LBB81_93
.LBB81_96:                              ;   in Loop: Header=BB81_49 Depth=3
	s_or_b64 exec, exec, s[10:11]
	s_barrier
	s_and_saveexec_b64 s[10:11], s[64:65]
	s_cbranch_execz .LBB81_98
; %bb.97:                               ;   in Loop: Header=BB81_49 Depth=3
	v_mad_u64_u32 v[20:21], s[12:13], v14, s19, v[16:17]
	v_ashrrev_i32_e32 v21, 31, v20
	v_lshlrev_b64 v[20:21], 3, v[20:21]
	v_mov_b32_e32 v8, s41
	v_add_co_u32_e32 v20, vcc, s40, v20
	s_mov_b32 s45, s44
	v_addc_co_u32_e32 v21, vcc, v8, v21, vcc
	v_pk_mov_b32 v[22:23], s[44:45], s[44:45] op_sel:[0,1]
	global_store_dwordx2 v[20:21], v[22:23], off
	v_mad_u64_u32 v[20:21], s[12:13], v16, s19, v[14:15]
	v_ashrrev_i32_e32 v21, 31, v20
	v_lshlrev_b64 v[20:21], 3, v[20:21]
	v_add_co_u32_e32 v20, vcc, s40, v20
	v_addc_co_u32_e32 v21, vcc, v8, v21, vcc
	global_store_dwordx2 v[20:21], v[22:23], off
.LBB81_98:                              ;   in Loop: Header=BB81_49 Depth=3
	s_or_b64 exec, exec, s[10:11]
	s_and_b64 s[8:9], s[0:1], s[8:9]
	s_barrier
	s_and_saveexec_b64 s[10:11], s[8:9]
	s_cbranch_execz .LBB81_110
; %bb.99:                               ;   in Loop: Header=BB81_49 Depth=3
	v_cmp_lt_i32_e32 vcc, 0, v16
	s_and_saveexec_b64 s[12:13], vcc
	s_cbranch_execz .LBB81_105
; %bb.100:                              ;   in Loop: Header=BB81_49 Depth=3
	v_cmp_ne_u32_e32 vcc, 2, v16
	v_cmp_ne_u32_e64 s[8:9], s79, v16
	s_and_b64 s[8:9], vcc, s[8:9]
                                        ; implicit-def: $vgpr8
	s_and_saveexec_b64 s[14:15], s[8:9]
	s_xor_b64 s[8:9], exec, s[14:15]
; %bb.101:                              ;   in Loop: Header=BB81_49 Depth=3
	v_and_b32_e32 v8, 1, v16
	v_cmp_eq_u32_e32 vcc, 0, v8
	v_cndmask_b32_e64 v8, 2, -2, vcc
	v_add_u32_e32 v8, v8, v16
                                        ; implicit-def: $vgpr16
; %bb.102:                              ;   in Loop: Header=BB81_49 Depth=3
	s_andn2_saveexec_b64 s[8:9], s[8:9]
; %bb.103:                              ;   in Loop: Header=BB81_49 Depth=3
	v_add_u32_e32 v8, -1, v16
; %bb.104:                              ;   in Loop: Header=BB81_49 Depth=3
	s_or_b64 exec, exec, s[8:9]
	v_lshl_add_u32 v11, v15, 2, s76
	ds_write_b32 v11, v8
.LBB81_105:                             ;   in Loop: Header=BB81_49 Depth=3
	s_or_b64 exec, exec, s[12:13]
	v_cmp_ne_u32_e32 vcc, 2, v14
	v_cmp_ne_u32_e64 s[8:9], s79, v14
	s_and_b64 s[8:9], vcc, s[8:9]
                                        ; implicit-def: $vgpr8
	s_and_saveexec_b64 s[12:13], s[8:9]
	s_xor_b64 s[8:9], exec, s[12:13]
; %bb.106:                              ;   in Loop: Header=BB81_49 Depth=3
	v_and_b32_e32 v8, 1, v14
	v_cmp_eq_u32_e32 vcc, 0, v8
	v_cndmask_b32_e64 v8, 2, -2, vcc
	v_add_u32_e32 v8, v8, v14
                                        ; implicit-def: $vgpr14
; %bb.107:                              ;   in Loop: Header=BB81_49 Depth=3
	s_andn2_saveexec_b64 s[8:9], s[8:9]
; %bb.108:                              ;   in Loop: Header=BB81_49 Depth=3
	v_add_u32_e32 v8, -1, v14
; %bb.109:                              ;   in Loop: Header=BB81_49 Depth=3
	s_or_b64 exec, exec, s[8:9]
	ds_write_b32 v5, v8
.LBB81_110:                             ;   in Loop: Header=BB81_49 Depth=3
	s_or_b64 exec, exec, s[10:11]
	s_add_i32 s8, s86, 1
	s_cmp_eq_u32 s86, s78
	s_waitcnt lgkmcnt(0)
	s_barrier
	s_cbranch_scc1 .LBB81_46
; %bb.111:                              ;   in Loop: Header=BB81_49 Depth=3
	s_mov_b32 s86, s8
	s_branch .LBB81_49
.LBB81_112:                             ;   in Loop: Header=BB81_44 Depth=1
	s_and_saveexec_b64 s[8:9], s[0:1]
	s_cbranch_execz .LBB81_122
; %bb.113:                              ;   in Loop: Header=BB81_44 Depth=1
	v_mov_b32_e32 v5, 0
	s_and_saveexec_b64 s[10:11], s[6:7]
	s_cbranch_execz .LBB81_121
; %bb.114:                              ;   in Loop: Header=BB81_44 Depth=1
	s_mov_b64 s[12:13], 0
	v_mov_b32_e32 v5, 0
	v_pk_mov_b32 v[14:15], v[6:7], v[6:7] op_sel:[0,1]
	v_mov_b32_e32 v8, v2
	s_branch .LBB81_116
.LBB81_115:                             ;   in Loop: Header=BB81_116 Depth=2
	s_or_b64 exec, exec, s[14:15]
	v_add_u32_e32 v8, s22, v8
	v_cmp_le_i32_e32 vcc, s19, v8
	v_mov_b32_e32 v11, s61
	s_or_b64 s[12:13], vcc, s[12:13]
	v_add_co_u32_e32 v14, vcc, s60, v14
	v_addc_co_u32_e32 v15, vcc, v15, v11, vcc
	s_andn2_b64 exec, exec, s[12:13]
	s_cbranch_execz .LBB81_120
.LBB81_116:                             ;   Parent Loop BB81_44 Depth=1
                                        ; =>  This Loop Header: Depth=2
                                        ;       Child Loop BB81_118 Depth 3
	v_cmp_lt_i32_e32 vcc, 0, v8
	s_and_saveexec_b64 s[14:15], vcc
	s_cbranch_execz .LBB81_115
; %bb.117:                              ;   in Loop: Header=BB81_116 Depth=2
	s_mov_b32 s45, 0
	s_mov_b64 s[64:65], 0
	v_pk_mov_b32 v[16:17], v[14:15], v[14:15] op_sel:[0,1]
.LBB81_118:                             ;   Parent Loop BB81_44 Depth=1
                                        ;     Parent Loop BB81_116 Depth=2
                                        ; =>    This Inner Loop Header: Depth=3
	global_load_dwordx2 v[20:21], v[16:17], off offset:-4
	v_mov_b32_e32 v11, s63
	v_add_co_u32_e32 v16, vcc, s62, v16
	s_add_i32 s45, s45, 1
	v_addc_co_u32_e32 v17, vcc, v17, v11, vcc
	v_cmp_ge_i32_e32 vcc, s45, v8
	s_or_b64 s[64:65], vcc, s[64:65]
	s_waitcnt vmcnt(0)
	v_mul_f32_e32 v11, v21, v21
	v_fmac_f32_e32 v11, v20, v20
	v_fmac_f32_e32 v5, 2.0, v11
	s_andn2_b64 exec, exec, s[64:65]
	s_cbranch_execnz .LBB81_118
; %bb.119:                              ;   in Loop: Header=BB81_116 Depth=2
	s_or_b64 exec, exec, s[64:65]
	s_branch .LBB81_115
.LBB81_120:                             ;   in Loop: Header=BB81_44 Depth=1
	s_or_b64 exec, exec, s[12:13]
.LBB81_121:                             ;   in Loop: Header=BB81_44 Depth=1
	s_or_b64 exec, exec, s[10:11]
	ds_write_b32 v31, v5
.LBB81_122:                             ;   in Loop: Header=BB81_44 Depth=1
	s_or_b64 exec, exec, s[8:9]
	s_andn2_b64 vcc, exec, s[20:21]
	s_waitcnt lgkmcnt(0)
	s_barrier
	s_cbranch_vccnz .LBB81_42
; %bb.123:                              ;   in Loop: Header=BB81_44 Depth=1
	s_mov_b32 s8, 0
	s_andn2_b64 vcc, exec, s[52:53]
	s_cbranch_vccnz .LBB81_127
; %bb.124:                              ;   in Loop: Header=BB81_44 Depth=1
	s_mov_b32 s9, 0
	v_mov_b32_e32 v5, 0
.LBB81_125:                             ;   Parent Loop BB81_44 Depth=1
                                        ; =>  This Inner Loop Header: Depth=2
	v_mov_b32_e32 v8, s9
	ds_read2_b64 v[14:17], v8 offset1:1
	ds_read2_b64 v[20:23], v8 offset0:2 offset1:3
	s_add_i32 s8, s8, 8
	s_add_i32 s9, s9, 32
	s_cmp_lg_u32 s83, s8
	s_waitcnt lgkmcnt(1)
	v_add_f32_e32 v5, v5, v14
	v_add_f32_e32 v5, v5, v15
	;; [unrolled: 1-line block ×4, first 2 shown]
	s_waitcnt lgkmcnt(0)
	v_add_f32_e32 v5, v5, v20
	v_add_f32_e32 v5, v5, v21
	;; [unrolled: 1-line block ×4, first 2 shown]
	s_cbranch_scc1 .LBB81_125
; %bb.126:                              ;   in Loop: Header=BB81_44 Depth=1
	s_mov_b32 s8, s83
	s_andn2_b64 vcc, exec, s[54:55]
	s_cbranch_vccz .LBB81_128
	s_branch .LBB81_43
.LBB81_127:                             ;   in Loop: Header=BB81_44 Depth=1
	v_mov_b32_e32 v5, 0
	s_andn2_b64 vcc, exec, s[54:55]
	s_cbranch_vccnz .LBB81_43
.LBB81_128:                             ;   in Loop: Header=BB81_44 Depth=1
	s_lshl_b32 s8, s8, 2
	s_add_i32 s8, s8, 0
	s_mov_b32 s9, s82
.LBB81_129:                             ;   Parent Loop BB81_44 Depth=1
                                        ; =>  This Inner Loop Header: Depth=2
	v_mov_b32_e32 v8, s8
	ds_read_b32 v8, v8
	s_add_i32 s8, s8, 4
	s_add_i32 s9, s9, -1
	s_cmp_lg_u32 s9, 0
	s_waitcnt lgkmcnt(0)
	v_add_f32_e32 v5, v5, v8
	s_cbranch_scc1 .LBB81_129
	s_branch .LBB81_43
.LBB81_130:
	s_mul_i32 s2, s42, s29
	s_mul_hi_u32 s3, s42, s28
	s_add_i32 s2, s3, s2
	s_mul_i32 s3, s43, s28
	s_add_i32 s7, s2, s3
	s_mul_i32 s6, s42, s28
	s_and_saveexec_b64 s[8:9], s[0:1]
	s_cbranch_execz .LBB81_136
; %bb.131:
	v_cmp_eq_u32_e32 vcc, 0, v2
	s_and_saveexec_b64 s[10:11], vcc
	s_cbranch_execz .LBB81_133
; %bb.132:
	s_load_dwordx2 s[2:3], s[4:5], 0x30
	s_lshl_b64 s[4:5], s[42:43], 2
	s_mov_b32 s20, 0xf800000
	v_mul_f32_e32 v1, 0x4f800000, v5
	v_cmp_gt_f32_e32 vcc, s20, v5
	s_waitcnt lgkmcnt(0)
	s_add_u32 s12, s2, s4
	s_addc_u32 s13, s3, s5
	v_cndmask_b32_e32 v1, v5, v1, vcc
	s_add_u32 s14, s24, s4
	v_sqrt_f32_e32 v3, v1
	s_addc_u32 s15, s25, s5
	s_add_u32 s4, s30, s4
	s_addc_u32 s5, s31, s5
	s_cmp_gt_i32 s37, s18
	v_add_u32_e32 v5, -1, v3
	s_cselect_b64 s[2:3], -1, 0
	v_fma_f32 v6, -v5, v3, v1
	v_cndmask_b32_e64 v4, 0, 1, s[2:3]
	v_cmp_ge_f32_e64 s[2:3], 0, v6
	v_add_u32_e32 v6, 1, v3
	v_cndmask_b32_e64 v5, v3, v5, s[2:3]
	v_fma_f32 v3, -v6, v3, v1
	v_cmp_lt_f32_e64 s[2:3], 0, v3
	v_cndmask_b32_e64 v3, v5, v6, s[2:3]
	v_mul_f32_e32 v5, 0x37800000, v3
	v_cndmask_b32_e32 v3, v3, v5, vcc
	v_mov_b32_e32 v5, 0x260
	v_cmp_class_f32_e32 vcc, v1, v5
	v_mov_b32_e32 v0, 0
	s_min_i32 s18, s37, s18
	v_cndmask_b32_e32 v1, v3, v1, vcc
	global_store_dword v0, v1, s[12:13]
	v_mov_b32_e32 v1, s18
	global_store_dword v0, v1, s[14:15]
	global_store_dword v0, v4, s[4:5]
.LBB81_133:
	s_or_b64 exec, exec, s[10:11]
	v_cmp_gt_i32_e32 vcc, s19, v2
	s_and_b64 exec, exec, vcc
	s_cbranch_execz .LBB81_136
; %bb.134:
	s_add_i32 s10, s19, 1
	s_lshl_b64 s[2:3], s[6:7], 2
	v_ashrrev_i32_e32 v3, 31, v2
	s_add_u32 s2, s26, s2
	v_lshlrev_b64 v[0:1], 2, v[2:3]
	s_addc_u32 s3, s27, s3
	v_mov_b32_e32 v3, s3
	v_add_co_u32_e32 v0, vcc, s2, v0
	s_ashr_i32 s39, s38, 31
	v_addc_co_u32_e32 v1, vcc, v3, v1, vcc
	s_ashr_i32 s37, s36, 31
	v_pk_mov_b32 v[4:5], s[38:39], s[38:39] op_sel:[0,1]
	v_cmp_lt_i64_e32 vcc, s[36:37], v[4:5]
	s_and_b64 s[2:3], vcc, exec
	s_cselect_b32 s3, s37, s39
	s_cselect_b32 s2, s36, s38
	s_lshl_b64 s[2:3], s[2:3], 2
	v_mad_u64_u32 v[4:5], s[4:5], v2, s19, v[2:3]
	s_mul_i32 s10, s22, s10
	s_mov_b64 s[4:5], 0
	v_mov_b32_e32 v3, s41
	v_mov_b32_e32 v6, s3
	;; [unrolled: 1-line block ×3, first 2 shown]
.LBB81_135:                             ; =>This Inner Loop Header: Depth=1
	v_ashrrev_i32_e32 v5, 31, v4
	v_lshlrev_b64 v[8:9], 3, v[4:5]
	v_add_co_u32_e32 v8, vcc, s40, v8
	v_addc_co_u32_e32 v9, vcc, v3, v9, vcc
	global_load_dword v5, v[8:9], off
	v_add_u32_e32 v7, s22, v7
	v_cmp_le_i32_e32 vcc, s19, v7
	s_or_b64 s[4:5], vcc, s[4:5]
	v_add_u32_e32 v4, s10, v4
	s_waitcnt vmcnt(0)
	global_store_dword v[0:1], v5, off
	v_add_co_u32_e32 v0, vcc, s2, v0
	v_addc_co_u32_e32 v1, vcc, v1, v6, vcc
	s_andn2_b64 exec, exec, s[4:5]
	s_cbranch_execnz .LBB81_135
.LBB81_136:
	s_or_b64 exec, exec, s[8:9]
	s_cmpk_eq_i32 s16, 0xfb
	s_cselect_b64 s[2:3], -1, 0
	s_cmp_lt_i32 s19, 2
	s_cselect_b64 s[4:5], -1, 0
	s_or_b64 s[2:3], s[2:3], s[4:5]
	s_and_b64 vcc, exec, s[2:3]
	s_barrier
	s_cbranch_vccnz .LBB81_147
; %bb.137:
	s_lshl_b64 s[2:3], s[6:7], 2
	s_add_u32 s18, s2, s26
	s_addc_u32 s24, s3, s27
	s_cmpk_lg_i32 s17, 0xd5
	s_cselect_b64 s[4:5], -1, 0
	v_cmp_gt_i32_e64 s[2:3], s19, v2
	s_and_b64 s[8:9], s[4:5], s[2:3]
	s_add_i32 s25, s19, -2
	s_add_u32 s10, s18, 4
	s_addc_u32 s11, s24, 0
	s_ashr_i32 s39, s38, 31
	s_ashr_i32 s37, s36, 31
	v_pk_mov_b32 v[0:1], s[38:39], s[38:39] op_sel:[0,1]
	v_cmp_lt_i64_e64 s[2:3], s[36:37], v[0:1]
	s_and_b64 s[2:3], s[2:3], exec
	s_mov_b32 s7, 0
	s_cselect_b32 s3, s37, s39
	s_cselect_b32 s2, s36, s38
	v_cmp_eq_u32_e32 vcc, 0, v2
	s_lshl_b64 s[12:13], s[2:3], 3
	v_mov_b32_e32 v3, 0
	v_mov_b32_e32 v0, v2
	s_mov_b32 s6, s7
	s_branch .LBB81_139
.LBB81_138:                             ;   in Loop: Header=BB81_139 Depth=1
	s_or_b64 exec, exec, s[14:15]
	s_add_u32 s10, s10, 4
	s_addc_u32 s11, s11, 0
	v_add_u32_e32 v0, s23, v0
	s_cmp_lg_u32 s6, s25
	s_mov_b32 s6, s26
	s_barrier
	s_cbranch_scc0 .LBB81_147
.LBB81_139:                             ; =>This Loop Header: Depth=1
                                        ;     Child Loop BB81_140 Depth 2
                                        ;     Child Loop BB81_146 Depth 2
	s_lshl_b64 s[2:3], s[6:7], 2
	s_add_u32 s16, s18, s2
	s_addc_u32 s17, s24, s3
	global_load_dword v1, v3, s[16:17]
	s_add_i32 s26, s6, 1
	s_mov_b64 s[14:15], s[10:11]
	s_mov_b32 s4, s6
	s_mov_b32 s5, s26
.LBB81_140:                             ;   Parent Loop BB81_139 Depth=1
                                        ; =>  This Inner Loop Header: Depth=2
	global_load_dword v4, v3, s[14:15]
	s_waitcnt vmcnt(0)
	v_cmp_lt_f32_e64 s[2:3], v4, v1
	v_cndmask_b32_e64 v1, v1, v4, s[2:3]
	s_and_b64 s[2:3], s[2:3], exec
	s_cselect_b32 s4, s5, s4
	s_add_i32 s5, s5, 1
	s_add_u32 s14, s14, 4
	s_addc_u32 s15, s15, 0
	s_cmp_lt_i32 s5, s19
	s_cbranch_scc1 .LBB81_140
; %bb.141:                              ;   in Loop: Header=BB81_139 Depth=1
	s_cmp_lg_u32 s4, s6
	s_cselect_b64 s[2:3], -1, 0
	s_and_b64 s[2:3], s[0:1], s[2:3]
	s_barrier
	s_and_saveexec_b64 s[14:15], s[2:3]
	s_cbranch_execz .LBB81_138
; %bb.142:                              ;   in Loop: Header=BB81_139 Depth=1
	s_and_saveexec_b64 s[2:3], vcc
	s_cbranch_execz .LBB81_144
; %bb.143:                              ;   in Loop: Header=BB81_139 Depth=1
	global_load_dword v4, v3, s[16:17]
	s_ashr_i32 s5, s4, 31
	s_lshl_b64 s[20:21], s[4:5], 2
	s_add_u32 s20, s18, s20
	s_addc_u32 s21, s24, s21
	s_waitcnt vmcnt(0)
	global_store_dword v3, v4, s[20:21]
	global_store_dword v3, v1, s[16:17]
.LBB81_144:                             ;   in Loop: Header=BB81_139 Depth=1
	s_or_b64 exec, exec, s[2:3]
	s_and_b64 exec, exec, s[8:9]
	s_cbranch_execz .LBB81_138
; %bb.145:                              ;   in Loop: Header=BB81_139 Depth=1
	s_mul_i32 s2, s4, s23
	v_add_u32_e32 v6, s2, v2
	v_ashrrev_i32_e32 v1, 31, v0
	v_ashrrev_i32_e32 v7, 31, v6
	v_lshlrev_b64 v[4:5], 3, v[0:1]
	v_lshlrev_b64 v[6:7], 3, v[6:7]
	s_mov_b64 s[16:17], 0
	s_mov_b64 s[20:21], s[34:35]
	v_mov_b32_e32 v1, v2
.LBB81_146:                             ;   Parent Loop BB81_139 Depth=1
                                        ; =>  This Inner Loop Header: Depth=2
	v_mov_b32_e32 v9, s21
	v_add_co_u32_e64 v8, s[2:3], s20, v4
	v_add_co_u32_e64 v10, s[4:5], s20, v6
	v_addc_co_u32_e64 v11, s[4:5], v9, v7, s[4:5]
	v_addc_co_u32_e64 v9, s[2:3], v9, v5, s[2:3]
	global_load_dwordx2 v[12:13], v[8:9], off
	global_load_dwordx2 v[14:15], v[10:11], off
	v_add_u32_e32 v1, s22, v1
	s_add_u32 s20, s20, s12
	s_addc_u32 s21, s21, s13
	v_cmp_le_i32_e64 s[2:3], s19, v1
	s_or_b64 s[16:17], s[2:3], s[16:17]
	s_waitcnt vmcnt(1)
	global_store_dwordx2 v[10:11], v[12:13], off
	s_waitcnt vmcnt(1)
	global_store_dwordx2 v[8:9], v[14:15], off
	s_andn2_b64 exec, exec, s[16:17]
	s_cbranch_execnz .LBB81_146
	s_branch .LBB81_138
.LBB81_147:
	s_endpgm
	.section	.rodata,"a",@progbits
	.p2align	6, 0x0
	.amdhsa_kernel _ZN9rocsolver6v33100L18syevj_small_kernelI19rocblas_complex_numIfEfPS3_EEv14rocblas_esort_14rocblas_evect_13rocblas_fill_iT1_iilT0_S9_PS9_iPiSA_lSB_PT_
		.amdhsa_group_segment_fixed_size 0
		.amdhsa_private_segment_fixed_size 0
		.amdhsa_kernarg_size 104
		.amdhsa_user_sgpr_count 6
		.amdhsa_user_sgpr_private_segment_buffer 1
		.amdhsa_user_sgpr_dispatch_ptr 0
		.amdhsa_user_sgpr_queue_ptr 0
		.amdhsa_user_sgpr_kernarg_segment_ptr 1
		.amdhsa_user_sgpr_dispatch_id 0
		.amdhsa_user_sgpr_flat_scratch_init 0
		.amdhsa_user_sgpr_kernarg_preload_length 0
		.amdhsa_user_sgpr_kernarg_preload_offset 0
		.amdhsa_user_sgpr_private_segment_size 0
		.amdhsa_uses_dynamic_stack 0
		.amdhsa_system_sgpr_private_segment_wavefront_offset 0
		.amdhsa_system_sgpr_workgroup_id_x 1
		.amdhsa_system_sgpr_workgroup_id_y 0
		.amdhsa_system_sgpr_workgroup_id_z 1
		.amdhsa_system_sgpr_workgroup_info 0
		.amdhsa_system_vgpr_workitem_id 0
		.amdhsa_next_free_vgpr 51
		.amdhsa_next_free_sgpr 87
		.amdhsa_accum_offset 52
		.amdhsa_reserve_vcc 1
		.amdhsa_reserve_flat_scratch 0
		.amdhsa_float_round_mode_32 0
		.amdhsa_float_round_mode_16_64 0
		.amdhsa_float_denorm_mode_32 3
		.amdhsa_float_denorm_mode_16_64 3
		.amdhsa_dx10_clamp 1
		.amdhsa_ieee_mode 1
		.amdhsa_fp16_overflow 0
		.amdhsa_tg_split 0
		.amdhsa_exception_fp_ieee_invalid_op 0
		.amdhsa_exception_fp_denorm_src 0
		.amdhsa_exception_fp_ieee_div_zero 0
		.amdhsa_exception_fp_ieee_overflow 0
		.amdhsa_exception_fp_ieee_underflow 0
		.amdhsa_exception_fp_ieee_inexact 0
		.amdhsa_exception_int_div_zero 0
	.end_amdhsa_kernel
	.section	.text._ZN9rocsolver6v33100L18syevj_small_kernelI19rocblas_complex_numIfEfPS3_EEv14rocblas_esort_14rocblas_evect_13rocblas_fill_iT1_iilT0_S9_PS9_iPiSA_lSB_PT_,"axG",@progbits,_ZN9rocsolver6v33100L18syevj_small_kernelI19rocblas_complex_numIfEfPS3_EEv14rocblas_esort_14rocblas_evect_13rocblas_fill_iT1_iilT0_S9_PS9_iPiSA_lSB_PT_,comdat
.Lfunc_end81:
	.size	_ZN9rocsolver6v33100L18syevj_small_kernelI19rocblas_complex_numIfEfPS3_EEv14rocblas_esort_14rocblas_evect_13rocblas_fill_iT1_iilT0_S9_PS9_iPiSA_lSB_PT_, .Lfunc_end81-_ZN9rocsolver6v33100L18syevj_small_kernelI19rocblas_complex_numIfEfPS3_EEv14rocblas_esort_14rocblas_evect_13rocblas_fill_iT1_iilT0_S9_PS9_iPiSA_lSB_PT_
                                        ; -- End function
	.section	.AMDGPU.csdata,"",@progbits
; Kernel info:
; codeLenInByte = 7436
; NumSgprs: 91
; NumVgprs: 51
; NumAgprs: 0
; TotalNumVgprs: 51
; ScratchSize: 0
; MemoryBound: 0
; FloatMode: 240
; IeeeMode: 1
; LDSByteSize: 0 bytes/workgroup (compile time only)
; SGPRBlocks: 11
; VGPRBlocks: 6
; NumSGPRsForWavesPerEU: 91
; NumVGPRsForWavesPerEU: 51
; AccumOffset: 52
; Occupancy: 8
; WaveLimiterHint : 0
; COMPUTE_PGM_RSRC2:SCRATCH_EN: 0
; COMPUTE_PGM_RSRC2:USER_SGPR: 6
; COMPUTE_PGM_RSRC2:TRAP_HANDLER: 0
; COMPUTE_PGM_RSRC2:TGID_X_EN: 1
; COMPUTE_PGM_RSRC2:TGID_Y_EN: 0
; COMPUTE_PGM_RSRC2:TGID_Z_EN: 1
; COMPUTE_PGM_RSRC2:TIDIG_COMP_CNT: 0
; COMPUTE_PGM_RSRC3_GFX90A:ACCUM_OFFSET: 12
; COMPUTE_PGM_RSRC3_GFX90A:TG_SPLIT: 0
	.section	.text._ZN9rocsolver6v33100L10syevj_initI19rocblas_complex_numIfEfPS3_EEv14rocblas_evect_13rocblas_fill_iiT1_iilT0_PS8_PT_S9_PiSC_SC_,"axG",@progbits,_ZN9rocsolver6v33100L10syevj_initI19rocblas_complex_numIfEfPS3_EEv14rocblas_evect_13rocblas_fill_iiT1_iilT0_PS8_PT_S9_PiSC_SC_,comdat
	.globl	_ZN9rocsolver6v33100L10syevj_initI19rocblas_complex_numIfEfPS3_EEv14rocblas_evect_13rocblas_fill_iiT1_iilT0_PS8_PT_S9_PiSC_SC_ ; -- Begin function _ZN9rocsolver6v33100L10syevj_initI19rocblas_complex_numIfEfPS3_EEv14rocblas_evect_13rocblas_fill_iiT1_iilT0_PS8_PT_S9_PiSC_SC_
	.p2align	8
	.type	_ZN9rocsolver6v33100L10syevj_initI19rocblas_complex_numIfEfPS3_EEv14rocblas_evect_13rocblas_fill_iiT1_iilT0_PS8_PT_S9_PiSC_SC_,@function
_ZN9rocsolver6v33100L10syevj_initI19rocblas_complex_numIfEfPS3_EEv14rocblas_evect_13rocblas_fill_iiT1_iilT0_PS8_PT_S9_PiSC_SC_: ; @_ZN9rocsolver6v33100L10syevj_initI19rocblas_complex_numIfEfPS3_EEv14rocblas_evect_13rocblas_fill_iiT1_iilT0_PS8_PT_S9_PiSC_SC_
; %bb.0:
	s_load_dword s2, s[4:5], 0x6c
	s_load_dwordx8 s[8:15], s[4:5], 0x0
	s_load_dwordx4 s[24:27], s[4:5], 0x50
	s_load_dwordx2 s[0:1], s[4:5], 0x20
	s_load_dwordx8 s[16:23], s[4:5], 0x30
	s_mov_b32 s6, s7
	s_waitcnt lgkmcnt(0)
	s_and_b32 s33, s2, 0xffff
	s_ashr_i32 s7, s7, 31
	s_mul_i32 s1, s6, s1
	s_mul_hi_u32 s2, s6, s0
	s_add_i32 s1, s2, s1
	s_mul_i32 s2, s7, s0
	s_add_i32 s1, s1, s2
	s_mul_i32 s0, s6, s0
	s_ashr_i32 s29, s14, 31
	s_lshl_b64 s[2:3], s[0:1], 3
	s_mov_b32 s28, s14
	s_add_u32 s0, s12, s2
	s_addc_u32 s1, s13, s3
	s_lshl_b64 s[38:39], s[28:29], 3
	s_add_u32 s14, s0, s38
	s_mul_i32 s0, s6, s11
	s_mul_i32 s0, s0, s11
	s_addc_u32 s45, s1, s39
	s_ashr_i32 s1, s0, 31
	s_lshl_b64 s[28:29], s[0:1], 3
	s_add_u32 s44, s18, s28
	s_addc_u32 s46, s19, s29
	s_cmpk_eq_i32 s9, 0x79
	v_cmp_gt_i32_e64 s[0:1], s11, v0
	s_cbranch_scc1 .LBB82_12
; %bb.1:
	s_mov_b32 s34, 0
	s_mov_b32 s35, s34
	v_pk_mov_b32 v[2:3], s[34:35], s[34:35] op_sel:[0,1]
	s_and_saveexec_b64 s[30:31], s[0:1]
	s_cbranch_execz .LBB82_14
; %bb.2:
	s_add_i32 s9, s11, 1
	s_cmpk_lg_i32 s8, 0xd5
	s_cselect_b64 s[40:41], -1, 0
	s_add_u32 s35, s18, s28
	s_addc_u32 s36, s19, s29
	s_add_u32 s48, s35, 4
	s_addc_u32 s49, s36, 0
	v_mov_b32_e32 v3, s36
	s_ashr_i32 s37, s11, 31
	s_mov_b32 s36, s11
	s_lshl_b32 s51, s33, 3
	s_lshl_b64 s[36:37], s[36:37], 3
	s_add_u32 s2, s2, s38
	v_lshlrev_b32_e32 v2, 3, v0
	s_addc_u32 s3, s3, s39
	v_add_co_u32_e32 v6, vcc, s35, v2
	s_add_u32 s2, s12, s2
	v_addc_co_u32_e32 v7, vcc, 0, v3, vcc
	s_addc_u32 s3, s13, s3
	v_mov_b32_e32 v3, s3
	v_add_co_u32_e32 v8, vcc, s2, v2
	s_ashr_i32 s3, s15, 31
	s_mov_b32 s2, s15
	v_mov_b32_e32 v11, 0
	v_cndmask_b32_e64 v2, 0, 1, s[40:41]
	v_mul_lo_u32 v1, v0, s15
	s_mul_i32 s47, s15, s33
	v_mul_lo_u32 v4, v0, s11
	s_mul_i32 s50, s11, s33
	s_mov_b32 s52, s34
	v_addc_co_u32_e32 v9, vcc, 0, v3, vcc
	s_lshl_b64 s[38:39], s[2:3], 3
	s_mov_b64 s[12:13], 0
	v_mov_b32_e32 v13, s45
	v_mov_b32_e32 v24, s46
	v_cmp_ne_u32_e64 s[2:3], 1, v2
	v_mov_b32_e32 v10, 1.0
	v_mov_b32_e32 v12, v0
	v_mov_b32_e32 v3, v11
	;; [unrolled: 1-line block ×3, first 2 shown]
	s_branch .LBB82_5
.LBB82_3:                               ;   in Loop: Header=BB82_5 Depth=1
	s_or_b64 exec, exec, s[42:43]
.LBB82_4:                               ;   in Loop: Header=BB82_5 Depth=1
	s_or_b64 exec, exec, s[40:41]
	v_pk_mul_f32 v[14:15], v[14:15], v[14:15]
	v_add_f32_e32 v5, v14, v15
	v_add_f32_e32 v2, v2, v5
	v_mov_b32_e32 v5, s52
	v_add_co_u32_e32 v6, vcc, s51, v6
	v_add_u32_e32 v12, s33, v12
	v_addc_co_u32_e32 v7, vcc, v7, v5, vcc
	v_cmp_le_i32_e32 vcc, s11, v12
	s_or_b64 s[12:13], vcc, s[12:13]
	v_add_co_u32_e32 v8, vcc, s51, v8
	v_add_u32_e32 v1, s47, v1
	v_add_u32_e32 v4, s50, v4
	v_addc_co_u32_e32 v9, vcc, v9, v5, vcc
	s_andn2_b64 exec, exec, s[12:13]
	s_cbranch_execz .LBB82_13
.LBB82_5:                               ; =>This Loop Header: Depth=1
                                        ;     Child Loop BB82_10 Depth 2
	v_mad_u64_u32 v[14:15], s[40:41], v12, s15, v[12:13]
	v_ashrrev_i32_e32 v15, 31, v14
	v_lshlrev_b64 v[14:15], 3, v[14:15]
	v_add_co_u32_e32 v16, vcc, s14, v14
	v_addc_co_u32_e32 v17, vcc, v13, v15, vcc
	global_load_dwordx2 v[14:15], v[16:17], off
	v_mul_lo_u32 v18, v12, s9
	v_ashrrev_i32_e32 v19, 31, v18
	v_lshlrev_b64 v[18:19], 3, v[18:19]
	v_add_co_u32_e32 v18, vcc, s44, v18
	v_addc_co_u32_e32 v19, vcc, v24, v19, vcc
	s_and_b64 vcc, exec, s[2:3]
	s_waitcnt vmcnt(0)
	global_store_dwordx2 v[18:19], v[14:15], off
	s_cbranch_vccnz .LBB82_7
; %bb.6:                                ;   in Loop: Header=BB82_5 Depth=1
	global_store_dwordx2 v[16:17], v[10:11], off
.LBB82_7:                               ;   in Loop: Header=BB82_5 Depth=1
	v_cmp_ne_u32_e32 vcc, 0, v12
	s_and_saveexec_b64 s[40:41], vcc
	s_cbranch_execz .LBB82_4
; %bb.8:                                ;   in Loop: Header=BB82_5 Depth=1
	v_ashrrev_i32_e32 v5, 31, v4
	v_lshlrev_b64 v[16:17], 3, v[4:5]
	v_mov_b32_e32 v5, s49
	v_add_co_u32_e32 v16, vcc, s48, v16
	v_addc_co_u32_e32 v17, vcc, v5, v17, vcc
	s_mov_b32 s53, 0
	s_mov_b64 s[42:43], 0
	v_pk_mov_b32 v[18:19], v[8:9], v[8:9] op_sel:[0,1]
	v_pk_mov_b32 v[20:21], v[6:7], v[6:7] op_sel:[0,1]
	s_branch .LBB82_10
.LBB82_9:                               ;   in Loop: Header=BB82_10 Depth=2
	v_pk_mul_f32 v[22:23], v[22:23], v[22:23]
	v_add_co_u32_e32 v16, vcc, 8, v16
	v_add_f32_e32 v5, v22, v23
	v_addc_co_u32_e32 v17, vcc, 0, v17, vcc
	v_fmac_f32_e32 v3, 2.0, v5
	v_mov_b32_e32 v5, s37
	v_add_co_u32_e32 v20, vcc, s36, v20
	s_add_i32 s53, s53, 1
	v_addc_co_u32_e32 v21, vcc, v21, v5, vcc
	v_cmp_ge_u32_e32 vcc, s53, v12
	v_mov_b32_e32 v5, s39
	s_or_b64 s[42:43], vcc, s[42:43]
	v_add_co_u32_e32 v18, vcc, s38, v18
	v_addc_co_u32_e32 v19, vcc, v19, v5, vcc
	s_andn2_b64 exec, exec, s[42:43]
	s_cbranch_execz .LBB82_3
.LBB82_10:                              ;   Parent Loop BB82_5 Depth=1
                                        ; =>  This Inner Loop Header: Depth=2
	global_load_dwordx2 v[22:23], v[18:19], off
	s_and_b64 vcc, exec, s[2:3]
	s_waitcnt vmcnt(0)
	v_xor_b32_e32 v27, 0x80000000, v23
	v_mov_b32_e32 v26, v22
	global_store_dwordx2 v[20:21], v[22:23], off
	global_store_dwordx2 v[16:17], v[26:27], off offset:-4
	s_cbranch_vccnz .LBB82_9
; %bb.11:                               ;   in Loop: Header=BB82_10 Depth=2
	v_add_u32_e32 v26, s53, v1
	v_ashrrev_i32_e32 v27, 31, v26
	v_lshlrev_b64 v[26:27], 3, v[26:27]
	s_mov_b32 s35, s34
	v_add_co_u32_e32 v26, vcc, s14, v26
	v_pk_mov_b32 v[28:29], s[34:35], s[34:35] op_sel:[0,1]
	v_addc_co_u32_e32 v27, vcc, v13, v27, vcc
	global_store_dwordx2 v[18:19], v[28:29], off
	global_store_dwordx2 v[26:27], v[28:29], off
	s_branch .LBB82_9
.LBB82_12:
                                        ; implicit-def: $vgpr2_vgpr3
	s_branch .LBB82_15
.LBB82_13:
	s_or_b64 exec, exec, s[12:13]
.LBB82_14:
	s_or_b64 exec, exec, s[30:31]
	s_cbranch_execnz .LBB82_28
.LBB82_15:
	s_mov_b32 s12, 0
	s_mov_b32 s13, s12
	v_pk_mov_b32 v[2:3], s[12:13], s[12:13] op_sel:[0,1]
	s_and_saveexec_b64 s[2:3], s[0:1]
	s_cbranch_execz .LBB82_27
; %bb.16:
	s_add_i32 s30, s11, 1
	s_cmpk_lg_i32 s8, 0xd5
	s_cselect_b64 s[0:1], -1, 0
	s_add_i32 s31, s11, -1
	s_mul_i32 s8, s15, s31
	v_add_u32_e32 v1, s8, v0
	s_mul_i32 s8, s11, s31
	v_add_u32_e32 v9, s8, v0
	s_add_u32 s8, s28, s18
	s_addc_u32 s9, s29, s19
	v_mul_lo_u32 v2, s11, v0
	s_add_u32 s34, s8, 4
	v_add_u32_e32 v4, s31, v2
	v_mov_b32_e32 v7, 0
	v_cndmask_b32_e64 v2, 0, 1, s[0:1]
	s_addc_u32 s35, s9, 0
	s_mul_i32 s36, s11, s33
	v_mul_lo_u32 v22, v0, s15
	s_mul_i32 s37, s15, s33
	s_mov_b64 s[8:9], 0
	v_mov_b32_e32 v23, s45
	v_mov_b32_e32 v24, s46
	v_cmp_ne_u32_e64 s[0:1], 1, v2
	v_mov_b32_e32 v6, 1.0
	v_mov_b32_e32 v8, v0
	v_mov_b32_e32 v3, v7
	;; [unrolled: 1-line block ×3, first 2 shown]
	s_branch .LBB82_19
.LBB82_17:                              ;   in Loop: Header=BB82_19 Depth=1
	s_or_b64 exec, exec, s[28:29]
.LBB82_18:                              ;   in Loop: Header=BB82_19 Depth=1
	s_or_b64 exec, exec, s[18:19]
	v_pk_mul_f32 v[10:11], v[10:11], v[10:11]
	v_add_u32_e32 v8, s33, v8
	v_add_f32_e32 v5, v10, v11
	v_cmp_le_i32_e32 vcc, s11, v8
	v_add_f32_e32 v2, v2, v5
	v_add_u32_e32 v1, s33, v1
	v_add_u32_e32 v9, s33, v9
	;; [unrolled: 1-line block ×3, first 2 shown]
	s_or_b64 s[8:9], vcc, s[8:9]
	v_add_u32_e32 v22, s37, v22
	s_andn2_b64 exec, exec, s[8:9]
	s_cbranch_execz .LBB82_26
.LBB82_19:                              ; =>This Loop Header: Depth=1
                                        ;     Child Loop BB82_24 Depth 2
	v_mad_u64_u32 v[10:11], s[18:19], v8, s15, v[8:9]
	v_ashrrev_i32_e32 v11, 31, v10
	v_lshlrev_b64 v[10:11], 3, v[10:11]
	v_add_co_u32_e32 v12, vcc, s14, v10
	v_addc_co_u32_e32 v13, vcc, v23, v11, vcc
	global_load_dwordx2 v[10:11], v[12:13], off
	v_mul_lo_u32 v14, v8, s30
	v_ashrrev_i32_e32 v15, 31, v14
	v_lshlrev_b64 v[14:15], 3, v[14:15]
	v_add_co_u32_e32 v14, vcc, s44, v14
	v_addc_co_u32_e32 v15, vcc, v24, v15, vcc
	s_and_b64 vcc, exec, s[0:1]
	s_waitcnt vmcnt(0)
	global_store_dwordx2 v[14:15], v[10:11], off
	s_cbranch_vccnz .LBB82_21
; %bb.20:                               ;   in Loop: Header=BB82_19 Depth=1
	global_store_dwordx2 v[12:13], v[6:7], off
.LBB82_21:                              ;   in Loop: Header=BB82_19 Depth=1
	v_cmp_gt_i32_e32 vcc, s31, v8
	s_and_saveexec_b64 s[18:19], vcc
	s_cbranch_execz .LBB82_18
; %bb.22:                               ;   in Loop: Header=BB82_19 Depth=1
	v_ashrrev_i32_e32 v5, 31, v4
	v_lshlrev_b64 v[12:13], 3, v[4:5]
	v_mov_b32_e32 v5, s35
	v_add_co_u32_e32 v12, vcc, s34, v12
	v_addc_co_u32_e32 v13, vcc, v5, v13, vcc
	s_mov_b64 s[28:29], 0
	v_mov_b32_e32 v14, v9
	v_mov_b32_e32 v16, v1
	s_mov_b32 s38, s31
	s_branch .LBB82_24
.LBB82_23:                              ;   in Loop: Header=BB82_24 Depth=2
	s_add_i32 s38, s38, -1
	v_pk_mul_f32 v[18:19], v[20:21], v[20:21]
	v_cmp_le_i32_e32 vcc, s38, v8
	v_add_f32_e32 v5, v18, v19
	s_or_b64 s[28:29], vcc, s[28:29]
	v_add_co_u32_e32 v12, vcc, -8, v12
	v_fmac_f32_e32 v3, 2.0, v5
	v_subrev_u32_e32 v16, s15, v16
	v_subrev_u32_e32 v14, s11, v14
	v_addc_co_u32_e32 v13, vcc, -1, v13, vcc
	s_andn2_b64 exec, exec, s[28:29]
	s_cbranch_execz .LBB82_17
.LBB82_24:                              ;   Parent Loop BB82_19 Depth=1
                                        ; =>  This Inner Loop Header: Depth=2
	v_ashrrev_i32_e32 v17, 31, v16
	v_lshlrev_b64 v[18:19], 3, v[16:17]
	v_add_co_u32_e32 v18, vcc, s14, v18
	v_addc_co_u32_e32 v19, vcc, v23, v19, vcc
	global_load_dwordx2 v[20:21], v[18:19], off
	v_ashrrev_i32_e32 v15, 31, v14
	v_lshlrev_b64 v[26:27], 3, v[14:15]
	v_add_co_u32_e32 v26, vcc, s44, v26
	v_addc_co_u32_e32 v27, vcc, v24, v27, vcc
	s_and_b64 vcc, exec, s[0:1]
	s_waitcnt vmcnt(0)
	global_store_dwordx2 v[26:27], v[20:21], off
	v_xor_b32_e32 v27, 0x80000000, v21
	v_mov_b32_e32 v26, v20
	global_store_dwordx2 v[12:13], v[26:27], off offset:-4
	s_cbranch_vccnz .LBB82_23
; %bb.25:                               ;   in Loop: Header=BB82_24 Depth=2
	v_add_u32_e32 v26, s38, v22
	v_ashrrev_i32_e32 v27, 31, v26
	v_lshlrev_b64 v[26:27], 3, v[26:27]
	s_mov_b32 s13, s12
	v_add_co_u32_e32 v26, vcc, s14, v26
	v_pk_mov_b32 v[28:29], s[12:13], s[12:13] op_sel:[0,1]
	v_addc_co_u32_e32 v27, vcc, v23, v27, vcc
	global_store_dwordx2 v[18:19], v[28:29], off
	global_store_dwordx2 v[26:27], v[28:29], off
	s_branch .LBB82_23
.LBB82_26:
	s_or_b64 exec, exec, s[8:9]
.LBB82_27:
	s_or_b64 exec, exec, s[2:3]
.LBB82_28:
	s_lshl_b32 s8, s33, 2
	v_lshlrev_b32_e32 v4, 2, v0
	s_add_i32 s0, s8, 0
	v_add_u32_e32 v1, 0, v4
	ds_write_b32 v1, v3
	v_add_u32_e32 v1, s0, v4
	v_cmp_eq_u32_e32 vcc, 0, v0
	ds_write_b32 v1, v2
	s_waitcnt lgkmcnt(0)
	s_barrier
	s_and_saveexec_b64 s[0:1], vcc
	s_cbranch_execz .LBB82_40
; %bb.29:
	s_min_i32 s3, s33, s11
	s_cmp_lt_i32 s3, 2
	s_cbranch_scc1 .LBB82_37
; %bb.30:
	s_add_i32 s2, s3, -1
	s_add_i32 s3, s3, -2
	s_cmp_lt_u32 s3, 7
	s_cbranch_scc1 .LBB82_34
; %bb.31:
	s_and_b32 s3, s2, -8
	s_mov_b32 s11, 0
	s_add_i32 s9, 0, 4
.LBB82_32:                              ; =>This Inner Loop Header: Depth=1
	s_add_i32 s13, s9, s8
	v_mov_b32_e32 v1, s9
	v_mov_b32_e32 v5, s13
	ds_read2_b32 v[6:7], v1 offset1:1
	ds_read2_b32 v[8:9], v1 offset0:2 offset1:3
	ds_read2_b32 v[10:11], v1 offset0:4 offset1:5
	;; [unrolled: 1-line block ×3, first 2 shown]
	ds_read2_b32 v[14:15], v5 offset1:1
	ds_read2_b32 v[16:17], v5 offset0:2 offset1:3
	ds_read2_b32 v[18:19], v5 offset0:4 offset1:5
	;; [unrolled: 1-line block ×3, first 2 shown]
	s_waitcnt lgkmcnt(7)
	v_mov_b32_e32 v23, v6
	s_waitcnt lgkmcnt(3)
	v_mov_b32_e32 v22, v14
	v_mov_b32_e32 v6, v15
	v_pk_add_f32 v[2:3], v[2:3], v[22:23]
	v_mov_b32_e32 v25, v8
	s_waitcnt lgkmcnt(2)
	v_mov_b32_e32 v24, v16
	v_pk_add_f32 v[2:3], v[2:3], v[6:7]
	v_mov_b32_e32 v8, v17
	v_pk_add_f32 v[2:3], v[2:3], v[24:25]
	v_mov_b32_e32 v27, v10
	s_waitcnt lgkmcnt(1)
	v_mov_b32_e32 v26, v18
	v_pk_add_f32 v[2:3], v[2:3], v[8:9]
	;; [unrolled: 6-line block ×3, first 2 shown]
	s_mov_b32 s12, s11
	s_add_i32 s9, s9, 32
	s_add_i32 s11, s11, 8
	v_mov_b32_e32 v12, v21
	v_pk_add_f32 v[2:3], v[2:3], v[28:29]
	s_cmp_lg_u32 s3, s11
	v_pk_add_f32 v[2:3], v[2:3], v[12:13]
	s_cbranch_scc1 .LBB82_32
; %bb.33:
	s_add_i32 s3, s12, 9
	s_and_b32 s2, s2, 7
	s_cmp_eq_u32 s2, 0
	s_cbranch_scc0 .LBB82_35
	s_branch .LBB82_37
.LBB82_34:
	s_mov_b32 s3, 1
	s_and_b32 s2, s2, 7
	s_cmp_eq_u32 s2, 0
	s_cbranch_scc1 .LBB82_37
.LBB82_35:
	s_lshl_b32 s3, s3, 2
	s_add_i32 s3, s3, 0
.LBB82_36:                              ; =>This Inner Loop Header: Depth=1
	v_mov_b32_e32 v1, s3
	s_add_i32 s9, s3, s8
	v_mov_b32_e32 v5, s9
	ds_read_b32 v7, v1
	ds_read_b32 v6, v5
	s_add_i32 s3, s3, 4
	s_add_i32 s2, s2, -1
	s_cmp_lg_u32 s2, 0
	s_waitcnt lgkmcnt(0)
	v_pk_add_f32 v[2:3], v[2:3], v[6:7]
	s_cbranch_scc1 .LBB82_36
.LBB82_37:
	s_load_dword s9, s[4:5], 0x28
	s_lshl_b64 s[2:3], s[6:7], 2
	s_add_u32 s4, s20, s2
	v_add_f32_e32 v1, v2, v3
	s_addc_u32 s5, s21, s3
	s_waitcnt lgkmcnt(0)
	v_mul_f32_e32 v1, s9, v1
	s_add_u32 s12, s16, s2
	v_mul_f32_e32 v2, s9, v1
	v_mov_b32_e32 v1, 0
	s_addc_u32 s13, s17, s3
	global_store_dword v1, v2, s[4:5]
	global_store_dword v1, v3, s[12:13]
	global_load_dword v2, v1, s[4:5]
	s_waitcnt vmcnt(0)
	v_cmp_lt_f32_e32 vcc, v3, v2
	s_and_b64 exec, exec, vcc
	s_cbranch_execz .LBB82_40
; %bb.38:
	s_add_u32 s2, s26, s2
	s_mov_b64 s[4:5], exec
	s_addc_u32 s3, s27, s3
	v_mov_b32_e32 v2, 1
	global_store_dword v1, v2, s[2:3] offset:4
	v_mbcnt_lo_u32_b32 v1, s4, 0
	v_mbcnt_hi_u32_b32 v1, s5, v1
	v_cmp_eq_u32_e32 vcc, 0, v1
	s_and_b64 s[2:3], exec, vcc
	s_mov_b64 exec, s[2:3]
	s_cbranch_execz .LBB82_40
; %bb.39:
	s_bcnt1_i32_b64 s2, s[4:5]
	v_mov_b32_e32 v1, 0
	v_mov_b32_e32 v2, s2
	global_atomic_add v1, v2, s[26:27]
.LBB82_40:
	s_or_b64 exec, exec, s[0:1]
	s_cmp_eq_u32 s6, 0
	s_cselect_b64 s[4:5], -1, 0
	s_cmp_lg_u64 s[22:23], 0
	s_cselect_b64 s[6:7], -1, 0
	s_cmp_lg_u64 s[24:25], 0
	s_cselect_b64 s[12:13], -1, 0
	s_and_b64 s[6:7], s[6:7], s[12:13]
	s_and_b64 s[4:5], s[6:7], s[4:5]
	v_cmp_gt_i32_e32 vcc, s10, v0
	s_mov_b32 s3, 0
	s_mov_b64 s[0:1], 0
	s_and_b64 s[4:5], s[4:5], vcc
	s_and_saveexec_b64 s[6:7], s[4:5]
	s_cbranch_execz .LBB82_43
; %bb.41:
	v_lshlrev_b32_e32 v2, 1, v0
	s_lshl_b32 s2, s33, 1
	v_mov_b32_e32 v1, 0
	v_mov_b32_e32 v3, s23
	;; [unrolled: 1-line block ×4, first 2 shown]
.LBB82_42:                              ; =>This Inner Loop Header: Depth=1
	v_add_co_u32_e32 v8, vcc, s22, v4
	v_addc_co_u32_e32 v9, vcc, v3, v1, vcc
	v_add_co_u32_e32 v10, vcc, s24, v4
	v_addc_co_u32_e32 v11, vcc, v5, v1, vcc
	v_add_co_u32_e32 v4, vcc, s8, v4
	v_add_u32_e32 v0, s33, v0
	v_addc_co_u32_e32 v1, vcc, v1, v6, vcc
	v_cmp_le_i32_e32 vcc, s10, v0
	v_add_u32_e32 v7, 1, v2
	global_store_dword v[8:9], v2, off
	global_store_dword v[10:11], v7, off
	s_or_b64 s[0:1], vcc, s[0:1]
	v_add_u32_e32 v2, s2, v2
	s_andn2_b64 exec, exec, s[0:1]
	s_cbranch_execnz .LBB82_42
.LBB82_43:
	s_endpgm
	.section	.rodata,"a",@progbits
	.p2align	6, 0x0
	.amdhsa_kernel _ZN9rocsolver6v33100L10syevj_initI19rocblas_complex_numIfEfPS3_EEv14rocblas_evect_13rocblas_fill_iiT1_iilT0_PS8_PT_S9_PiSC_SC_
		.amdhsa_group_segment_fixed_size 0
		.amdhsa_private_segment_fixed_size 0
		.amdhsa_kernarg_size 352
		.amdhsa_user_sgpr_count 6
		.amdhsa_user_sgpr_private_segment_buffer 1
		.amdhsa_user_sgpr_dispatch_ptr 0
		.amdhsa_user_sgpr_queue_ptr 0
		.amdhsa_user_sgpr_kernarg_segment_ptr 1
		.amdhsa_user_sgpr_dispatch_id 0
		.amdhsa_user_sgpr_flat_scratch_init 0
		.amdhsa_user_sgpr_kernarg_preload_length 0
		.amdhsa_user_sgpr_kernarg_preload_offset 0
		.amdhsa_user_sgpr_private_segment_size 0
		.amdhsa_uses_dynamic_stack 0
		.amdhsa_system_sgpr_private_segment_wavefront_offset 0
		.amdhsa_system_sgpr_workgroup_id_x 1
		.amdhsa_system_sgpr_workgroup_id_y 1
		.amdhsa_system_sgpr_workgroup_id_z 0
		.amdhsa_system_sgpr_workgroup_info 0
		.amdhsa_system_vgpr_workitem_id 0
		.amdhsa_next_free_vgpr 30
		.amdhsa_next_free_sgpr 54
		.amdhsa_accum_offset 32
		.amdhsa_reserve_vcc 1
		.amdhsa_reserve_flat_scratch 0
		.amdhsa_float_round_mode_32 0
		.amdhsa_float_round_mode_16_64 0
		.amdhsa_float_denorm_mode_32 3
		.amdhsa_float_denorm_mode_16_64 3
		.amdhsa_dx10_clamp 1
		.amdhsa_ieee_mode 1
		.amdhsa_fp16_overflow 0
		.amdhsa_tg_split 0
		.amdhsa_exception_fp_ieee_invalid_op 0
		.amdhsa_exception_fp_denorm_src 0
		.amdhsa_exception_fp_ieee_div_zero 0
		.amdhsa_exception_fp_ieee_overflow 0
		.amdhsa_exception_fp_ieee_underflow 0
		.amdhsa_exception_fp_ieee_inexact 0
		.amdhsa_exception_int_div_zero 0
	.end_amdhsa_kernel
	.section	.text._ZN9rocsolver6v33100L10syevj_initI19rocblas_complex_numIfEfPS3_EEv14rocblas_evect_13rocblas_fill_iiT1_iilT0_PS8_PT_S9_PiSC_SC_,"axG",@progbits,_ZN9rocsolver6v33100L10syevj_initI19rocblas_complex_numIfEfPS3_EEv14rocblas_evect_13rocblas_fill_iiT1_iilT0_PS8_PT_S9_PiSC_SC_,comdat
.Lfunc_end82:
	.size	_ZN9rocsolver6v33100L10syevj_initI19rocblas_complex_numIfEfPS3_EEv14rocblas_evect_13rocblas_fill_iiT1_iilT0_PS8_PT_S9_PiSC_SC_, .Lfunc_end82-_ZN9rocsolver6v33100L10syevj_initI19rocblas_complex_numIfEfPS3_EEv14rocblas_evect_13rocblas_fill_iiT1_iilT0_PS8_PT_S9_PiSC_SC_
                                        ; -- End function
	.section	.AMDGPU.csdata,"",@progbits
; Kernel info:
; codeLenInByte = 2084
; NumSgprs: 58
; NumVgprs: 30
; NumAgprs: 0
; TotalNumVgprs: 30
; ScratchSize: 0
; MemoryBound: 0
; FloatMode: 240
; IeeeMode: 1
; LDSByteSize: 0 bytes/workgroup (compile time only)
; SGPRBlocks: 7
; VGPRBlocks: 3
; NumSGPRsForWavesPerEU: 58
; NumVGPRsForWavesPerEU: 30
; AccumOffset: 32
; Occupancy: 8
; WaveLimiterHint : 0
; COMPUTE_PGM_RSRC2:SCRATCH_EN: 0
; COMPUTE_PGM_RSRC2:USER_SGPR: 6
; COMPUTE_PGM_RSRC2:TRAP_HANDLER: 0
; COMPUTE_PGM_RSRC2:TGID_X_EN: 1
; COMPUTE_PGM_RSRC2:TGID_Y_EN: 1
; COMPUTE_PGM_RSRC2:TGID_Z_EN: 0
; COMPUTE_PGM_RSRC2:TIDIG_COMP_CNT: 0
; COMPUTE_PGM_RSRC3_GFX90A:ACCUM_OFFSET: 7
; COMPUTE_PGM_RSRC3_GFX90A:TG_SPLIT: 0
	.section	.text._ZN9rocsolver6v33100L17syevj_diag_kernelI19rocblas_complex_numIfEfPS3_EEviT1_iilT0_PT_Pi,"axG",@progbits,_ZN9rocsolver6v33100L17syevj_diag_kernelI19rocblas_complex_numIfEfPS3_EEviT1_iilT0_PT_Pi,comdat
	.globl	_ZN9rocsolver6v33100L17syevj_diag_kernelI19rocblas_complex_numIfEfPS3_EEviT1_iilT0_PT_Pi ; -- Begin function _ZN9rocsolver6v33100L17syevj_diag_kernelI19rocblas_complex_numIfEfPS3_EEviT1_iilT0_PT_Pi
	.p2align	8
	.type	_ZN9rocsolver6v33100L17syevj_diag_kernelI19rocblas_complex_numIfEfPS3_EEviT1_iilT0_PT_Pi,@function
_ZN9rocsolver6v33100L17syevj_diag_kernelI19rocblas_complex_numIfEfPS3_EEviT1_iilT0_PT_Pi: ; @_ZN9rocsolver6v33100L17syevj_diag_kernelI19rocblas_complex_numIfEfPS3_EEviT1_iilT0_PT_Pi
; %bb.0:
	s_load_dwordx4 s[0:3], s[4:5], 0x28
	s_mov_b32 s16, s7
	s_ashr_i32 s17, s7, 31
	s_lshl_b64 s[8:9], s[16:17], 2
	s_waitcnt lgkmcnt(0)
	s_add_u32 s2, s2, s8
	s_addc_u32 s3, s3, s9
	s_load_dword s2, s[2:3], 0x4
	s_waitcnt lgkmcnt(0)
	s_cmp_lg_u32 s2, 0
	s_cbranch_scc1 .LBB83_58
; %bb.1:
	s_load_dword s30, s[4:5], 0x0
	s_load_dword s7, s[4:5], 0x44
	s_add_u32 s2, s4, 56
	s_addc_u32 s3, s5, 0
	v_and_b32_e32 v1, 0x3ff, v0
	v_bfe_u32 v6, v0, 10, 10
	s_waitcnt lgkmcnt(0)
	s_and_b32 s7, s7, 0xffff
	s_lshl_b32 s8, s7, 1
	s_add_i32 s7, s30, -1
	s_lshr_b32 s9, s7, 31
	s_add_i32 s7, s7, s9
	s_mul_i32 s31, s8, s6
	s_and_b32 s7, s7, -2
	s_sub_i32 s7, s7, s31
	s_add_i32 s7, s7, 2
	s_min_i32 s7, s8, s7
	s_ashr_i32 s18, s7, 1
	v_max_i32_e32 v0, v1, v6
	v_cmp_gt_i32_e32 vcc, s18, v0
	s_and_saveexec_b64 s[10:11], vcc
	s_cbranch_execz .LBB83_58
; %bb.2:
	s_cmp_eq_u64 s[0:1], 0
	s_mov_b64 s[12:13], 0
	s_cbranch_scc1 .LBB83_4
; %bb.3:
	s_load_dword s2, s[2:3], 0x0
	s_waitcnt lgkmcnt(0)
	s_mul_i32 s2, s2, s16
	s_add_i32 s2, s2, s6
	s_mul_i32 s2, s8, s2
	s_mul_i32 s2, s2, s8
	s_ashr_i32 s3, s2, 31
	s_lshl_b64 s[2:3], s[2:3], 3
	s_add_u32 s12, s0, s2
	s_addc_u32 s13, s1, s3
.LBB83_4:
	v_lshlrev_b32_e32 v4, 1, v6
	s_cmp_lg_u64 s[12:13], 0
	v_lshlrev_b32_e32 v0, 1, v1
	s_cselect_b64 s[14:15], -1, 0
	s_cmp_eq_u64 s[12:13], 0
	v_mul_u32_u24_e32 v3, s8, v4
	v_mad_u32_u24 v5, s8, v4, s8
	s_cbranch_scc1 .LBB83_6
; %bb.5:
	v_cmp_eq_u32_e32 vcc, v0, v4
	v_add_lshl_u32 v2, v3, v0, 3
	v_cndmask_b32_e64 v8, 0, 1.0, vcc
	v_mov_b32_e32 v11, 0
	v_mov_b32_e32 v7, s13
	v_add_co_u32_e32 v12, vcc, s12, v2
	v_add_u32_e32 v10, v5, v0
	v_addc_co_u32_e32 v13, vcc, 0, v7, vcc
	v_lshlrev_b64 v[14:15], 3, v[10:11]
	v_add_co_u32_e32 v14, vcc, s12, v14
	v_addc_co_u32_e32 v15, vcc, v7, v15, vcc
	v_mov_b32_e32 v9, v11
	v_mov_b32_e32 v10, v11
	flat_store_dwordx3 v[12:13], v[8:10]
	flat_store_dwordx2 v[14:15], v[10:11]
	flat_store_dword v[12:13], v11 offset:12
	v_add_co_u32_e32 v12, vcc, v5, v0
	v_addc_co_u32_e64 v13, s[0:1], 0, 0, vcc
	v_lshlrev_b64 v[12:13], 3, v[12:13]
	v_add_co_u32_e32 v12, vcc, s12, v12
	v_addc_co_u32_e32 v13, vcc, v7, v13, vcc
	flat_store_dwordx2 v[12:13], v[8:9] offset:8
.LBB83_6:
	s_lshl_b32 s0, s18, 2
	s_add_i32 s19, s0, 0
	s_lshl_b32 s1, s18, 3
	s_add_i32 s6, s19, s1
	v_add_u32_e32 v0, s31, v0
	s_add_i32 s33, s6, s0
	v_or_b32_e32 v2, 1, v0
	v_cmp_eq_u32_e64 s[0:1], 0, v6
	v_lshlrev_b32_e32 v6, 2, v1
	s_and_saveexec_b64 s[2:3], s[0:1]
	s_cbranch_execz .LBB83_8
; %bb.7:
	v_add_u32_e32 v8, s6, v6
	v_add_u32_e32 v7, s33, v6
	ds_write_b32 v8, v0
	ds_write_b32 v7, v2
.LBB83_8:
	s_or_b64 exec, exec, s[2:3]
	s_cmp_lt_i32 s7, 2
	s_cbranch_scc1 .LBB83_58
; %bb.9:
	s_load_dword s20, s[4:5], 0x20
	v_mov_b32_e32 v7, 0x800000
	v_add_u32_e32 v4, s31, v4
	v_add_u32_e32 v26, s33, v6
	v_add_u32_e32 v20, 0, v6
	s_waitcnt lgkmcnt(0)
	v_div_scale_f32 v8, s[2:3], s20, s20, v7
	s_load_dwordx4 s[8:11], s[4:5], 0x8
	s_load_dwordx2 s[2:3], s[4:5], 0x18
	v_rcp_f32_e32 v9, v8
	s_mov_b32 s4, 0x800000
	v_mov_b32_e32 v10, s20
	v_div_scale_f32 v10, vcc, s4, v10, s4
	v_fma_f32 v11, -v8, v9, 1.0
	s_waitcnt lgkmcnt(0)
	s_ashr_i32 s5, s10, 31
	s_mov_b32 s4, s10
	s_mul_i32 s3, s16, s3
	s_mul_hi_u32 s10, s16, s2
	v_fmac_f32_e32 v9, v11, v9
	s_add_i32 s3, s10, s3
	s_mul_i32 s10, s17, s2
	v_mul_f32_e32 v11, v10, v9
	s_add_i32 s3, s3, s10
	s_mul_i32 s2, s16, s2
	v_fma_f32 v12, -v8, v11, v10
	s_lshl_b64 s[2:3], s[2:3], 3
	v_fmac_f32_e32 v11, v12, v9
	s_add_u32 s8, s8, s2
	v_fma_f32 v8, -v8, v11, v10
	s_addc_u32 s9, s9, s3
	s_lshl_b64 s[2:3], s[4:5], 3
	v_div_fmas_f32 v8, v8, v9, v11
	s_add_u32 s10, s8, s2
	v_div_fixup_f32 v7, v8, s20, v7
	s_addc_u32 s34, s9, s3
	v_or_b32_e32 v8, 1, v4
	s_add_i32 s18, s18, -1
	s_add_i32 s4, s33, -4
	v_cmp_gt_i32_e64 s[2:3], s30, v8
	v_mul_lo_u32 v22, v4, s11
	v_add_u32_e32 v24, s6, v6
	v_add_u32_e32 v6, 4, v26
	v_mov_b32_e32 v8, s4
	v_cmp_eq_u32_e32 vcc, s18, v1
	s_add_i32 s35, s11, 1
	s_mov_b32 s16, 0
	v_lshl_add_u32 v21, v1, 3, s19
	v_add_u32_e32 v23, s11, v22
	v_add_u32_e32 v25, -4, v24
	v_cndmask_b32_e32 v27, v6, v8, vcc
	s_add_i32 s36, s7, -1
	s_mov_b32 s37, 0xf800000
	v_mov_b32_e32 v28, 0x260
	s_mov_b32 s38, 0x7f800000
	v_mov_b32_e32 v29, 0x7f800000
	v_mov_b32_e32 v30, 0xff800000
                                        ; implicit-def: $vgpr11
                                        ; implicit-def: $vgpr6
                                        ; implicit-def: $vgpr8
                                        ; implicit-def: $vgpr12_vgpr13
	s_branch .LBB83_11
.LBB83_10:                              ;   in Loop: Header=BB83_11 Depth=1
	s_or_b64 exec, exec, s[4:5]
	s_add_i32 s36, s36, -1
	s_cmp_lg_u32 s36, 0
	s_cbranch_scc0 .LBB83_58
.LBB83_11:                              ; =>This Inner Loop Header: Depth=1
	v_cmp_gt_i32_e64 s[4:5], s30, v0
	s_and_b64 s[8:9], s[0:1], s[4:5]
	v_cmp_gt_i32_e64 s[6:7], s30, v2
	s_and_b64 s[18:19], s[8:9], s[6:7]
	s_and_saveexec_b64 s[20:21], s[18:19]
	s_cbranch_execz .LBB83_37
; %bb.12:                               ;   in Loop: Header=BB83_11 Depth=1
	v_mul_lo_u32 v10, v2, s11
	v_add_u32_e32 v12, v0, v10
	v_ashrrev_i32_e32 v13, 31, v12
	v_lshlrev_b64 v[12:13], 3, v[12:13]
	v_mov_b32_e32 v9, s34
	v_add_co_u32_e32 v12, vcc, s10, v12
	v_addc_co_u32_e32 v13, vcc, v9, v13, vcc
	global_load_dwordx2 v[14:15], v[12:13], off
                                        ; implicit-def: $vgpr9
	s_waitcnt vmcnt(0)
	v_cmp_gt_f32_e32 vcc, 0, v14
	v_cndmask_b32_e64 v11, v14, -v14, vcc
	v_cmp_gt_f32_e32 vcc, 0, v15
	v_cndmask_b32_e64 v12, v15, -v15, vcc
	v_cmp_ngt_f32_e32 vcc, v11, v12
	s_and_saveexec_b64 s[8:9], vcc
	s_xor_b64 s[22:23], exec, s[8:9]
	s_cbranch_execz .LBB83_16
; %bb.13:                               ;   in Loop: Header=BB83_11 Depth=1
	v_cmp_neq_f32_e32 vcc, 0, v15
	v_mov_b32_e32 v9, 0
	s_and_saveexec_b64 s[24:25], vcc
	s_cbranch_execz .LBB83_15
; %bb.14:                               ;   in Loop: Header=BB83_11 Depth=1
	v_div_scale_f32 v9, s[8:9], v12, v12, v11
	v_rcp_f32_e32 v13, v9
	v_div_scale_f32 v16, vcc, v11, v12, v11
	v_fma_f32 v17, -v9, v13, 1.0
	v_fmac_f32_e32 v13, v17, v13
	v_mul_f32_e32 v17, v16, v13
	v_fma_f32 v18, -v9, v17, v16
	v_fmac_f32_e32 v17, v18, v13
	v_fma_f32 v9, -v9, v17, v16
	v_div_fmas_f32 v9, v9, v13, v17
	v_div_fixup_f32 v9, v9, v12, v11
	v_fma_f32 v9, v9, v9, 1.0
	v_mul_f32_e32 v11, 0x4f800000, v9
	v_cmp_gt_f32_e32 vcc, s37, v9
	v_cndmask_b32_e32 v9, v9, v11, vcc
	v_sqrt_f32_e32 v11, v9
	v_add_u32_e32 v13, -1, v11
	v_fma_f32 v16, -v13, v11, v9
	v_cmp_ge_f32_e64 s[8:9], 0, v16
	v_add_u32_e32 v16, 1, v11
	v_cndmask_b32_e64 v13, v11, v13, s[8:9]
	v_fma_f32 v11, -v16, v11, v9
	v_cmp_lt_f32_e64 s[8:9], 0, v11
	v_cndmask_b32_e64 v11, v13, v16, s[8:9]
	v_mul_f32_e32 v13, 0x37800000, v11
	v_cndmask_b32_e32 v11, v11, v13, vcc
	v_cmp_class_f32_e32 vcc, v9, v28
	v_cndmask_b32_e32 v9, v11, v9, vcc
	v_mul_f32_e32 v9, v12, v9
.LBB83_15:                              ;   in Loop: Header=BB83_11 Depth=1
	s_or_b64 exec, exec, s[24:25]
                                        ; implicit-def: $vgpr11
                                        ; implicit-def: $vgpr12
.LBB83_16:                              ;   in Loop: Header=BB83_11 Depth=1
	s_andn2_saveexec_b64 s[22:23], s[22:23]
	s_cbranch_execz .LBB83_18
; %bb.17:                               ;   in Loop: Header=BB83_11 Depth=1
	v_div_scale_f32 v9, s[8:9], v11, v11, v12
	v_rcp_f32_e32 v13, v9
	v_div_scale_f32 v16, vcc, v12, v11, v12
	v_fma_f32 v17, -v9, v13, 1.0
	v_fmac_f32_e32 v13, v17, v13
	v_mul_f32_e32 v17, v16, v13
	v_fma_f32 v18, -v9, v17, v16
	v_fmac_f32_e32 v17, v18, v13
	v_fma_f32 v9, -v9, v17, v16
	v_div_fmas_f32 v9, v9, v13, v17
	v_div_fixup_f32 v9, v9, v11, v12
	v_fma_f32 v9, v9, v9, 1.0
	v_mul_f32_e32 v12, 0x4f800000, v9
	v_cmp_gt_f32_e32 vcc, s37, v9
	v_cndmask_b32_e32 v9, v9, v12, vcc
	v_sqrt_f32_e32 v12, v9
	v_add_u32_e32 v13, -1, v12
	v_fma_f32 v16, -v13, v12, v9
	v_cmp_ge_f32_e64 s[8:9], 0, v16
	v_add_u32_e32 v16, 1, v12
	v_cndmask_b32_e64 v13, v12, v13, s[8:9]
	v_fma_f32 v12, -v16, v12, v9
	v_cmp_lt_f32_e64 s[8:9], 0, v12
	v_cndmask_b32_e64 v12, v13, v16, s[8:9]
	v_mul_f32_e32 v13, 0x37800000, v12
	v_cndmask_b32_e32 v12, v12, v13, vcc
	v_cmp_class_f32_e32 vcc, v9, v28
	v_cndmask_b32_e32 v9, v12, v9, vcc
	v_mul_f32_e32 v9, v11, v9
.LBB83_18:                              ;   in Loop: Header=BB83_11 Depth=1
	s_or_b64 exec, exec, s[22:23]
	v_mul_f32_e32 v11, v9, v9
	s_mov_b32 s17, s16
	v_cmp_nlt_f32_e32 vcc, v11, v7
	v_pk_mov_b32 v[12:13], s[16:17], s[16:17] op_sel:[0,1]
	v_mov_b32_e32 v11, 1.0
	s_and_saveexec_b64 s[22:23], vcc
	s_cbranch_execz .LBB83_36
; %bb.19:                               ;   in Loop: Header=BB83_11 Depth=1
	v_add_u32_e32 v10, v10, v2
	v_ashrrev_i32_e32 v11, 31, v10
	v_lshlrev_b64 v[10:11], 3, v[10:11]
	v_mov_b32_e32 v12, s34
	v_add_co_u32_e32 v10, vcc, s10, v10
	v_addc_co_u32_e32 v11, vcc, v12, v11, vcc
	v_mul_lo_u32 v12, v0, s35
	v_ashrrev_i32_e32 v13, 31, v12
	v_lshlrev_b64 v[12:13], 3, v[12:13]
	v_mov_b32_e32 v16, s34
	v_add_co_u32_e32 v12, vcc, s10, v12
	v_addc_co_u32_e32 v13, vcc, v16, v13, vcc
	global_load_dword v16, v[10:11], off
	global_load_dword v17, v[12:13], off
	v_add_f32_e32 v12, v9, v9
	s_waitcnt vmcnt(0)
	v_sub_f32_e32 v13, v16, v17
	v_max_f32_e64 v10, |v13|, |v12|
	v_cvt_f64_f32_e32 v[16:17], v10
	v_frexp_exp_i32_f64_e32 v11, v[16:17]
	v_sub_u32_e32 v16, 0, v11
	v_ldexp_f32 v17, |v13|, v16
	v_ldexp_f32 v16, |v12|, v16
	v_mul_f32_e32 v16, v16, v16
	v_fmac_f32_e32 v16, v17, v17
	v_sqrt_f32_e32 v17, v16
	v_cmp_ngt_f32_e32 vcc, 0, v13
                                        ; implicit-def: $vgpr16
	s_and_saveexec_b64 s[8:9], vcc
	s_xor_b64 s[8:9], exec, s[8:9]
; %bb.20:                               ;   in Loop: Header=BB83_11 Depth=1
	v_ldexp_f32 v11, v17, v11
	v_cmp_neq_f32_e32 vcc, s38, v10
	v_cndmask_b32_e32 v16, v29, v11, vcc
                                        ; implicit-def: $vgpr17
                                        ; implicit-def: $vgpr11
                                        ; implicit-def: $vgpr10
; %bb.21:                               ;   in Loop: Header=BB83_11 Depth=1
	s_andn2_saveexec_b64 s[8:9], s[8:9]
; %bb.22:                               ;   in Loop: Header=BB83_11 Depth=1
	v_ldexp_f32 v11, -v17, v11
	v_cmp_neq_f32_e32 vcc, s38, v10
	v_cndmask_b32_e32 v16, v30, v11, vcc
; %bb.23:                               ;   in Loop: Header=BB83_11 Depth=1
	s_or_b64 exec, exec, s[8:9]
	v_cmp_neq_f32_e32 vcc, 0, v12
	v_mov_b32_e32 v10, 0
	v_mov_b32_e32 v11, 1.0
	s_and_saveexec_b64 s[24:25], vcc
	s_cbranch_execz .LBB83_31
; %bb.24:                               ;   in Loop: Header=BB83_11 Depth=1
	v_add_f32_e32 v13, v13, v16
	v_cmp_neq_f32_e32 vcc, 0, v13
	v_mov_b32_e32 v11, 0
	v_mov_b32_e32 v10, 1.0
	s_and_saveexec_b64 s[26:27], vcc
	s_cbranch_execz .LBB83_30
; %bb.25:                               ;   in Loop: Header=BB83_11 Depth=1
	v_cmp_ngt_f32_e64 s[8:9], |v12|, |v13|
                                        ; implicit-def: $vgpr11
                                        ; implicit-def: $vgpr10
	s_and_saveexec_b64 s[28:29], s[8:9]
	s_xor_b64 s[28:29], exec, s[28:29]
	s_cbranch_execz .LBB83_27
; %bb.26:                               ;   in Loop: Header=BB83_11 Depth=1
	v_div_scale_f32 v10, s[8:9], v13, v13, -v12
	v_rcp_f32_e32 v11, v10
	v_div_scale_f32 v16, vcc, -v12, v13, -v12
	v_fma_f32 v17, -v10, v11, 1.0
	v_fmac_f32_e32 v11, v17, v11
	v_mul_f32_e32 v17, v16, v11
	v_fma_f32 v18, -v10, v17, v16
	v_fmac_f32_e32 v17, v18, v11
	v_fma_f32 v10, -v10, v17, v16
	v_div_fmas_f32 v10, v10, v11, v17
	v_div_fixup_f32 v10, v10, v13, -v12
	v_fma_f32 v11, v10, v10, 1.0
	v_mul_f32_e32 v12, 0x4f800000, v11
	v_cmp_gt_f32_e32 vcc, s37, v11
	v_cndmask_b32_e32 v11, v11, v12, vcc
	v_sqrt_f32_e32 v12, v11
	v_add_u32_e32 v13, -1, v12
	v_fma_f32 v16, -v13, v12, v11
	v_cmp_ge_f32_e64 s[8:9], 0, v16
	v_add_u32_e32 v16, 1, v12
	v_cndmask_b32_e64 v13, v12, v13, s[8:9]
	v_fma_f32 v12, -v16, v12, v11
	v_cmp_lt_f32_e64 s[8:9], 0, v12
	v_cndmask_b32_e64 v12, v13, v16, s[8:9]
	v_mul_f32_e32 v13, 0x37800000, v12
	v_cndmask_b32_e32 v12, v12, v13, vcc
	v_cmp_class_f32_e32 vcc, v11, v28
	v_cndmask_b32_e32 v11, v12, v11, vcc
	v_div_scale_f32 v12, s[8:9], v11, v11, 1.0
	v_rcp_f32_e32 v13, v12
	v_fma_f32 v16, -v12, v13, 1.0
	v_fmac_f32_e32 v13, v16, v13
	v_div_scale_f32 v16, vcc, 1.0, v11, 1.0
	v_mul_f32_e32 v17, v16, v13
	v_fma_f32 v18, -v12, v17, v16
	v_fmac_f32_e32 v17, v18, v13
	v_fma_f32 v12, -v12, v17, v16
	v_div_fmas_f32 v12, v12, v13, v17
	v_div_fixup_f32 v11, v12, v11, 1.0
	v_mul_f32_e32 v10, v10, v11
                                        ; implicit-def: $vgpr12
                                        ; implicit-def: $vgpr13
.LBB83_27:                              ;   in Loop: Header=BB83_11 Depth=1
	s_andn2_saveexec_b64 s[28:29], s[28:29]
	s_cbranch_execz .LBB83_29
; %bb.28:                               ;   in Loop: Header=BB83_11 Depth=1
	v_div_scale_f32 v10, s[8:9], v12, v12, -v13
	v_rcp_f32_e32 v11, v10
	v_div_scale_f32 v16, vcc, -v13, v12, -v13
	v_fma_f32 v17, -v10, v11, 1.0
	v_fmac_f32_e32 v11, v17, v11
	v_mul_f32_e32 v17, v16, v11
	v_fma_f32 v18, -v10, v17, v16
	v_fmac_f32_e32 v17, v18, v11
	v_fma_f32 v10, -v10, v17, v16
	v_div_fmas_f32 v10, v10, v11, v17
	v_div_fixup_f32 v11, v10, v12, -v13
	v_fma_f32 v10, v11, v11, 1.0
	v_mul_f32_e32 v12, 0x4f800000, v10
	v_cmp_gt_f32_e32 vcc, s37, v10
	v_cndmask_b32_e32 v10, v10, v12, vcc
	v_sqrt_f32_e32 v12, v10
	v_add_u32_e32 v13, -1, v12
	v_fma_f32 v16, -v13, v12, v10
	v_cmp_ge_f32_e64 s[8:9], 0, v16
	v_add_u32_e32 v16, 1, v12
	v_cndmask_b32_e64 v13, v12, v13, s[8:9]
	v_fma_f32 v12, -v16, v12, v10
	v_cmp_lt_f32_e64 s[8:9], 0, v12
	v_cndmask_b32_e64 v12, v13, v16, s[8:9]
	v_mul_f32_e32 v13, 0x37800000, v12
	v_cndmask_b32_e32 v12, v12, v13, vcc
	v_cmp_class_f32_e32 vcc, v10, v28
	v_cndmask_b32_e32 v10, v12, v10, vcc
	v_div_scale_f32 v12, s[8:9], v10, v10, 1.0
	v_rcp_f32_e32 v13, v12
	v_fma_f32 v16, -v12, v13, 1.0
	v_fmac_f32_e32 v13, v16, v13
	v_div_scale_f32 v16, vcc, 1.0, v10, 1.0
	v_mul_f32_e32 v17, v16, v13
	v_fma_f32 v18, -v12, v17, v16
	v_fmac_f32_e32 v17, v18, v13
	v_fma_f32 v12, -v12, v17, v16
	v_div_fmas_f32 v12, v12, v13, v17
	v_div_fixup_f32 v10, v12, v10, 1.0
	v_mul_f32_e32 v11, v11, v10
.LBB83_29:                              ;   in Loop: Header=BB83_11 Depth=1
	s_or_b64 exec, exec, s[28:29]
.LBB83_30:                              ;   in Loop: Header=BB83_11 Depth=1
	s_or_b64 exec, exec, s[26:27]
.LBB83_31:                              ;   in Loop: Header=BB83_11 Depth=1
	s_or_b64 exec, exec, s[24:25]
	v_cmp_gt_f32_e32 vcc, 0, v9
	v_pk_mul_f32 v[16:17], v[14:15], v[10:11] op_sel_hi:[1,0]
	v_cndmask_b32_e64 v10, v9, -v9, vcc
	v_mov_b32_e32 v14, v17
	v_mov_b32_e32 v15, v16
	v_cmp_nlt_f32_e32 vcc, 0, v10
                                        ; implicit-def: $vgpr12_vgpr13
	s_and_saveexec_b64 s[8:9], vcc
	s_xor_b64 s[8:9], exec, s[8:9]
	s_cbranch_execz .LBB83_33
; %bb.32:                               ;   in Loop: Header=BB83_11 Depth=1
	v_div_scale_f32 v10, s[24:25], 0, 0, v9
	v_rcp_f32_e32 v12, v10
	v_div_scale_f32 v13, vcc, v9, 0, v9
	v_fma_f32 v18, -v10, v12, 1.0
	v_fmac_f32_e32 v12, v18, v12
	v_mul_f32_e32 v18, v13, v12
	v_fma_f32 v19, -v10, v18, v13
	v_fmac_f32_e32 v18, v19, v12
	v_fma_f32 v10, -v10, v18, v13
	v_div_fmas_f32 v10, v10, v12, v18
	v_div_fixup_f32 v10, v10, 0, v9
	v_fma_f32 v9, v9, v10, 0
	v_div_scale_f32 v12, s[24:25], v9, v9, 1.0
	v_rcp_f32_e32 v13, v12
	v_fma_f32 v18, -v12, v13, 1.0
	v_fmac_f32_e32 v13, v18, v13
	v_div_scale_f32 v18, vcc, 1.0, v9, 1.0
	v_mul_f32_e32 v19, v18, v13
	v_fma_f32 v31, -v12, v19, v18
	v_fmac_f32_e32 v19, v31, v13
	v_fma_f32 v12, -v12, v19, v18
	v_div_fmas_f32 v12, v12, v13, v19
	v_pk_fma_f32 v[18:19], v[10:11], v[16:17], v[14:15]
	v_pk_fma_f32 v[14:15], v[10:11], v[16:17], v[14:15] op_sel_hi:[0,1,1] neg_lo:[0,0,1] neg_hi:[0,0,1]
	v_div_fixup_f32 v12, v12, v9, 1.0
	v_mov_b32_e32 v19, v15
	v_pk_mul_f32 v[12:13], v[12:13], v[18:19] op_sel_hi:[0,1]
                                        ; implicit-def: $vgpr9
                                        ; implicit-def: $vgpr14_vgpr15
                                        ; implicit-def: $vgpr16_vgpr17
.LBB83_33:                              ;   in Loop: Header=BB83_11 Depth=1
	s_andn2_saveexec_b64 s[8:9], s[8:9]
	s_cbranch_execz .LBB83_35
; %bb.34:                               ;   in Loop: Header=BB83_11 Depth=1
	v_div_scale_f32 v10, s[24:25], v9, v9, 0
	v_rcp_f32_e32 v12, v10
	v_div_scale_f32 v13, vcc, 0, v9, 0
	v_fma_f32 v18, -v10, v12, 1.0
	v_fmac_f32_e32 v12, v18, v12
	v_mul_f32_e32 v18, v13, v12
	v_fma_f32 v19, -v10, v18, v13
	v_fmac_f32_e32 v18, v19, v12
	v_fma_f32 v10, -v10, v18, v13
	v_div_fmas_f32 v10, v10, v12, v18
	v_div_fixup_f32 v10, v10, v9, 0
	v_fmac_f32_e32 v9, 0, v10
	v_div_scale_f32 v12, s[24:25], v9, v9, 1.0
	v_rcp_f32_e32 v13, v12
	v_fma_f32 v18, -v12, v13, 1.0
	v_fmac_f32_e32 v13, v18, v13
	v_div_scale_f32 v18, vcc, 1.0, v9, 1.0
	v_mul_f32_e32 v19, v18, v13
	v_fma_f32 v31, -v12, v19, v18
	v_fmac_f32_e32 v19, v31, v13
	v_fma_f32 v12, -v12, v19, v18
	v_div_fmas_f32 v12, v12, v13, v19
	v_pk_fma_f32 v[18:19], v[10:11], v[14:15], v[16:17]
	v_pk_fma_f32 v[14:15], v[10:11], v[14:15], v[16:17] op_sel_hi:[0,1,1] neg_lo:[1,0,0] neg_hi:[1,0,0]
	v_div_fixup_f32 v12, v12, v9, 1.0
	v_mov_b32_e32 v19, v15
	v_pk_mul_f32 v[12:13], v[12:13], v[18:19] op_sel_hi:[0,1]
.LBB83_35:                              ;   in Loop: Header=BB83_11 Depth=1
	s_or_b64 exec, exec, s[8:9]
.LBB83_36:                              ;   in Loop: Header=BB83_11 Depth=1
	s_or_b64 exec, exec, s[22:23]
	ds_write_b32 v20, v11
	ds_write2_b32 v21, v12, v13 offset1:1
.LBB83_37:                              ;   in Loop: Header=BB83_11 Depth=1
	s_or_b64 exec, exec, s[20:21]
	s_and_b64 s[4:5], s[4:5], s[6:7]
	s_waitcnt lgkmcnt(0)
	s_barrier
	s_and_saveexec_b64 s[6:7], s[4:5]
	s_cbranch_execz .LBB83_46
; %bb.38:                               ;   in Loop: Header=BB83_11 Depth=1
	ds_read2_b32 v[12:13], v21 offset1:1
	ds_read_b32 v11, v20
	s_and_b64 vcc, exec, s[14:15]
	s_waitcnt lgkmcnt(0)
	v_xor_b32_e32 v6, 0x80000000, v13
	s_cbranch_vccz .LBB83_57
; %bb.39:                               ;   in Loop: Header=BB83_11 Depth=1
	v_subrev_u32_e32 v10, s31, v2
	v_add_u32_e32 v16, v10, v3
	v_subrev_u32_e32 v14, s31, v0
	v_ashrrev_i32_e32 v17, 31, v16
	v_add_u32_e32 v8, v14, v3
	v_lshlrev_b64 v[16:17], 3, v[16:17]
	v_ashrrev_i32_e32 v9, 31, v8
	v_mov_b32_e32 v15, s13
	v_add_co_u32_e32 v16, vcc, s12, v16
	v_lshlrev_b64 v[8:9], 3, v[8:9]
	v_addc_co_u32_e32 v17, vcc, v15, v17, vcc
	v_add_co_u32_e32 v32, vcc, s12, v8
	flat_load_dwordx2 v[18:19], v[16:17]
	v_addc_co_u32_e32 v33, vcc, v15, v9, vcc
	flat_load_dwordx2 v[34:35], v[32:33]
	v_xor_b32_e32 v8, 0x80000000, v13
	v_mov_b32_e32 v9, v13
	v_mov_b32_e32 v36, v11
	s_waitcnt vmcnt(0) lgkmcnt(0)
	v_pk_mul_f32 v[38:39], v[18:19], v[12:13]
	v_mul_f32_e32 v15, v19, v12
	v_add_f32_e32 v38, v38, v39
	v_pk_mul_f32 v[40:41], v[8:9], v[34:35]
	v_fma_f32 v39, -v13, v18, v15
	v_pk_fma_f32 v[40:41], v[34:35], v[12:13], v[40:41] op_sel:[0,0,1] op_sel_hi:[1,0,0] neg_lo:[1,0,0] neg_hi:[1,0,0]
	v_fmac_f32_e32 v38, v11, v34
	v_fmac_f32_e32 v39, v11, v35
	v_pk_fma_f32 v[18:19], v[36:37], v[18:19], v[40:41] op_sel_hi:[0,1,1]
	flat_store_dwordx2 v[32:33], v[38:39]
	flat_store_dwordx2 v[16:17], v[18:19]
	s_and_saveexec_b64 s[8:9], s[2:3]
	s_cbranch_execz .LBB83_41
; %bb.40:                               ;   in Loop: Header=BB83_11 Depth=1
	v_add_u32_e32 v16, v10, v5
	v_ashrrev_i32_e32 v17, 31, v16
	v_add_u32_e32 v14, v14, v5
	v_lshlrev_b64 v[16:17], 3, v[16:17]
	v_ashrrev_i32_e32 v15, 31, v14
	v_mov_b32_e32 v31, s13
	v_add_co_u32_e32 v16, vcc, s12, v16
	v_lshlrev_b64 v[14:15], 3, v[14:15]
	v_addc_co_u32_e32 v17, vcc, v31, v17, vcc
	v_add_co_u32_e32 v14, vcc, s12, v14
	flat_load_dwordx2 v[18:19], v[16:17]
	v_addc_co_u32_e32 v15, vcc, v31, v15, vcc
	flat_load_dwordx2 v[32:33], v[14:15]
	v_mov_b32_e32 v34, v13
	v_mov_b32_e32 v36, v12
	;; [unrolled: 1-line block ×4, first 2 shown]
	s_waitcnt vmcnt(0) lgkmcnt(0)
	v_pk_mul_f32 v[38:39], v[18:19], v[12:13]
	v_mul_f32_e32 v31, v19, v12
	v_add_f32_e32 v38, v38, v39
	v_pk_mul_f32 v[40:41], v[8:9], v[32:33]
	v_fma_f32 v39, -v34, v18, v31
	v_pk_fma_f32 v[34:35], v[32:33], v[36:37], v[40:41] op_sel:[0,0,1] op_sel_hi:[1,1,0] neg_lo:[1,0,0] neg_hi:[1,0,0]
	v_fmac_f32_e32 v38, v11, v32
	v_fmac_f32_e32 v39, v11, v33
	v_pk_fma_f32 v[18:19], v[10:11], v[18:19], v[34:35]
	flat_store_dwordx2 v[14:15], v[38:39]
	flat_store_dwordx2 v[16:17], v[18:19]
.LBB83_41:                              ;   in Loop: Header=BB83_11 Depth=1
	s_or_b64 exec, exec, s[8:9]
	v_mov_b32_e32 v10, v11
	v_mov_b32_e32 v15, v12
	;; [unrolled: 1-line block ×3, first 2 shown]
	s_cbranch_execnz .LBB83_43
.LBB83_42:                              ;   in Loop: Header=BB83_11 Depth=1
	v_xor_b32_e32 v8, 0x80000000, v13
	v_mov_b32_e32 v9, v13
	v_mov_b32_e32 v10, v11
	;; [unrolled: 1-line block ×4, first 2 shown]
.LBB83_43:                              ;   in Loop: Header=BB83_11 Depth=1
	v_mad_u64_u32 v[16:17], s[8:9], v0, s11, v[4:5]
	v_ashrrev_i32_e32 v17, 31, v16
	v_lshlrev_b64 v[18:19], 3, v[16:17]
	v_mad_u64_u32 v[16:17], s[8:9], v2, s11, v[4:5]
	v_ashrrev_i32_e32 v17, 31, v16
	v_lshlrev_b64 v[16:17], 3, v[16:17]
	v_mov_b32_e32 v32, s34
	v_add_co_u32_e32 v16, vcc, s10, v16
	v_addc_co_u32_e32 v17, vcc, v32, v17, vcc
	v_mov_b32_e32 v31, s34
	v_add_co_u32_e32 v18, vcc, s10, v18
	global_load_dwordx2 v[32:33], v[16:17], off
	v_addc_co_u32_e32 v19, vcc, v31, v19, vcc
	global_load_dwordx2 v[34:35], v[18:19], off
	s_waitcnt vmcnt(0)
	v_pk_mul_f32 v[36:37], v[32:33], v[12:13]
	v_mul_f32_e32 v31, v33, v12
	v_add_f32_e32 v36, v36, v37
	v_pk_mul_f32 v[38:39], v[8:9], v[34:35]
	v_fma_f32 v37, -v13, v32, v31
	v_pk_fma_f32 v[38:39], v[34:35], v[14:15], v[38:39] op_sel:[0,0,1] op_sel_hi:[1,1,0] neg_lo:[1,0,0] neg_hi:[1,0,0]
	v_fmac_f32_e32 v36, v11, v34
	v_fmac_f32_e32 v37, v11, v35
	v_pk_fma_f32 v[32:33], v[10:11], v[32:33], v[38:39]
	global_store_dwordx2 v[18:19], v[36:37], off
	global_store_dwordx2 v[16:17], v[32:33], off
	s_and_saveexec_b64 s[8:9], s[2:3]
	s_cbranch_execz .LBB83_45
; %bb.44:                               ;   in Loop: Header=BB83_11 Depth=1
	global_load_dwordx2 v[32:33], v[16:17], off offset:8
	global_load_dwordx2 v[34:35], v[18:19], off offset:8
	s_waitcnt vmcnt(0)
	v_pk_mul_f32 v[36:37], v[32:33], v[12:13]
	v_mul_f32_e32 v31, v33, v12
	v_pk_mul_f32 v[8:9], v[8:9], v[34:35]
	v_add_f32_e32 v36, v36, v37
	v_fma_f32 v37, -v13, v32, v31
	v_pk_fma_f32 v[8:9], v[34:35], v[14:15], v[8:9] op_sel:[0,0,1] op_sel_hi:[1,1,0] neg_lo:[1,0,0] neg_hi:[1,0,0]
	v_fmac_f32_e32 v36, v11, v34
	v_fmac_f32_e32 v37, v11, v35
	v_pk_fma_f32 v[8:9], v[10:11], v[32:33], v[8:9]
	global_store_dwordx2 v[18:19], v[36:37], off offset:8
	global_store_dwordx2 v[16:17], v[8:9], off offset:8
.LBB83_45:                              ;   in Loop: Header=BB83_11 Depth=1
	s_or_b64 exec, exec, s[8:9]
	v_mov_b32_e32 v8, v12
.LBB83_46:                              ;   in Loop: Header=BB83_11 Depth=1
	s_or_b64 exec, exec, s[6:7]
	s_waitcnt lgkmcnt(0)
	s_barrier
	s_and_saveexec_b64 s[6:7], s[4:5]
	s_cbranch_execz .LBB83_49
; %bb.47:                               ;   in Loop: Header=BB83_11 Depth=1
	v_add_u32_e32 v16, v2, v22
	v_ashrrev_i32_e32 v17, 31, v16
	v_add_u32_e32 v14, v0, v22
	v_lshlrev_b64 v[16:17], 3, v[16:17]
	v_ashrrev_i32_e32 v15, 31, v14
	v_mov_b32_e32 v10, s34
	v_add_co_u32_e32 v16, vcc, s10, v16
	v_lshlrev_b64 v[14:15], 3, v[14:15]
	v_addc_co_u32_e32 v17, vcc, v10, v17, vcc
	v_mov_b32_e32 v9, s34
	v_add_co_u32_e32 v14, vcc, s10, v14
	global_load_dwordx2 v[18:19], v[16:17], off
	v_addc_co_u32_e32 v15, vcc, v9, v15, vcc
	global_load_dwordx2 v[32:33], v[14:15], off
	v_mov_b32_e32 v10, v11
	s_waitcnt vmcnt(0)
	v_pk_mul_f32 v[34:35], v[12:13], v[18:19]
	v_mul_f32_e32 v37, v13, v18
	v_sub_f32_e32 v36, v34, v35
	v_pk_mul_f32 v[38:39], v[6:7], v[32:33] op_sel_hi:[0,1] neg_lo:[1,0]
	v_fmac_f32_e32 v37, v12, v19
	v_pk_fma_f32 v[34:35], v[8:9], v[32:33], v[38:39] op_sel:[0,0,1] op_sel_hi:[0,1,0] neg_lo:[1,0,0] neg_hi:[1,0,0]
	v_fmac_f32_e32 v36, v11, v32
	v_fmac_f32_e32 v37, v11, v33
	v_pk_fma_f32 v[18:19], v[10:11], v[18:19], v[34:35] op_sel_hi:[0,1,1]
	global_store_dwordx2 v[14:15], v[36:37], off
	global_store_dwordx2 v[16:17], v[18:19], off
	s_and_b64 exec, exec, s[2:3]
	s_cbranch_execz .LBB83_49
; %bb.48:                               ;   in Loop: Header=BB83_11 Depth=1
	v_add_u32_e32 v16, v2, v23
	v_ashrrev_i32_e32 v17, 31, v16
	v_add_u32_e32 v14, v0, v23
	v_lshlrev_b64 v[16:17], 3, v[16:17]
	v_ashrrev_i32_e32 v15, 31, v14
	v_mov_b32_e32 v10, s34
	v_add_co_u32_e32 v16, vcc, s10, v16
	v_lshlrev_b64 v[14:15], 3, v[14:15]
	v_addc_co_u32_e32 v17, vcc, v10, v17, vcc
	v_mov_b32_e32 v9, s34
	v_add_co_u32_e32 v14, vcc, s10, v14
	global_load_dwordx2 v[18:19], v[16:17], off
	v_addc_co_u32_e32 v15, vcc, v9, v15, vcc
	global_load_dwordx2 v[32:33], v[14:15], off
	v_mov_b32_e32 v36, v13
	v_xor_b32_e32 v34, 0x80000000, v6
	v_mov_b32_e32 v35, v6
	v_mov_b32_e32 v9, v8
	;; [unrolled: 1-line block ×3, first 2 shown]
	s_waitcnt vmcnt(1)
	v_pk_mul_f32 v[38:39], v[12:13], v[18:19]
	v_mul_f32_e32 v37, v36, v18
	v_sub_f32_e32 v36, v38, v39
	s_waitcnt vmcnt(0)
	v_pk_mul_f32 v[34:35], v[34:35], v[32:33]
	v_fmac_f32_e32 v37, v12, v19
	v_pk_fma_f32 v[34:35], v[8:9], v[32:33], v[34:35] op_sel:[0,0,1] op_sel_hi:[1,1,0] neg_lo:[1,0,0] neg_hi:[1,0,0]
	v_fmac_f32_e32 v36, v11, v32
	v_fmac_f32_e32 v37, v11, v33
	v_pk_fma_f32 v[18:19], v[10:11], v[18:19], v[34:35]
	global_store_dwordx2 v[14:15], v[36:37], off
	global_store_dwordx2 v[16:17], v[18:19], off
.LBB83_49:                              ;   in Loop: Header=BB83_11 Depth=1
	s_or_b64 exec, exec, s[6:7]
	s_barrier
	s_and_saveexec_b64 s[4:5], s[18:19]
	s_cbranch_execz .LBB83_51
; %bb.50:                               ;   in Loop: Header=BB83_11 Depth=1
	v_mad_u64_u32 v[14:15], s[6:7], v2, s11, v[0:1]
	v_ashrrev_i32_e32 v15, 31, v14
	v_lshlrev_b64 v[14:15], 3, v[14:15]
	v_mov_b32_e32 v9, s34
	v_add_co_u32_e32 v14, vcc, s10, v14
	s_mov_b32 s17, s16
	v_addc_co_u32_e32 v15, vcc, v9, v15, vcc
	v_pk_mov_b32 v[16:17], s[16:17], s[16:17] op_sel:[0,1]
	global_store_dwordx2 v[14:15], v[16:17], off
	v_mad_u64_u32 v[14:15], s[6:7], v0, s11, v[2:3]
	v_ashrrev_i32_e32 v15, 31, v14
	v_lshlrev_b64 v[14:15], 3, v[14:15]
	v_mov_b32_e32 v2, s34
	v_add_co_u32_e32 v14, vcc, s10, v14
	v_addc_co_u32_e32 v15, vcc, v2, v15, vcc
	global_store_dwordx2 v[14:15], v[16:17], off
.LBB83_51:                              ;   in Loop: Header=BB83_11 Depth=1
	s_or_b64 exec, exec, s[4:5]
	v_cmp_lt_i32_e32 vcc, 0, v1
	s_and_saveexec_b64 s[4:5], vcc
	s_cbranch_execz .LBB83_55
; %bb.52:                               ;   in Loop: Header=BB83_11 Depth=1
	v_cmp_ne_u32_e32 vcc, 1, v1
	v_mov_b32_e32 v0, s33
	s_and_saveexec_b64 s[6:7], vcc
; %bb.53:                               ;   in Loop: Header=BB83_11 Depth=1
	v_mov_b32_e32 v0, v25
; %bb.54:                               ;   in Loop: Header=BB83_11 Depth=1
	s_or_b64 exec, exec, s[6:7]
	ds_read_b32 v0, v0
.LBB83_55:                              ;   in Loop: Header=BB83_11 Depth=1
	s_or_b64 exec, exec, s[4:5]
	ds_read_b32 v2, v27
	s_waitcnt lgkmcnt(0)
	s_barrier
	s_and_saveexec_b64 s[4:5], s[0:1]
	s_cbranch_execz .LBB83_10
; %bb.56:                               ;   in Loop: Header=BB83_11 Depth=1
	ds_write_b32 v24, v0
	ds_write_b32 v26, v2
	s_branch .LBB83_10
.LBB83_57:                              ;   in Loop: Header=BB83_11 Depth=1
                                        ; implicit-def: $vgpr15
                                        ; implicit-def: $vgpr8_vgpr9
	v_mov_b32_e32 v14, v12
	s_branch .LBB83_42
.LBB83_58:
	s_endpgm
	.section	.rodata,"a",@progbits
	.p2align	6, 0x0
	.amdhsa_kernel _ZN9rocsolver6v33100L17syevj_diag_kernelI19rocblas_complex_numIfEfPS3_EEviT1_iilT0_PT_Pi
		.amdhsa_group_segment_fixed_size 0
		.amdhsa_private_segment_fixed_size 0
		.amdhsa_kernarg_size 312
		.amdhsa_user_sgpr_count 6
		.amdhsa_user_sgpr_private_segment_buffer 1
		.amdhsa_user_sgpr_dispatch_ptr 0
		.amdhsa_user_sgpr_queue_ptr 0
		.amdhsa_user_sgpr_kernarg_segment_ptr 1
		.amdhsa_user_sgpr_dispatch_id 0
		.amdhsa_user_sgpr_flat_scratch_init 0
		.amdhsa_user_sgpr_kernarg_preload_length 0
		.amdhsa_user_sgpr_kernarg_preload_offset 0
		.amdhsa_user_sgpr_private_segment_size 0
		.amdhsa_uses_dynamic_stack 0
		.amdhsa_system_sgpr_private_segment_wavefront_offset 0
		.amdhsa_system_sgpr_workgroup_id_x 1
		.amdhsa_system_sgpr_workgroup_id_y 0
		.amdhsa_system_sgpr_workgroup_id_z 1
		.amdhsa_system_sgpr_workgroup_info 0
		.amdhsa_system_vgpr_workitem_id 1
		.amdhsa_next_free_vgpr 42
		.amdhsa_next_free_sgpr 39
		.amdhsa_accum_offset 44
		.amdhsa_reserve_vcc 1
		.amdhsa_reserve_flat_scratch 0
		.amdhsa_float_round_mode_32 0
		.amdhsa_float_round_mode_16_64 0
		.amdhsa_float_denorm_mode_32 3
		.amdhsa_float_denorm_mode_16_64 3
		.amdhsa_dx10_clamp 1
		.amdhsa_ieee_mode 1
		.amdhsa_fp16_overflow 0
		.amdhsa_tg_split 0
		.amdhsa_exception_fp_ieee_invalid_op 0
		.amdhsa_exception_fp_denorm_src 0
		.amdhsa_exception_fp_ieee_div_zero 0
		.amdhsa_exception_fp_ieee_overflow 0
		.amdhsa_exception_fp_ieee_underflow 0
		.amdhsa_exception_fp_ieee_inexact 0
		.amdhsa_exception_int_div_zero 0
	.end_amdhsa_kernel
	.section	.text._ZN9rocsolver6v33100L17syevj_diag_kernelI19rocblas_complex_numIfEfPS3_EEviT1_iilT0_PT_Pi,"axG",@progbits,_ZN9rocsolver6v33100L17syevj_diag_kernelI19rocblas_complex_numIfEfPS3_EEviT1_iilT0_PT_Pi,comdat
.Lfunc_end83:
	.size	_ZN9rocsolver6v33100L17syevj_diag_kernelI19rocblas_complex_numIfEfPS3_EEviT1_iilT0_PT_Pi, .Lfunc_end83-_ZN9rocsolver6v33100L17syevj_diag_kernelI19rocblas_complex_numIfEfPS3_EEviT1_iilT0_PT_Pi
                                        ; -- End function
	.section	.AMDGPU.csdata,"",@progbits
; Kernel info:
; codeLenInByte = 3804
; NumSgprs: 43
; NumVgprs: 42
; NumAgprs: 0
; TotalNumVgprs: 42
; ScratchSize: 0
; MemoryBound: 0
; FloatMode: 240
; IeeeMode: 1
; LDSByteSize: 0 bytes/workgroup (compile time only)
; SGPRBlocks: 5
; VGPRBlocks: 5
; NumSGPRsForWavesPerEU: 43
; NumVGPRsForWavesPerEU: 42
; AccumOffset: 44
; Occupancy: 8
; WaveLimiterHint : 0
; COMPUTE_PGM_RSRC2:SCRATCH_EN: 0
; COMPUTE_PGM_RSRC2:USER_SGPR: 6
; COMPUTE_PGM_RSRC2:TRAP_HANDLER: 0
; COMPUTE_PGM_RSRC2:TGID_X_EN: 1
; COMPUTE_PGM_RSRC2:TGID_Y_EN: 0
; COMPUTE_PGM_RSRC2:TGID_Z_EN: 1
; COMPUTE_PGM_RSRC2:TIDIG_COMP_CNT: 1
; COMPUTE_PGM_RSRC3_GFX90A:ACCUM_OFFSET: 10
; COMPUTE_PGM_RSRC3_GFX90A:TG_SPLIT: 0
	.section	.text._ZN9rocsolver6v33100L21syevj_diag_rotate_orgILb0E19rocblas_complex_numIfEfPS3_EEvbiT2_iilPT0_Pi,"axG",@progbits,_ZN9rocsolver6v33100L21syevj_diag_rotate_orgILb0E19rocblas_complex_numIfEfPS3_EEvbiT2_iilPT0_Pi,comdat
	.globl	_ZN9rocsolver6v33100L21syevj_diag_rotate_orgILb0E19rocblas_complex_numIfEfPS3_EEvbiT2_iilPT0_Pi ; -- Begin function _ZN9rocsolver6v33100L21syevj_diag_rotate_orgILb0E19rocblas_complex_numIfEfPS3_EEvbiT2_iilPT0_Pi
	.p2align	8
	.type	_ZN9rocsolver6v33100L21syevj_diag_rotate_orgILb0E19rocblas_complex_numIfEfPS3_EEvbiT2_iilPT0_Pi,@function
_ZN9rocsolver6v33100L21syevj_diag_rotate_orgILb0E19rocblas_complex_numIfEfPS3_EEvbiT2_iilPT0_Pi: ; @_ZN9rocsolver6v33100L21syevj_diag_rotate_orgILb0E19rocblas_complex_numIfEfPS3_EEvbiT2_iilPT0_Pi
; %bb.0:
	s_load_dwordx2 s[0:1], s[4:5], 0x0
	s_load_dwordx2 s[2:3], s[4:5], 0x28
	s_waitcnt lgkmcnt(0)
	s_bitcmp1_b32 s0, 0
	s_cselect_b64 s[10:11], -1, 0
	s_ashr_i32 s9, s8, 31
	s_lshl_b64 s[12:13], s[8:9], 2
	s_add_u32 s2, s2, s12
	s_addc_u32 s3, s3, s13
	s_load_dword s0, s[2:3], 0x4
	s_waitcnt lgkmcnt(0)
	s_cmp_lg_u32 s0, 0
	s_cselect_b64 s[2:3], -1, 0
	s_cmp_eq_u32 s6, s7
	s_cselect_b64 s[12:13], -1, 0
	s_and_b64 s[10:11], s[12:13], s[10:11]
	s_or_b64 s[2:3], s[10:11], s[2:3]
	s_and_b64 vcc, exec, s[2:3]
	s_cbranch_vccnz .LBB84_6
; %bb.1:
	s_load_dword s0, s[4:5], 0x3c
	s_add_u32 s2, s4, 48
	s_addc_u32 s3, s5, 0
	v_and_b32_e32 v5, 0x3ff, v0
	v_bfe_u32 v4, v0, 10, 10
	s_waitcnt lgkmcnt(0)
	s_and_b32 s10, s0, 0xffff
	s_mul_i32 s0, s6, s10
	s_mul_i32 s11, s7, s10
	v_add_u32_e32 v1, s0, v5
	v_add_u32_e32 v0, s11, v4
	v_max_i32_e32 v2, v1, v0
	v_cmp_gt_i32_e32 vcc, s1, v2
	s_and_saveexec_b64 s[12:13], vcc
	s_cbranch_execz .LBB84_6
; %bb.2:
	s_load_dwordx8 s[12:19], s[4:5], 0x8
	s_sub_i32 s0, s1, s0
	s_min_i32 s4, s0, s10
	v_mov_b32_e32 v3, 0
	v_mov_b32_e32 v2, v3
	s_waitcnt lgkmcnt(0)
	s_mul_i32 s5, s8, s17
	s_mul_hi_u32 s11, s8, s16
	s_add_i32 s5, s11, s5
	s_mul_i32 s9, s9, s16
	s_add_i32 s17, s5, s9
	s_mul_i32 s16, s8, s16
	s_ashr_i32 s1, s14, 31
	s_lshl_b64 s[16:17], s[16:17], 3
	s_mov_b32 s0, s14
	s_add_u32 s5, s12, s16
	s_addc_u32 s9, s13, s17
	s_lshl_b64 s[0:1], s[0:1], 3
	s_add_u32 s0, s5, s0
	s_addc_u32 s1, s9, s1
	s_mov_b32 s5, 0
	s_cmp_lt_i32 s4, 1
	s_cbranch_scc1 .LBB84_5
; %bb.3:
	s_load_dword s2, s[2:3], 0x0
	s_mul_i32 s3, s6, s15
	s_add_i32 s3, s7, s3
	s_mul_i32 s3, s3, s10
	v_add_u32_e32 v4, s3, v4
	s_waitcnt lgkmcnt(0)
	s_mul_i32 s2, s2, s8
	s_add_i32 s2, s2, s6
	s_mul_i32 s2, s2, s10
	s_mul_i32 s2, s2, s10
	s_ashr_i32 s3, s2, 31
	s_lshl_b64 s[2:3], s[2:3], 3
	s_add_u32 s2, s18, s2
	v_lshlrev_b32_e32 v2, 3, v5
	s_addc_u32 s3, s19, s3
	v_mov_b32_e32 v3, s3
	v_add_co_u32_e32 v6, vcc, s2, v2
	v_mov_b32_e32 v2, 0
	v_addc_co_u32_e32 v7, vcc, 0, v3, vcc
	s_lshl_b32 s2, s10, 3
	v_mov_b32_e32 v8, s1
	v_mov_b32_e32 v9, s5
	;; [unrolled: 1-line block ×3, first 2 shown]
.LBB84_4:                               ; =>This Inner Loop Header: Depth=1
	v_ashrrev_i32_e32 v5, 31, v4
	v_lshlrev_b64 v[12:13], 3, v[4:5]
	v_add_co_u32_e32 v12, vcc, s0, v12
	v_addc_co_u32_e32 v13, vcc, v8, v13, vcc
	global_load_dwordx2 v[10:11], v[6:7], off
	s_add_i32 s4, s4, -1
	global_load_dwordx2 v[12:13], v[12:13], off
	v_add_co_u32_e32 v6, vcc, s2, v6
	v_addc_co_u32_e32 v7, vcc, v7, v9, vcc
	v_add_u32_e32 v4, s15, v4
	s_cmp_lg_u32 s4, 0
	s_waitcnt vmcnt(0)
	v_pk_mul_f32 v[14:15], v[12:13], v[10:11] op_sel:[0,1]
	v_pk_fma_f32 v[16:17], v[12:13], v[10:11], v[14:15] op_sel:[0,0,1] op_sel_hi:[1,1,0] neg_lo:[0,0,1] neg_hi:[0,0,1]
	v_pk_fma_f32 v[10:11], v[12:13], v[10:11], v[14:15] op_sel:[0,0,1] op_sel_hi:[1,0,0]
	v_mov_b32_e32 v17, v11
	v_pk_add_f32 v[2:3], v[2:3], v[16:17]
	s_cbranch_scc1 .LBB84_4
.LBB84_5:
	v_mad_u64_u32 v[0:1], s[2:3], v1, s15, v[0:1]
	v_ashrrev_i32_e32 v1, 31, v0
	v_lshlrev_b64 v[0:1], 3, v[0:1]
	v_mov_b32_e32 v4, s1
	v_add_co_u32_e32 v0, vcc, s0, v0
	v_addc_co_u32_e32 v1, vcc, v4, v1, vcc
	s_barrier
	global_store_dwordx2 v[0:1], v[2:3], off
.LBB84_6:
	s_endpgm
	.section	.rodata,"a",@progbits
	.p2align	6, 0x0
	.amdhsa_kernel _ZN9rocsolver6v33100L21syevj_diag_rotate_orgILb0E19rocblas_complex_numIfEfPS3_EEvbiT2_iilPT0_Pi
		.amdhsa_group_segment_fixed_size 0
		.amdhsa_private_segment_fixed_size 0
		.amdhsa_kernarg_size 304
		.amdhsa_user_sgpr_count 6
		.amdhsa_user_sgpr_private_segment_buffer 1
		.amdhsa_user_sgpr_dispatch_ptr 0
		.amdhsa_user_sgpr_queue_ptr 0
		.amdhsa_user_sgpr_kernarg_segment_ptr 1
		.amdhsa_user_sgpr_dispatch_id 0
		.amdhsa_user_sgpr_flat_scratch_init 0
		.amdhsa_user_sgpr_kernarg_preload_length 0
		.amdhsa_user_sgpr_kernarg_preload_offset 0
		.amdhsa_user_sgpr_private_segment_size 0
		.amdhsa_uses_dynamic_stack 0
		.amdhsa_system_sgpr_private_segment_wavefront_offset 0
		.amdhsa_system_sgpr_workgroup_id_x 1
		.amdhsa_system_sgpr_workgroup_id_y 1
		.amdhsa_system_sgpr_workgroup_id_z 1
		.amdhsa_system_sgpr_workgroup_info 0
		.amdhsa_system_vgpr_workitem_id 1
		.amdhsa_next_free_vgpr 18
		.amdhsa_next_free_sgpr 20
		.amdhsa_accum_offset 20
		.amdhsa_reserve_vcc 1
		.amdhsa_reserve_flat_scratch 0
		.amdhsa_float_round_mode_32 0
		.amdhsa_float_round_mode_16_64 0
		.amdhsa_float_denorm_mode_32 3
		.amdhsa_float_denorm_mode_16_64 3
		.amdhsa_dx10_clamp 1
		.amdhsa_ieee_mode 1
		.amdhsa_fp16_overflow 0
		.amdhsa_tg_split 0
		.amdhsa_exception_fp_ieee_invalid_op 0
		.amdhsa_exception_fp_denorm_src 0
		.amdhsa_exception_fp_ieee_div_zero 0
		.amdhsa_exception_fp_ieee_overflow 0
		.amdhsa_exception_fp_ieee_underflow 0
		.amdhsa_exception_fp_ieee_inexact 0
		.amdhsa_exception_int_div_zero 0
	.end_amdhsa_kernel
	.section	.text._ZN9rocsolver6v33100L21syevj_diag_rotate_orgILb0E19rocblas_complex_numIfEfPS3_EEvbiT2_iilPT0_Pi,"axG",@progbits,_ZN9rocsolver6v33100L21syevj_diag_rotate_orgILb0E19rocblas_complex_numIfEfPS3_EEvbiT2_iilPT0_Pi,comdat
.Lfunc_end84:
	.size	_ZN9rocsolver6v33100L21syevj_diag_rotate_orgILb0E19rocblas_complex_numIfEfPS3_EEvbiT2_iilPT0_Pi, .Lfunc_end84-_ZN9rocsolver6v33100L21syevj_diag_rotate_orgILb0E19rocblas_complex_numIfEfPS3_EEvbiT2_iilPT0_Pi
                                        ; -- End function
	.section	.AMDGPU.csdata,"",@progbits
; Kernel info:
; codeLenInByte = 504
; NumSgprs: 24
; NumVgprs: 18
; NumAgprs: 0
; TotalNumVgprs: 18
; ScratchSize: 0
; MemoryBound: 0
; FloatMode: 240
; IeeeMode: 1
; LDSByteSize: 0 bytes/workgroup (compile time only)
; SGPRBlocks: 2
; VGPRBlocks: 2
; NumSGPRsForWavesPerEU: 24
; NumVGPRsForWavesPerEU: 18
; AccumOffset: 20
; Occupancy: 8
; WaveLimiterHint : 0
; COMPUTE_PGM_RSRC2:SCRATCH_EN: 0
; COMPUTE_PGM_RSRC2:USER_SGPR: 6
; COMPUTE_PGM_RSRC2:TRAP_HANDLER: 0
; COMPUTE_PGM_RSRC2:TGID_X_EN: 1
; COMPUTE_PGM_RSRC2:TGID_Y_EN: 1
; COMPUTE_PGM_RSRC2:TGID_Z_EN: 1
; COMPUTE_PGM_RSRC2:TIDIG_COMP_CNT: 1
; COMPUTE_PGM_RSRC3_GFX90A:ACCUM_OFFSET: 4
; COMPUTE_PGM_RSRC3_GFX90A:TG_SPLIT: 0
	.section	.text._ZN9rocsolver6v33100L21syevj_diag_rotate_orgILb1E19rocblas_complex_numIfEfPS3_EEvbiT2_iilPT0_Pi,"axG",@progbits,_ZN9rocsolver6v33100L21syevj_diag_rotate_orgILb1E19rocblas_complex_numIfEfPS3_EEvbiT2_iilPT0_Pi,comdat
	.globl	_ZN9rocsolver6v33100L21syevj_diag_rotate_orgILb1E19rocblas_complex_numIfEfPS3_EEvbiT2_iilPT0_Pi ; -- Begin function _ZN9rocsolver6v33100L21syevj_diag_rotate_orgILb1E19rocblas_complex_numIfEfPS3_EEvbiT2_iilPT0_Pi
	.p2align	8
	.type	_ZN9rocsolver6v33100L21syevj_diag_rotate_orgILb1E19rocblas_complex_numIfEfPS3_EEvbiT2_iilPT0_Pi,@function
_ZN9rocsolver6v33100L21syevj_diag_rotate_orgILb1E19rocblas_complex_numIfEfPS3_EEvbiT2_iilPT0_Pi: ; @_ZN9rocsolver6v33100L21syevj_diag_rotate_orgILb1E19rocblas_complex_numIfEfPS3_EEvbiT2_iilPT0_Pi
; %bb.0:
	s_load_dwordx2 s[2:3], s[4:5], 0x0
	s_load_dwordx2 s[0:1], s[4:5], 0x28
	s_waitcnt lgkmcnt(0)
	s_bitcmp1_b32 s2, 0
	s_cselect_b64 s[10:11], -1, 0
	s_ashr_i32 s9, s8, 31
	s_lshl_b64 s[12:13], s[8:9], 2
	s_add_u32 s0, s0, s12
	s_addc_u32 s1, s1, s13
	s_load_dword s0, s[0:1], 0x4
	s_waitcnt lgkmcnt(0)
	s_cmp_lg_u32 s0, 0
	s_cselect_b64 s[0:1], -1, 0
	s_cmp_eq_u32 s6, s7
	s_cselect_b64 s[12:13], -1, 0
	s_and_b64 s[10:11], s[12:13], s[10:11]
	s_or_b64 s[0:1], s[10:11], s[0:1]
	s_and_b64 vcc, exec, s[0:1]
	s_cbranch_vccnz .LBB85_6
; %bb.1:
	s_load_dword s2, s[4:5], 0x3c
	s_add_u32 s0, s4, 48
	s_addc_u32 s1, s5, 0
	v_and_b32_e32 v2, 0x3ff, v0
	v_bfe_u32 v0, v0, 10, 10
	s_waitcnt lgkmcnt(0)
	s_and_b32 s11, s2, 0xffff
	s_mul_i32 s10, s6, s11
	s_mul_i32 s7, s7, s11
	v_add_u32_e32 v6, s10, v2
	v_add_u32_e32 v0, s7, v0
	v_max_i32_e32 v1, v6, v0
	v_cmp_gt_i32_e32 vcc, s3, v1
	s_and_saveexec_b64 s[12:13], vcc
	s_cbranch_execz .LBB85_6
; %bb.2:
	s_load_dwordx8 s[12:19], s[4:5], 0x8
	s_sub_i32 s2, s3, s10
	s_min_i32 s3, s2, s11
	v_mov_b32_e32 v1, 0
	s_waitcnt lgkmcnt(0)
	s_mul_i32 s2, s8, s17
	s_mul_hi_u32 s7, s8, s16
	s_add_i32 s2, s7, s2
	s_mul_i32 s7, s9, s16
	s_add_i32 s17, s2, s7
	s_mul_i32 s16, s8, s16
	s_ashr_i32 s5, s14, 31
	s_lshl_b64 s[16:17], s[16:17], 3
	s_mov_b32 s4, s14
	s_add_u32 s2, s12, s16
	s_addc_u32 s7, s13, s17
	s_lshl_b64 s[4:5], s[4:5], 3
	s_add_u32 s2, s2, s4
	s_addc_u32 s4, s7, s5
	s_cmp_lt_i32 s3, 1
	v_mul_lo_u32 v7, v0, s15
	s_mov_b32 s5, 0
	v_mov_b32_e32 v0, v1
	s_cbranch_scc1 .LBB85_5
; %bb.3:
	s_load_dword s0, s[0:1], 0x0
	v_lshlrev_b32_e32 v0, 3, v2
	v_add_u32_e32 v4, s10, v7
	v_mov_b32_e32 v8, s4
	v_mov_b32_e32 v9, s5
	s_waitcnt lgkmcnt(0)
	s_mul_i32 s0, s0, s8
	s_add_i32 s0, s0, s6
	s_mul_i32 s0, s0, s11
	s_mul_i32 s0, s0, s11
	s_ashr_i32 s1, s0, 31
	s_lshl_b64 s[0:1], s[0:1], 3
	s_add_u32 s0, s18, s0
	s_addc_u32 s1, s19, s1
	v_mov_b32_e32 v1, s1
	v_add_co_u32_e32 v0, vcc, s0, v0
	v_addc_co_u32_e32 v1, vcc, 0, v1, vcc
	v_add_co_u32_e32 v2, vcc, 4, v0
	v_mov_b32_e32 v0, 0
	v_addc_co_u32_e32 v3, vcc, 0, v1, vcc
	s_lshl_b32 s0, s11, 3
	v_mov_b32_e32 v1, v0
.LBB85_4:                               ; =>This Inner Loop Header: Depth=1
	v_ashrrev_i32_e32 v5, 31, v4
	v_lshlrev_b64 v[12:13], 3, v[4:5]
	v_add_co_u32_e32 v12, vcc, s2, v12
	v_addc_co_u32_e32 v13, vcc, v8, v13, vcc
	global_load_dwordx2 v[10:11], v[2:3], off offset:-4
	s_add_i32 s3, s3, -1
	global_load_dwordx2 v[12:13], v[12:13], off
	v_add_co_u32_e32 v2, vcc, s0, v2
	v_addc_co_u32_e32 v3, vcc, v3, v9, vcc
	v_add_u32_e32 v4, 1, v4
	s_cmp_lg_u32 s3, 0
	s_waitcnt vmcnt(0)
	v_pk_mul_f32 v[14:15], v[10:11], v[12:13] op_sel:[1,0]
	v_pk_fma_f32 v[16:17], v[10:11], v[12:13], v[14:15] op_sel:[0,0,1] op_sel_hi:[1,1,0]
	v_pk_fma_f32 v[10:11], v[10:11], v[12:13], v[14:15] op_sel:[0,0,1] op_sel_hi:[0,1,0] neg_lo:[0,0,1] neg_hi:[0,0,1]
	v_mov_b32_e32 v17, v11
	v_pk_add_f32 v[0:1], v[0:1], v[16:17]
	s_cbranch_scc1 .LBB85_4
.LBB85_5:
	v_add_u32_e32 v2, v7, v6
	v_ashrrev_i32_e32 v3, 31, v2
	v_lshlrev_b64 v[2:3], 3, v[2:3]
	v_mov_b32_e32 v4, s4
	v_add_co_u32_e32 v2, vcc, s2, v2
	v_addc_co_u32_e32 v3, vcc, v4, v3, vcc
	s_barrier
	global_store_dwordx2 v[2:3], v[0:1], off
.LBB85_6:
	s_endpgm
	.section	.rodata,"a",@progbits
	.p2align	6, 0x0
	.amdhsa_kernel _ZN9rocsolver6v33100L21syevj_diag_rotate_orgILb1E19rocblas_complex_numIfEfPS3_EEvbiT2_iilPT0_Pi
		.amdhsa_group_segment_fixed_size 0
		.amdhsa_private_segment_fixed_size 0
		.amdhsa_kernarg_size 304
		.amdhsa_user_sgpr_count 6
		.amdhsa_user_sgpr_private_segment_buffer 1
		.amdhsa_user_sgpr_dispatch_ptr 0
		.amdhsa_user_sgpr_queue_ptr 0
		.amdhsa_user_sgpr_kernarg_segment_ptr 1
		.amdhsa_user_sgpr_dispatch_id 0
		.amdhsa_user_sgpr_flat_scratch_init 0
		.amdhsa_user_sgpr_kernarg_preload_length 0
		.amdhsa_user_sgpr_kernarg_preload_offset 0
		.amdhsa_user_sgpr_private_segment_size 0
		.amdhsa_uses_dynamic_stack 0
		.amdhsa_system_sgpr_private_segment_wavefront_offset 0
		.amdhsa_system_sgpr_workgroup_id_x 1
		.amdhsa_system_sgpr_workgroup_id_y 1
		.amdhsa_system_sgpr_workgroup_id_z 1
		.amdhsa_system_sgpr_workgroup_info 0
		.amdhsa_system_vgpr_workitem_id 1
		.amdhsa_next_free_vgpr 18
		.amdhsa_next_free_sgpr 20
		.amdhsa_accum_offset 20
		.amdhsa_reserve_vcc 1
		.amdhsa_reserve_flat_scratch 0
		.amdhsa_float_round_mode_32 0
		.amdhsa_float_round_mode_16_64 0
		.amdhsa_float_denorm_mode_32 3
		.amdhsa_float_denorm_mode_16_64 3
		.amdhsa_dx10_clamp 1
		.amdhsa_ieee_mode 1
		.amdhsa_fp16_overflow 0
		.amdhsa_tg_split 0
		.amdhsa_exception_fp_ieee_invalid_op 0
		.amdhsa_exception_fp_denorm_src 0
		.amdhsa_exception_fp_ieee_div_zero 0
		.amdhsa_exception_fp_ieee_overflow 0
		.amdhsa_exception_fp_ieee_underflow 0
		.amdhsa_exception_fp_ieee_inexact 0
		.amdhsa_exception_int_div_zero 0
	.end_amdhsa_kernel
	.section	.text._ZN9rocsolver6v33100L21syevj_diag_rotate_orgILb1E19rocblas_complex_numIfEfPS3_EEvbiT2_iilPT0_Pi,"axG",@progbits,_ZN9rocsolver6v33100L21syevj_diag_rotate_orgILb1E19rocblas_complex_numIfEfPS3_EEvbiT2_iilPT0_Pi,comdat
.Lfunc_end85:
	.size	_ZN9rocsolver6v33100L21syevj_diag_rotate_orgILb1E19rocblas_complex_numIfEfPS3_EEvbiT2_iilPT0_Pi, .Lfunc_end85-_ZN9rocsolver6v33100L21syevj_diag_rotate_orgILb1E19rocblas_complex_numIfEfPS3_EEvbiT2_iilPT0_Pi
                                        ; -- End function
	.section	.AMDGPU.csdata,"",@progbits
; Kernel info:
; codeLenInByte = 504
; NumSgprs: 24
; NumVgprs: 18
; NumAgprs: 0
; TotalNumVgprs: 18
; ScratchSize: 0
; MemoryBound: 0
; FloatMode: 240
; IeeeMode: 1
; LDSByteSize: 0 bytes/workgroup (compile time only)
; SGPRBlocks: 2
; VGPRBlocks: 2
; NumSGPRsForWavesPerEU: 24
; NumVGPRsForWavesPerEU: 18
; AccumOffset: 20
; Occupancy: 8
; WaveLimiterHint : 0
; COMPUTE_PGM_RSRC2:SCRATCH_EN: 0
; COMPUTE_PGM_RSRC2:USER_SGPR: 6
; COMPUTE_PGM_RSRC2:TRAP_HANDLER: 0
; COMPUTE_PGM_RSRC2:TGID_X_EN: 1
; COMPUTE_PGM_RSRC2:TGID_Y_EN: 1
; COMPUTE_PGM_RSRC2:TGID_Z_EN: 1
; COMPUTE_PGM_RSRC2:TIDIG_COMP_CNT: 1
; COMPUTE_PGM_RSRC3_GFX90A:ACCUM_OFFSET: 4
; COMPUTE_PGM_RSRC3_GFX90A:TG_SPLIT: 0
	.section	.text._ZN9rocsolver6v33100L17syevj_diag_rotateILb0E19rocblas_complex_numIfEfPS3_EEvbiiT2_iilPT0_Pii,"axG",@progbits,_ZN9rocsolver6v33100L17syevj_diag_rotateILb0E19rocblas_complex_numIfEfPS3_EEvbiiT2_iilPT0_Pii,comdat
	.globl	_ZN9rocsolver6v33100L17syevj_diag_rotateILb0E19rocblas_complex_numIfEfPS3_EEvbiiT2_iilPT0_Pii ; -- Begin function _ZN9rocsolver6v33100L17syevj_diag_rotateILb0E19rocblas_complex_numIfEfPS3_EEvbiiT2_iilPT0_Pii
	.p2align	8
	.type	_ZN9rocsolver6v33100L17syevj_diag_rotateILb0E19rocblas_complex_numIfEfPS3_EEvbiiT2_iilPT0_Pii,@function
_ZN9rocsolver6v33100L17syevj_diag_rotateILb0E19rocblas_complex_numIfEfPS3_EEvbiiT2_iilPT0_Pii: ; @_ZN9rocsolver6v33100L17syevj_diag_rotateILb0E19rocblas_complex_numIfEfPS3_EEvbiiT2_iilPT0_Pii
; %bb.0:
	s_load_dwordx4 s[36:39], s[4:5], 0x0
	s_add_u32 flat_scratch_lo, s6, s11
	s_addc_u32 flat_scratch_hi, s7, 0
	s_add_u32 s0, s0, s11
	s_addc_u32 s1, s1, 0
	s_waitcnt lgkmcnt(0)
	s_abs_i32 s27, s37
	v_mov_b32_e32 v41, v0
	v_cvt_f32_u32_e32 v0, s27
	s_mul_i32 s46, s37, s37
	s_mov_b32 s26, s10
	s_mov_b64 s[28:29], s[4:5]
	v_rcp_iflag_f32_e32 v0, v0
	s_mov_b32 s34, s9
	s_mov_b32 s35, s8
	s_cmpk_lt_u32 s46, 0x2001
	v_mul_f32_e32 v0, 0x4f7ffffe, v0
	v_cvt_u32_f32_e32 v0, v0
	s_mov_b64 s[4:5], -1
	s_mov_b32 s32, 0
	v_readfirstlane_b32 s39, v0
	s_cbranch_scc1 .LBB86_2
; %bb.1:
	s_add_u32 s8, s28, 64
	s_addc_u32 s9, s29, 0
	s_getpc_b64 s[4:5]
	s_add_u32 s4, s4, __PRETTY_FUNCTION__._ZN9rocsolver6v33100L17syevj_diag_rotateILb0E19rocblas_complex_numIfEfPS3_EEvbiiT2_iilPT0_Pii@rel32@lo+4
	s_addc_u32 s5, s5, __PRETTY_FUNCTION__._ZN9rocsolver6v33100L17syevj_diag_rotateILb0E19rocblas_complex_numIfEfPS3_EEvbiiT2_iilPT0_Pii@rel32@hi+12
	v_mov_b32_e32 v0, s4
	v_mov_b32_e32 v1, s5
	s_getpc_b64 s[6:7]
	s_add_u32 s6, s6, __assert_fail@rel32@lo+4
	s_addc_u32 s7, s7, __assert_fail@rel32@hi+12
	s_swappc_b64 s[30:31], s[6:7]
	s_mov_b64 s[4:5], 0
	; divergent unreachable
.LBB86_2:
	s_andn2_b64 vcc, exec, s[4:5]
	s_cbranch_vccnz .LBB86_35
; %bb.3:
	s_load_dword s33, s[28:29], 0x38
	s_waitcnt lgkmcnt(0)
	s_cmp_ge_u32 s26, s33
	s_cbranch_scc1 .LBB86_35
; %bb.4:
	s_sub_i32 s4, 0, s27
	s_mul_i32 s4, s4, s39
	s_add_i32 s5, s38, -1
	s_mul_hi_u32 s4, s39, s4
	s_abs_i32 s24, s5
	s_add_i32 s39, s39, s4
	s_ashr_i32 s5, s5, 31
	s_ashr_i32 s25, s37, 31
	s_load_dwordx4 s[16:19], s[28:29], 0x40
	s_cmpk_lt_u32 s46, 0x1001
	s_mul_hi_u32 s4, s24, s39
	s_cselect_b64 s[20:21], -1, 0
	s_bitcmp1_b32 s36, 0
	s_cselect_b64 s[22:23], -1, 0
	s_xor_b32 s5, s5, s25
	s_mul_i32 s25, s4, s27
	s_sub_i32 s24, s24, s25
	s_load_dwordx8 s[8:15], s[28:29], 0x10
	s_load_dwordx2 s[6:7], s[28:29], 0x30
	s_waitcnt lgkmcnt(0)
	s_lshr_b32 s36, s19, 16
	s_and_b32 s19, s19, 0xffff
	s_add_i32 s25, s4, 1
	s_sub_i32 s28, s24, s27
	s_cmp_ge_u32 s24, s27
	s_cselect_b32 s4, s25, s4
	s_cselect_b32 s24, s28, s24
	s_add_i32 s25, s4, 1
	s_cmp_ge_u32 s24, s27
	s_cselect_b32 s4, s25, s4
	s_xor_b32 s4, s4, s5
	s_sub_i32 s47, s4, s5
	s_lshl_b32 s4, s46, 3
	s_add_i32 s48, s47, 1
	s_add_i32 s49, s4, 0
	s_mov_b64 s[4:5], src_shared_base
	s_ashr_i32 s41, s10, 31
	s_cmp_lt_u32 s35, s48
	s_mul_i32 s4, s47, s37
	s_cselect_b64 s[28:29], -1, 0
	s_sub_i32 s51, s38, s4
	s_cmp_lt_u32 s34, s48
	s_cselect_b64 s[30:31], -1, 0
	s_ashr_i32 s53, s11, 31
	s_mov_b32 s40, s10
	s_add_u32 s55, s6, 4
	s_addc_u32 s56, s7, 0
	s_lshl_b64 s[6:7], s[40:41], 3
	v_and_b32_e32 v0, 0x3ff, v41
	v_bfe_u32 v1, v41, 10, 10
	s_add_u32 s57, s8, s6
	s_addc_u32 s58, s9, s7
	v_mad_u64_u32 v[2:3], s[6:7], v1, s37, v[0:1]
	v_mad_u32_u24 v6, v1, s19, v0
	s_mul_i32 s52, s36, s19
	s_mul_i32 s6, s37, s36
	s_mov_b32 s25, 0
	s_mov_b32 s50, s5
	v_cmp_gt_u32_e64 s[4:5], s46, v6
	s_mov_b32 s54, s11
	v_lshl_add_u32 v7, v6, 3, s49
	s_lshl_b32 s59, s52, 3
	s_mul_i32 s60, s34, s37
	s_mul_i32 s61, s17, s37
	v_lshl_add_u32 v8, v2, 3, 0
	s_lshl_b32 s62, s6, 3
	s_lshl_b32 s63, s19, 3
	v_lshl_add_u32 v9, v0, 3, 0
	s_lshl_b32 s64, s37, 3
	v_mov_b32_e32 v3, 0
	s_branch .LBB86_6
.LBB86_5:                               ;   in Loop: Header=BB86_6 Depth=1
	s_add_i32 s26, s26, s18
	s_cmp_lt_u32 s26, s33
	s_cbranch_scc0 .LBB86_35
.LBB86_6:                               ; =>This Loop Header: Depth=1
                                        ;     Child Loop BB86_10 Depth 2
                                        ;       Child Loop BB86_13 Depth 3
                                        ;       Child Loop BB86_19 Depth 3
                                        ;         Child Loop BB86_23 Depth 4
                                        ;           Child Loop BB86_25 Depth 5
                                        ;         Child Loop BB86_29 Depth 4
                                        ;           Child Loop BB86_32 Depth 5
                                        ;             Child Loop BB86_34 Depth 6
	s_mov_b32 s27, s25
	s_lshl_b64 s[6:7], s[26:27], 2
	s_add_u32 s6, s55, s6
	s_addc_u32 s7, s56, s7
	global_load_dword v2, v3, s[6:7]
	s_waitcnt vmcnt(0)
	v_cmp_ne_u32_e32 vcc, 0, v2
	s_cbranch_vccnz .LBB86_5
; %bb.7:                                ;   in Loop: Header=BB86_6 Depth=1
	s_andn2_b64 vcc, exec, s[28:29]
	s_cbranch_vccnz .LBB86_5
; %bb.8:                                ;   in Loop: Header=BB86_6 Depth=1
	s_mul_i32 s6, s26, s13
	s_mul_hi_u32 s7, s26, s12
	s_add_i32 s7, s7, s6
	s_mul_i32 s6, s26, s12
	s_lshl_b64 s[6:7], s[6:7], 3
	s_add_u32 s27, s57, s6
	s_addc_u32 s65, s58, s7
	s_mul_i32 s66, s26, s48
	s_mov_b32 s67, s35
	s_branch .LBB86_10
.LBB86_9:                               ;   in Loop: Header=BB86_10 Depth=2
	s_add_i32 s67, s67, s16
	s_cmp_ge_u32 s67, s48
	s_cbranch_scc1 .LBB86_5
.LBB86_10:                              ;   Parent Loop BB86_6 Depth=1
                                        ; =>  This Loop Header: Depth=2
                                        ;       Child Loop BB86_13 Depth 3
                                        ;       Child Loop BB86_19 Depth 3
                                        ;         Child Loop BB86_23 Depth 4
                                        ;           Child Loop BB86_25 Depth 5
                                        ;         Child Loop BB86_29 Depth 4
                                        ;           Child Loop BB86_32 Depth 5
                                        ;             Child Loop BB86_34 Depth 6
	s_add_i32 s6, s67, s66
	s_mul_i32 s24, s6, s46
	s_lshl_b64 s[6:7], s[24:25], 3
	s_add_u32 s10, s14, s6
	s_addc_u32 s11, s15, s7
	s_andn2_b64 vcc, exec, s[20:21]
	s_cbranch_vccnz .LBB86_15
; %bb.11:                               ;   in Loop: Header=BB86_10 Depth=2
	s_barrier
	s_and_saveexec_b64 s[6:7], s[4:5]
	s_cbranch_execz .LBB86_14
; %bb.12:                               ;   in Loop: Header=BB86_10 Depth=2
	s_mov_b64 s[8:9], 0
	v_mov_b32_e32 v4, s11
	v_mov_b32_e32 v5, v7
	;; [unrolled: 1-line block ×3, first 2 shown]
.LBB86_13:                              ;   Parent Loop BB86_6 Depth=1
                                        ;     Parent Loop BB86_10 Depth=2
                                        ; =>    This Inner Loop Header: Depth=3
	v_lshlrev_b64 v[10:11], 3, v[2:3]
	v_add_co_u32_e32 v10, vcc, s10, v10
	v_addc_co_u32_e32 v11, vcc, v4, v11, vcc
	global_load_dwordx2 v[10:11], v[10:11], off
	v_add_u32_e32 v2, s52, v2
	v_cmp_le_u32_e32 vcc, s46, v2
	s_or_b64 s[8:9], vcc, s[8:9]
	s_waitcnt vmcnt(0)
	ds_write_b64 v5, v[10:11]
	v_add_u32_e32 v5, s59, v5
	s_andn2_b64 exec, exec, s[8:9]
	s_cbranch_execnz .LBB86_13
.LBB86_14:                              ;   in Loop: Header=BB86_10 Depth=2
	s_or_b64 exec, exec, s[6:7]
	s_waitcnt lgkmcnt(0)
	s_barrier
.LBB86_15:                              ;   in Loop: Header=BB86_10 Depth=2
	s_andn2_b64 vcc, exec, s[30:31]
	s_cbranch_vccnz .LBB86_9
; %bb.16:                               ;   in Loop: Header=BB86_10 Depth=2
	s_and_b64 s[6:7], s[20:21], exec
	s_cselect_b32 s8, s50, s11
	s_cselect_b32 s24, s49, s10
	s_cmp_eq_u32 s47, s67
	s_cselect_b32 s68, s51, s37
	s_cmp_gt_i32 s68, 0
	s_mul_i32 s69, s67, s37
	v_cmp_gt_u32_e64 s[6:7], s68, v1
	s_cselect_b64 s[10:11], -1, 0
	v_mov_b32_e32 v10, s8
	s_mov_b32 s70, s60
	s_mov_b32 s71, s34
	s_branch .LBB86_19
.LBB86_17:                              ;   in Loop: Header=BB86_19 Depth=3
	s_or_b64 exec, exec, s[38:39]
	s_barrier
.LBB86_18:                              ;   in Loop: Header=BB86_19 Depth=3
	s_add_i32 s71, s71, s17
	s_add_i32 s70, s70, s61
	s_cmp_ge_u32 s71, s48
	s_cbranch_scc1 .LBB86_9
.LBB86_19:                              ;   Parent Loop BB86_6 Depth=1
                                        ;     Parent Loop BB86_10 Depth=2
                                        ; =>    This Loop Header: Depth=3
                                        ;         Child Loop BB86_23 Depth 4
                                        ;           Child Loop BB86_25 Depth 5
                                        ;         Child Loop BB86_29 Depth 4
                                        ;           Child Loop BB86_32 Depth 5
                                        ;             Child Loop BB86_34 Depth 6
	s_cmp_eq_u32 s67, s71
	s_cselect_b64 s[8:9], -1, 0
	s_and_b64 s[8:9], s[8:9], s[22:23]
	s_and_b64 vcc, exec, s[8:9]
	s_cbranch_vccnz .LBB86_18
; %bb.20:                               ;   in Loop: Header=BB86_19 Depth=3
	s_cmp_eq_u32 s47, s71
	s_cselect_b32 s72, s51, s37
	s_barrier
	s_and_saveexec_b64 s[38:39], s[6:7]
	s_cbranch_execz .LBB86_26
; %bb.21:                               ;   in Loop: Header=BB86_19 Depth=3
	v_cmp_gt_u32_e32 vcc, s72, v0
	s_mov_b64 s[40:41], 0
	v_mov_b32_e32 v4, v8
	v_mov_b32_e32 v5, v1
	s_branch .LBB86_23
.LBB86_22:                              ;   in Loop: Header=BB86_23 Depth=4
	s_or_b64 exec, exec, s[42:43]
	v_add_u32_e32 v5, s36, v5
	v_cmp_le_u32_e64 s[8:9], s68, v5
	s_or_b64 s[40:41], s[8:9], s[40:41]
	v_add_u32_e32 v4, s62, v4
	s_andn2_b64 exec, exec, s[40:41]
	s_cbranch_execz .LBB86_26
.LBB86_23:                              ;   Parent Loop BB86_6 Depth=1
                                        ;     Parent Loop BB86_10 Depth=2
                                        ;       Parent Loop BB86_19 Depth=3
                                        ; =>      This Loop Header: Depth=4
                                        ;           Child Loop BB86_25 Depth 5
	s_and_saveexec_b64 s[42:43], vcc
	s_cbranch_execz .LBB86_22
; %bb.24:                               ;   in Loop: Header=BB86_23 Depth=4
	v_add_u32_e32 v11, s69, v5
	v_mad_u64_u32 v[12:13], s[8:9], v11, s54, 0
	v_mov_b32_e32 v2, v13
	v_mad_u64_u32 v[14:15], s[8:9], v11, s53, v[2:3]
	v_mov_b32_e32 v13, v14
	v_lshlrev_b64 v[12:13], 3, v[12:13]
	v_mov_b32_e32 v2, s65
	v_add_co_u32_e64 v11, s[8:9], s27, v12
	v_addc_co_u32_e64 v12, s[8:9], v2, v13, s[8:9]
	s_mov_b64 s[44:45], 0
	v_mov_b32_e32 v13, v4
	v_mov_b32_e32 v14, v0
.LBB86_25:                              ;   Parent Loop BB86_6 Depth=1
                                        ;     Parent Loop BB86_10 Depth=2
                                        ;       Parent Loop BB86_19 Depth=3
                                        ;         Parent Loop BB86_23 Depth=4
                                        ; =>        This Inner Loop Header: Depth=5
	v_add_u32_e32 v2, s70, v14
	v_lshlrev_b64 v[16:17], 3, v[2:3]
	v_add_co_u32_e64 v16, s[8:9], v11, v16
	v_addc_co_u32_e64 v17, s[8:9], v12, v17, s[8:9]
	global_load_dwordx2 v[16:17], v[16:17], off
	v_add_u32_e32 v14, s19, v14
	v_cmp_le_u32_e64 s[8:9], s72, v14
	s_or_b64 s[44:45], s[8:9], s[44:45]
	s_waitcnt vmcnt(0)
	ds_write2_b32 v13, v16, v17 offset1:1
	v_add_u32_e32 v13, s63, v13
	s_andn2_b64 exec, exec, s[44:45]
	s_cbranch_execnz .LBB86_25
	s_branch .LBB86_22
.LBB86_26:                              ;   in Loop: Header=BB86_19 Depth=3
	s_or_b64 exec, exec, s[38:39]
	s_waitcnt lgkmcnt(0)
	s_barrier
	s_and_saveexec_b64 s[38:39], s[6:7]
	s_cbranch_execz .LBB86_17
; %bb.27:                               ;   in Loop: Header=BB86_19 Depth=3
	s_mul_i32 s73, s71, s37
	v_cmp_gt_u32_e64 s[8:9], s72, v0
	s_mov_b64 s[40:41], 0
	v_mov_b32_e32 v11, v1
	s_branch .LBB86_29
.LBB86_28:                              ;   in Loop: Header=BB86_29 Depth=4
	s_or_b64 exec, exec, s[42:43]
	v_add_u32_e32 v11, s36, v11
	v_cmp_le_u32_e32 vcc, s68, v11
	s_or_b64 s[40:41], vcc, s[40:41]
	s_andn2_b64 exec, exec, s[40:41]
	s_cbranch_execz .LBB86_17
.LBB86_29:                              ;   Parent Loop BB86_6 Depth=1
                                        ;     Parent Loop BB86_10 Depth=2
                                        ;       Parent Loop BB86_19 Depth=3
                                        ; =>      This Loop Header: Depth=4
                                        ;           Child Loop BB86_32 Depth 5
                                        ;             Child Loop BB86_34 Depth 6
	s_and_saveexec_b64 s[42:43], s[8:9]
	s_cbranch_execz .LBB86_28
; %bb.30:                               ;   in Loop: Header=BB86_29 Depth=4
	v_add_u32_e32 v12, s69, v11
	v_mad_u64_u32 v[4:5], s[44:45], v12, s54, 0
	v_mov_b32_e32 v2, v5
	v_mad_u64_u32 v[12:13], s[44:45], v12, s53, v[2:3]
	v_mov_b32_e32 v5, v12
	v_lshlrev_b64 v[4:5], 3, v[4:5]
	v_mov_b32_e32 v2, s65
	v_add_co_u32_e32 v12, vcc, s27, v4
	v_addc_co_u32_e32 v13, vcc, v2, v5, vcc
	s_mov_b64 s[44:45], 0
	v_mov_b32_e32 v14, v9
	v_mov_b32_e32 v15, v0
	s_branch .LBB86_32
.LBB86_31:                              ;   in Loop: Header=BB86_32 Depth=5
	v_add_u32_e32 v2, s73, v15
	v_lshlrev_b64 v[16:17], 3, v[2:3]
	v_add_co_u32_e32 v16, vcc, v12, v16
	v_addc_co_u32_e32 v17, vcc, v13, v17, vcc
	v_add_u32_e32 v15, s19, v15
	v_cmp_le_u32_e32 vcc, s72, v15
	s_or_b64 s[44:45], vcc, s[44:45]
	v_add_u32_e32 v14, s63, v14
	global_store_dwordx2 v[16:17], v[4:5], off
	s_andn2_b64 exec, exec, s[44:45]
	s_cbranch_execz .LBB86_28
.LBB86_32:                              ;   Parent Loop BB86_6 Depth=1
                                        ;     Parent Loop BB86_10 Depth=2
                                        ;       Parent Loop BB86_19 Depth=3
                                        ;         Parent Loop BB86_29 Depth=4
                                        ; =>        This Loop Header: Depth=5
                                        ;             Child Loop BB86_34 Depth 6
	v_mov_b32_e32 v5, 0
	s_andn2_b64 vcc, exec, s[10:11]
	v_mov_b32_e32 v4, v5
	s_cbranch_vccnz .LBB86_31
; %bb.33:                               ;   in Loop: Header=BB86_32 Depth=5
	v_mov_b32_e32 v4, 0
	v_mov_b32_e32 v16, v14
	;; [unrolled: 1-line block ×3, first 2 shown]
	s_mov_b32 s74, s68
	v_mov_b32_e32 v5, v4
.LBB86_34:                              ;   Parent Loop BB86_6 Depth=1
                                        ;     Parent Loop BB86_10 Depth=2
                                        ;       Parent Loop BB86_19 Depth=3
                                        ;         Parent Loop BB86_29 Depth=4
                                        ;           Parent Loop BB86_32 Depth=5
                                        ; =>          This Inner Loop Header: Depth=6
	v_lshlrev_b64 v[18:19], 3, v[2:3]
	v_add_co_u32_e32 v18, vcc, s24, v18
	v_addc_co_u32_e32 v19, vcc, v10, v19, vcc
	flat_load_dwordx2 v[18:19], v[18:19]
	ds_read2_b32 v[20:21], v16 offset1:1
	s_add_i32 s74, s74, -1
	v_add_u32_e32 v2, s37, v2
	v_add_u32_e32 v16, s64, v16
	s_cmp_eq_u32 s74, 0
	s_waitcnt vmcnt(0) lgkmcnt(0)
	v_pk_mul_f32 v[22:23], v[18:19], v[20:21] op_sel:[0,1]
	v_pk_fma_f32 v[24:25], v[18:19], v[20:21], v[22:23] op_sel:[0,0,1] op_sel_hi:[1,1,0] neg_lo:[0,0,1] neg_hi:[0,0,1]
	v_pk_fma_f32 v[18:19], v[18:19], v[20:21], v[22:23] op_sel:[0,0,1] op_sel_hi:[1,0,0]
	v_mov_b32_e32 v25, v19
	v_pk_add_f32 v[4:5], v[4:5], v[24:25]
	s_cbranch_scc0 .LBB86_34
	s_branch .LBB86_31
.LBB86_35:
	s_endpgm
	.section	.rodata,"a",@progbits
	.p2align	6, 0x0
	.amdhsa_kernel _ZN9rocsolver6v33100L17syevj_diag_rotateILb0E19rocblas_complex_numIfEfPS3_EEvbiiT2_iilPT0_Pii
		.amdhsa_group_segment_fixed_size 0
		.amdhsa_private_segment_fixed_size 64
		.amdhsa_kernarg_size 320
		.amdhsa_user_sgpr_count 8
		.amdhsa_user_sgpr_private_segment_buffer 1
		.amdhsa_user_sgpr_dispatch_ptr 0
		.amdhsa_user_sgpr_queue_ptr 0
		.amdhsa_user_sgpr_kernarg_segment_ptr 1
		.amdhsa_user_sgpr_dispatch_id 0
		.amdhsa_user_sgpr_flat_scratch_init 1
		.amdhsa_user_sgpr_kernarg_preload_length 0
		.amdhsa_user_sgpr_kernarg_preload_offset 0
		.amdhsa_user_sgpr_private_segment_size 0
		.amdhsa_uses_dynamic_stack 0
		.amdhsa_system_sgpr_private_segment_wavefront_offset 1
		.amdhsa_system_sgpr_workgroup_id_x 1
		.amdhsa_system_sgpr_workgroup_id_y 1
		.amdhsa_system_sgpr_workgroup_id_z 1
		.amdhsa_system_sgpr_workgroup_info 0
		.amdhsa_system_vgpr_workitem_id 1
		.amdhsa_next_free_vgpr 42
		.amdhsa_next_free_sgpr 75
		.amdhsa_accum_offset 44
		.amdhsa_reserve_vcc 1
		.amdhsa_reserve_flat_scratch 1
		.amdhsa_float_round_mode_32 0
		.amdhsa_float_round_mode_16_64 0
		.amdhsa_float_denorm_mode_32 3
		.amdhsa_float_denorm_mode_16_64 3
		.amdhsa_dx10_clamp 1
		.amdhsa_ieee_mode 1
		.amdhsa_fp16_overflow 0
		.amdhsa_tg_split 0
		.amdhsa_exception_fp_ieee_invalid_op 0
		.amdhsa_exception_fp_denorm_src 0
		.amdhsa_exception_fp_ieee_div_zero 0
		.amdhsa_exception_fp_ieee_overflow 0
		.amdhsa_exception_fp_ieee_underflow 0
		.amdhsa_exception_fp_ieee_inexact 0
		.amdhsa_exception_int_div_zero 0
	.end_amdhsa_kernel
	.section	.text._ZN9rocsolver6v33100L17syevj_diag_rotateILb0E19rocblas_complex_numIfEfPS3_EEvbiiT2_iilPT0_Pii,"axG",@progbits,_ZN9rocsolver6v33100L17syevj_diag_rotateILb0E19rocblas_complex_numIfEfPS3_EEvbiiT2_iilPT0_Pii,comdat
.Lfunc_end86:
	.size	_ZN9rocsolver6v33100L17syevj_diag_rotateILb0E19rocblas_complex_numIfEfPS3_EEvbiiT2_iilPT0_Pii, .Lfunc_end86-_ZN9rocsolver6v33100L17syevj_diag_rotateILb0E19rocblas_complex_numIfEfPS3_EEvbiiT2_iilPT0_Pii
                                        ; -- End function
	.section	.AMDGPU.csdata,"",@progbits
; Kernel info:
; codeLenInByte = 1420
; NumSgprs: 81
; NumVgprs: 42
; NumAgprs: 0
; TotalNumVgprs: 42
; ScratchSize: 64
; MemoryBound: 0
; FloatMode: 240
; IeeeMode: 1
; LDSByteSize: 0 bytes/workgroup (compile time only)
; SGPRBlocks: 10
; VGPRBlocks: 5
; NumSGPRsForWavesPerEU: 81
; NumVGPRsForWavesPerEU: 42
; AccumOffset: 44
; Occupancy: 8
; WaveLimiterHint : 1
; COMPUTE_PGM_RSRC2:SCRATCH_EN: 1
; COMPUTE_PGM_RSRC2:USER_SGPR: 8
; COMPUTE_PGM_RSRC2:TRAP_HANDLER: 0
; COMPUTE_PGM_RSRC2:TGID_X_EN: 1
; COMPUTE_PGM_RSRC2:TGID_Y_EN: 1
; COMPUTE_PGM_RSRC2:TGID_Z_EN: 1
; COMPUTE_PGM_RSRC2:TIDIG_COMP_CNT: 1
; COMPUTE_PGM_RSRC3_GFX90A:ACCUM_OFFSET: 10
; COMPUTE_PGM_RSRC3_GFX90A:TG_SPLIT: 0
	.section	.text._ZN9rocsolver6v33100L17syevj_diag_rotateILb1E19rocblas_complex_numIfEfPS3_EEvbiiT2_iilPT0_Pii,"axG",@progbits,_ZN9rocsolver6v33100L17syevj_diag_rotateILb1E19rocblas_complex_numIfEfPS3_EEvbiiT2_iilPT0_Pii,comdat
	.globl	_ZN9rocsolver6v33100L17syevj_diag_rotateILb1E19rocblas_complex_numIfEfPS3_EEvbiiT2_iilPT0_Pii ; -- Begin function _ZN9rocsolver6v33100L17syevj_diag_rotateILb1E19rocblas_complex_numIfEfPS3_EEvbiiT2_iilPT0_Pii
	.p2align	8
	.type	_ZN9rocsolver6v33100L17syevj_diag_rotateILb1E19rocblas_complex_numIfEfPS3_EEvbiiT2_iilPT0_Pii,@function
_ZN9rocsolver6v33100L17syevj_diag_rotateILb1E19rocblas_complex_numIfEfPS3_EEvbiiT2_iilPT0_Pii: ; @_ZN9rocsolver6v33100L17syevj_diag_rotateILb1E19rocblas_complex_numIfEfPS3_EEvbiiT2_iilPT0_Pii
; %bb.0:
	s_load_dwordx4 s[36:39], s[4:5], 0x0
	s_add_u32 flat_scratch_lo, s6, s11
	s_addc_u32 flat_scratch_hi, s7, 0
	s_add_u32 s0, s0, s11
	s_addc_u32 s1, s1, 0
	s_waitcnt lgkmcnt(0)
	s_abs_i32 s27, s37
	v_mov_b32_e32 v41, v0
	v_cvt_f32_u32_e32 v0, s27
	s_mul_i32 s46, s37, s37
	s_mov_b32 s26, s10
	s_mov_b64 s[28:29], s[4:5]
	v_rcp_iflag_f32_e32 v0, v0
	s_mov_b32 s34, s9
	s_mov_b32 s35, s8
	s_cmpk_lt_u32 s46, 0x2001
	v_mul_f32_e32 v0, 0x4f7ffffe, v0
	v_cvt_u32_f32_e32 v0, v0
	s_mov_b64 s[4:5], -1
	s_mov_b32 s32, 0
	v_readfirstlane_b32 s39, v0
	s_cbranch_scc1 .LBB87_2
; %bb.1:
	s_add_u32 s8, s28, 64
	s_addc_u32 s9, s29, 0
	s_getpc_b64 s[4:5]
	s_add_u32 s4, s4, __PRETTY_FUNCTION__._ZN9rocsolver6v33100L17syevj_diag_rotateILb1E19rocblas_complex_numIfEfPS3_EEvbiiT2_iilPT0_Pii@rel32@lo+4
	s_addc_u32 s5, s5, __PRETTY_FUNCTION__._ZN9rocsolver6v33100L17syevj_diag_rotateILb1E19rocblas_complex_numIfEfPS3_EEvbiiT2_iilPT0_Pii@rel32@hi+12
	v_mov_b32_e32 v0, s4
	v_mov_b32_e32 v1, s5
	s_getpc_b64 s[6:7]
	s_add_u32 s6, s6, __assert_fail@rel32@lo+4
	s_addc_u32 s7, s7, __assert_fail@rel32@hi+12
	s_swappc_b64 s[30:31], s[6:7]
	s_mov_b64 s[4:5], 0
	; divergent unreachable
.LBB87_2:
	s_andn2_b64 vcc, exec, s[4:5]
	s_cbranch_vccnz .LBB87_35
; %bb.3:
	s_load_dword s33, s[28:29], 0x38
	s_waitcnt lgkmcnt(0)
	s_cmp_ge_u32 s26, s33
	s_cbranch_scc1 .LBB87_35
; %bb.4:
	s_sub_i32 s4, 0, s27
	s_mul_i32 s4, s4, s39
	s_add_i32 s5, s38, -1
	s_mul_hi_u32 s4, s39, s4
	s_abs_i32 s24, s5
	s_add_i32 s39, s39, s4
	s_ashr_i32 s5, s5, 31
	s_ashr_i32 s25, s37, 31
	s_load_dwordx4 s[16:19], s[28:29], 0x40
	s_cmpk_lt_u32 s46, 0x1001
	s_mul_hi_u32 s4, s24, s39
	s_cselect_b64 s[20:21], -1, 0
	s_bitcmp1_b32 s36, 0
	s_cselect_b64 s[22:23], -1, 0
	s_xor_b32 s5, s5, s25
	s_mul_i32 s25, s4, s27
	s_sub_i32 s24, s24, s25
	s_load_dwordx8 s[8:15], s[28:29], 0x10
	s_load_dwordx2 s[6:7], s[28:29], 0x30
	s_waitcnt lgkmcnt(0)
	s_lshr_b32 s36, s19, 16
	s_and_b32 s19, s19, 0xffff
	s_add_i32 s25, s4, 1
	s_sub_i32 s28, s24, s27
	s_cmp_ge_u32 s24, s27
	s_cselect_b32 s4, s25, s4
	s_cselect_b32 s24, s28, s24
	s_add_i32 s25, s4, 1
	s_cmp_ge_u32 s24, s27
	s_cselect_b32 s4, s25, s4
	s_xor_b32 s4, s4, s5
	s_sub_i32 s47, s4, s5
	s_lshl_b32 s4, s46, 3
	s_add_i32 s48, s47, 1
	s_add_i32 s49, s4, 0
	s_mov_b64 s[4:5], src_shared_base
	s_ashr_i32 s41, s10, 31
	s_cmp_lt_u32 s35, s48
	s_mul_i32 s4, s47, s37
	s_cselect_b64 s[28:29], -1, 0
	s_sub_i32 s51, s38, s4
	s_cmp_lt_u32 s34, s48
	s_cselect_b64 s[30:31], -1, 0
	s_ashr_i32 s53, s11, 31
	v_bfe_u32 v5, v41, 10, 10
	s_mov_b32 s40, s10
	s_add_u32 s55, s6, 4
	v_and_b32_e32 v4, 0x3ff, v41
	s_addc_u32 s56, s7, 0
	s_lshl_b64 s[6:7], s[40:41], 3
	v_mul_lo_u32 v0, v5, s37
	v_mad_u32_u24 v6, v5, s19, v4
	s_mul_i32 s52, s36, s19
	s_add_u32 s57, s8, s6
	v_add_u32_e32 v1, v4, v0
	s_mul_i32 s6, s37, s36
	s_mov_b32 s25, 0
	s_mov_b32 s50, s5
	v_cmp_gt_u32_e64 s[4:5], s46, v6
	s_mov_b32 s54, s11
	s_addc_u32 s58, s9, s7
	v_lshl_add_u32 v7, v6, 3, s49
	s_lshl_b32 s59, s52, 3
	s_mul_i32 s60, s35, s37
	s_mul_i32 s61, s16, s37
	v_lshl_add_u32 v8, v1, 3, 0
	s_lshl_b32 s62, s6, 3
	s_lshl_b32 s63, s19, 3
	v_lshl_add_u32 v9, v0, 3, 0
	v_mov_b32_e32 v1, 0
	s_branch .LBB87_6
.LBB87_5:                               ;   in Loop: Header=BB87_6 Depth=1
	s_add_i32 s26, s26, s18
	s_cmp_lt_u32 s26, s33
	s_cbranch_scc0 .LBB87_35
.LBB87_6:                               ; =>This Loop Header: Depth=1
                                        ;     Child Loop BB87_10 Depth 2
                                        ;       Child Loop BB87_13 Depth 3
                                        ;       Child Loop BB87_19 Depth 3
                                        ;         Child Loop BB87_23 Depth 4
                                        ;           Child Loop BB87_25 Depth 5
                                        ;         Child Loop BB87_29 Depth 4
                                        ;           Child Loop BB87_32 Depth 5
                                        ;             Child Loop BB87_34 Depth 6
	s_mov_b32 s27, s25
	s_lshl_b64 s[6:7], s[26:27], 2
	s_add_u32 s6, s55, s6
	s_addc_u32 s7, s56, s7
	global_load_dword v0, v1, s[6:7]
	s_waitcnt vmcnt(0)
	v_cmp_ne_u32_e32 vcc, 0, v0
	s_cbranch_vccnz .LBB87_5
; %bb.7:                                ;   in Loop: Header=BB87_6 Depth=1
	s_andn2_b64 vcc, exec, s[28:29]
	s_cbranch_vccnz .LBB87_5
; %bb.8:                                ;   in Loop: Header=BB87_6 Depth=1
	s_mul_i32 s6, s26, s13
	s_mul_hi_u32 s7, s26, s12
	s_add_i32 s7, s7, s6
	s_mul_i32 s6, s26, s12
	s_lshl_b64 s[6:7], s[6:7], 3
	s_add_u32 s27, s57, s6
	s_addc_u32 s64, s58, s7
	s_mul_i32 s65, s26, s48
	s_mov_b32 s66, s60
	s_mov_b32 s67, s35
	s_branch .LBB87_10
.LBB87_9:                               ;   in Loop: Header=BB87_10 Depth=2
	s_add_i32 s67, s67, s16
	s_add_i32 s66, s66, s61
	s_cmp_ge_u32 s67, s48
	s_cbranch_scc1 .LBB87_5
.LBB87_10:                              ;   Parent Loop BB87_6 Depth=1
                                        ; =>  This Loop Header: Depth=2
                                        ;       Child Loop BB87_13 Depth 3
                                        ;       Child Loop BB87_19 Depth 3
                                        ;         Child Loop BB87_23 Depth 4
                                        ;           Child Loop BB87_25 Depth 5
                                        ;         Child Loop BB87_29 Depth 4
                                        ;           Child Loop BB87_32 Depth 5
                                        ;             Child Loop BB87_34 Depth 6
	s_add_i32 s6, s67, s65
	s_mul_i32 s24, s6, s46
	s_lshl_b64 s[6:7], s[24:25], 3
	s_add_u32 s10, s14, s6
	s_addc_u32 s11, s15, s7
	s_andn2_b64 vcc, exec, s[20:21]
	s_cbranch_vccnz .LBB87_15
; %bb.11:                               ;   in Loop: Header=BB87_10 Depth=2
	s_barrier
	s_and_saveexec_b64 s[6:7], s[4:5]
	s_cbranch_execz .LBB87_14
; %bb.12:                               ;   in Loop: Header=BB87_10 Depth=2
	s_mov_b64 s[8:9], 0
	v_mov_b32_e32 v2, s11
	v_mov_b32_e32 v3, v7
	;; [unrolled: 1-line block ×3, first 2 shown]
.LBB87_13:                              ;   Parent Loop BB87_6 Depth=1
                                        ;     Parent Loop BB87_10 Depth=2
                                        ; =>    This Inner Loop Header: Depth=3
	v_lshlrev_b64 v[10:11], 3, v[0:1]
	v_add_co_u32_e32 v10, vcc, s10, v10
	v_addc_co_u32_e32 v11, vcc, v2, v11, vcc
	global_load_dwordx2 v[10:11], v[10:11], off
	v_add_u32_e32 v0, s52, v0
	v_cmp_le_u32_e32 vcc, s46, v0
	s_or_b64 s[8:9], vcc, s[8:9]
	s_waitcnt vmcnt(0)
	ds_write_b64 v3, v[10:11]
	v_add_u32_e32 v3, s59, v3
	s_andn2_b64 exec, exec, s[8:9]
	s_cbranch_execnz .LBB87_13
.LBB87_14:                              ;   in Loop: Header=BB87_10 Depth=2
	s_or_b64 exec, exec, s[6:7]
	s_waitcnt lgkmcnt(0)
	s_barrier
.LBB87_15:                              ;   in Loop: Header=BB87_10 Depth=2
	s_andn2_b64 vcc, exec, s[30:31]
	s_cbranch_vccnz .LBB87_9
; %bb.16:                               ;   in Loop: Header=BB87_10 Depth=2
	s_and_b64 s[6:7], s[20:21], exec
	s_cselect_b32 s24, s50, s11
	s_cselect_b32 s68, s49, s10
	s_cmp_eq_u32 s47, s67
	s_cselect_b32 s69, s51, s37
	s_cmp_gt_i32 s69, 0
	s_mul_i32 s70, s67, s37
	v_cmp_gt_u32_e64 s[6:7], s69, v4
	s_cselect_b64 s[10:11], -1, 0
	s_mov_b32 s71, s34
	s_branch .LBB87_19
.LBB87_17:                              ;   in Loop: Header=BB87_19 Depth=3
	s_or_b64 exec, exec, s[8:9]
	s_barrier
.LBB87_18:                              ;   in Loop: Header=BB87_19 Depth=3
	s_add_i32 s71, s71, s17
	s_cmp_ge_u32 s71, s48
	s_cbranch_scc1 .LBB87_9
.LBB87_19:                              ;   Parent Loop BB87_6 Depth=1
                                        ;     Parent Loop BB87_10 Depth=2
                                        ; =>    This Loop Header: Depth=3
                                        ;         Child Loop BB87_23 Depth 4
                                        ;           Child Loop BB87_25 Depth 5
                                        ;         Child Loop BB87_29 Depth 4
                                        ;           Child Loop BB87_32 Depth 5
                                        ;             Child Loop BB87_34 Depth 6
	s_cmp_eq_u32 s67, s71
	s_cselect_b64 s[8:9], -1, 0
	s_and_b64 s[8:9], s[8:9], s[22:23]
	s_and_b64 vcc, exec, s[8:9]
	s_cbranch_vccnz .LBB87_18
; %bb.20:                               ;   in Loop: Header=BB87_19 Depth=3
	s_cmp_eq_u32 s47, s71
	s_cselect_b32 s73, s51, s37
	s_mul_i32 s72, s71, s37
	v_cmp_gt_u32_e32 vcc, s73, v5
	s_barrier
	s_and_saveexec_b64 s[38:39], vcc
	s_cbranch_execz .LBB87_26
; %bb.21:                               ;   in Loop: Header=BB87_19 Depth=3
	s_mov_b64 s[40:41], 0
	v_mov_b32_e32 v2, v8
	v_mov_b32_e32 v3, v5
	s_branch .LBB87_23
.LBB87_22:                              ;   in Loop: Header=BB87_23 Depth=4
	s_or_b64 exec, exec, s[42:43]
	v_add_u32_e32 v3, s36, v3
	v_cmp_le_u32_e64 s[8:9], s73, v3
	s_or_b64 s[40:41], s[8:9], s[40:41]
	v_add_u32_e32 v2, s62, v2
	s_andn2_b64 exec, exec, s[40:41]
	s_cbranch_execz .LBB87_26
.LBB87_23:                              ;   Parent Loop BB87_6 Depth=1
                                        ;     Parent Loop BB87_10 Depth=2
                                        ;       Parent Loop BB87_19 Depth=3
                                        ; =>      This Loop Header: Depth=4
                                        ;           Child Loop BB87_25 Depth 5
	s_and_saveexec_b64 s[42:43], s[6:7]
	s_cbranch_execz .LBB87_22
; %bb.24:                               ;   in Loop: Header=BB87_23 Depth=4
	v_add_u32_e32 v12, s72, v3
	v_mad_u64_u32 v[10:11], s[8:9], v12, s54, 0
	v_mov_b32_e32 v0, v11
	v_mad_u64_u32 v[12:13], s[8:9], v12, s53, v[0:1]
	v_mov_b32_e32 v11, v12
	v_lshlrev_b64 v[10:11], 3, v[10:11]
	v_mov_b32_e32 v0, s64
	v_add_co_u32_e64 v10, s[8:9], s27, v10
	v_addc_co_u32_e64 v11, s[8:9], v0, v11, s[8:9]
	s_mov_b64 s[44:45], 0
	v_mov_b32_e32 v12, v2
	v_mov_b32_e32 v13, v4
.LBB87_25:                              ;   Parent Loop BB87_6 Depth=1
                                        ;     Parent Loop BB87_10 Depth=2
                                        ;       Parent Loop BB87_19 Depth=3
                                        ;         Parent Loop BB87_23 Depth=4
                                        ; =>        This Inner Loop Header: Depth=5
	v_add_u32_e32 v0, s66, v13
	v_lshlrev_b64 v[14:15], 3, v[0:1]
	v_add_co_u32_e64 v14, s[8:9], v10, v14
	v_addc_co_u32_e64 v15, s[8:9], v11, v15, s[8:9]
	global_load_dwordx2 v[14:15], v[14:15], off
	v_add_u32_e32 v13, s19, v13
	v_cmp_le_u32_e64 s[8:9], s69, v13
	s_or_b64 s[44:45], s[8:9], s[44:45]
	s_waitcnt vmcnt(0)
	ds_write2_b32 v12, v14, v15 offset1:1
	v_add_u32_e32 v12, s63, v12
	s_andn2_b64 exec, exec, s[44:45]
	s_cbranch_execnz .LBB87_25
	s_branch .LBB87_22
.LBB87_26:                              ;   in Loop: Header=BB87_19 Depth=3
	s_or_b64 exec, exec, s[38:39]
	s_waitcnt lgkmcnt(0)
	s_barrier
	s_and_saveexec_b64 s[8:9], vcc
	s_cbranch_execz .LBB87_17
; %bb.27:                               ;   in Loop: Header=BB87_19 Depth=3
	s_mov_b64 s[38:39], 0
	v_mov_b32_e32 v10, v9
	v_mov_b32_e32 v11, v5
	s_branch .LBB87_29
.LBB87_28:                              ;   in Loop: Header=BB87_29 Depth=4
	s_or_b64 exec, exec, s[40:41]
	v_add_u32_e32 v11, s36, v11
	v_cmp_le_u32_e32 vcc, s73, v11
	s_or_b64 s[38:39], vcc, s[38:39]
	v_add_u32_e32 v10, s62, v10
	s_andn2_b64 exec, exec, s[38:39]
	s_cbranch_execz .LBB87_17
.LBB87_29:                              ;   Parent Loop BB87_6 Depth=1
                                        ;     Parent Loop BB87_10 Depth=2
                                        ;       Parent Loop BB87_19 Depth=3
                                        ; =>      This Loop Header: Depth=4
                                        ;           Child Loop BB87_32 Depth 5
                                        ;             Child Loop BB87_34 Depth 6
	s_and_saveexec_b64 s[40:41], s[6:7]
	s_cbranch_execz .LBB87_28
; %bb.30:                               ;   in Loop: Header=BB87_29 Depth=4
	v_add_u32_e32 v12, s72, v11
	v_mad_u64_u32 v[2:3], s[42:43], v12, s54, 0
	v_mov_b32_e32 v0, v3
	v_mad_u64_u32 v[12:13], s[42:43], v12, s53, v[0:1]
	v_mov_b32_e32 v3, v12
	v_lshlrev_b64 v[2:3], 3, v[2:3]
	v_mov_b32_e32 v0, s64
	v_add_co_u32_e32 v12, vcc, s27, v2
	v_addc_co_u32_e32 v13, vcc, v0, v3, vcc
	s_mov_b64 s[42:43], 0
	v_mov_b32_e32 v14, v4
	s_branch .LBB87_32
.LBB87_31:                              ;   in Loop: Header=BB87_32 Depth=5
	v_add_u32_e32 v0, s70, v14
	v_lshlrev_b64 v[16:17], 3, v[0:1]
	v_add_co_u32_e32 v16, vcc, v12, v16
	v_addc_co_u32_e32 v17, vcc, v13, v17, vcc
	v_add_u32_e32 v14, s19, v14
	v_cmp_le_u32_e32 vcc, s69, v14
	s_or_b64 s[42:43], vcc, s[42:43]
	global_store_dwordx2 v[16:17], v[2:3], off
	s_andn2_b64 exec, exec, s[42:43]
	s_cbranch_execz .LBB87_28
.LBB87_32:                              ;   Parent Loop BB87_6 Depth=1
                                        ;     Parent Loop BB87_10 Depth=2
                                        ;       Parent Loop BB87_19 Depth=3
                                        ;         Parent Loop BB87_29 Depth=4
                                        ; =>        This Loop Header: Depth=5
                                        ;             Child Loop BB87_34 Depth 6
	v_mov_b32_e32 v3, 0
	s_andn2_b64 vcc, exec, s[10:11]
	v_mov_b32_e32 v2, v3
	s_cbranch_vccnz .LBB87_31
; %bb.33:                               ;   in Loop: Header=BB87_32 Depth=5
	v_mov_b32_e32 v2, 0
	v_mov_b32_e32 v15, v10
	;; [unrolled: 1-line block ×3, first 2 shown]
	s_mov_b32 s44, s69
	v_mov_b32_e32 v3, v2
.LBB87_34:                              ;   Parent Loop BB87_6 Depth=1
                                        ;     Parent Loop BB87_10 Depth=2
                                        ;       Parent Loop BB87_19 Depth=3
                                        ;         Parent Loop BB87_29 Depth=4
                                        ;           Parent Loop BB87_32 Depth=5
                                        ; =>          This Inner Loop Header: Depth=6
	v_lshlrev_b64 v[16:17], 3, v[0:1]
	v_mov_b32_e32 v18, s24
	v_add_co_u32_e32 v16, vcc, s68, v16
	v_addc_co_u32_e32 v17, vcc, v18, v17, vcc
	flat_load_dwordx2 v[16:17], v[16:17]
	ds_read2_b32 v[18:19], v15 offset1:1
	s_add_i32 s44, s44, -1
	v_add_u32_e32 v0, s37, v0
	v_add_u32_e32 v15, 8, v15
	s_cmp_eq_u32 s44, 0
	s_waitcnt vmcnt(0) lgkmcnt(0)
	v_pk_mul_f32 v[20:21], v[16:17], v[18:19] op_sel:[1,0]
	v_pk_fma_f32 v[22:23], v[16:17], v[18:19], v[20:21] op_sel:[0,0,1] op_sel_hi:[1,1,0]
	v_pk_fma_f32 v[16:17], v[16:17], v[18:19], v[20:21] op_sel:[0,0,1] op_sel_hi:[0,1,0] neg_lo:[0,0,1] neg_hi:[0,0,1]
	v_mov_b32_e32 v23, v17
	v_pk_add_f32 v[2:3], v[2:3], v[22:23]
	s_cbranch_scc0 .LBB87_34
	s_branch .LBB87_31
.LBB87_35:
	s_endpgm
	.section	.rodata,"a",@progbits
	.p2align	6, 0x0
	.amdhsa_kernel _ZN9rocsolver6v33100L17syevj_diag_rotateILb1E19rocblas_complex_numIfEfPS3_EEvbiiT2_iilPT0_Pii
		.amdhsa_group_segment_fixed_size 0
		.amdhsa_private_segment_fixed_size 64
		.amdhsa_kernarg_size 320
		.amdhsa_user_sgpr_count 8
		.amdhsa_user_sgpr_private_segment_buffer 1
		.amdhsa_user_sgpr_dispatch_ptr 0
		.amdhsa_user_sgpr_queue_ptr 0
		.amdhsa_user_sgpr_kernarg_segment_ptr 1
		.amdhsa_user_sgpr_dispatch_id 0
		.amdhsa_user_sgpr_flat_scratch_init 1
		.amdhsa_user_sgpr_kernarg_preload_length 0
		.amdhsa_user_sgpr_kernarg_preload_offset 0
		.amdhsa_user_sgpr_private_segment_size 0
		.amdhsa_uses_dynamic_stack 0
		.amdhsa_system_sgpr_private_segment_wavefront_offset 1
		.amdhsa_system_sgpr_workgroup_id_x 1
		.amdhsa_system_sgpr_workgroup_id_y 1
		.amdhsa_system_sgpr_workgroup_id_z 1
		.amdhsa_system_sgpr_workgroup_info 0
		.amdhsa_system_vgpr_workitem_id 1
		.amdhsa_next_free_vgpr 42
		.amdhsa_next_free_sgpr 74
		.amdhsa_accum_offset 44
		.amdhsa_reserve_vcc 1
		.amdhsa_reserve_flat_scratch 1
		.amdhsa_float_round_mode_32 0
		.amdhsa_float_round_mode_16_64 0
		.amdhsa_float_denorm_mode_32 3
		.amdhsa_float_denorm_mode_16_64 3
		.amdhsa_dx10_clamp 1
		.amdhsa_ieee_mode 1
		.amdhsa_fp16_overflow 0
		.amdhsa_tg_split 0
		.amdhsa_exception_fp_ieee_invalid_op 0
		.amdhsa_exception_fp_denorm_src 0
		.amdhsa_exception_fp_ieee_div_zero 0
		.amdhsa_exception_fp_ieee_overflow 0
		.amdhsa_exception_fp_ieee_underflow 0
		.amdhsa_exception_fp_ieee_inexact 0
		.amdhsa_exception_int_div_zero 0
	.end_amdhsa_kernel
	.section	.text._ZN9rocsolver6v33100L17syevj_diag_rotateILb1E19rocblas_complex_numIfEfPS3_EEvbiiT2_iilPT0_Pii,"axG",@progbits,_ZN9rocsolver6v33100L17syevj_diag_rotateILb1E19rocblas_complex_numIfEfPS3_EEvbiiT2_iilPT0_Pii,comdat
.Lfunc_end87:
	.size	_ZN9rocsolver6v33100L17syevj_diag_rotateILb1E19rocblas_complex_numIfEfPS3_EEvbiiT2_iilPT0_Pii, .Lfunc_end87-_ZN9rocsolver6v33100L17syevj_diag_rotateILb1E19rocblas_complex_numIfEfPS3_EEvbiiT2_iilPT0_Pii
                                        ; -- End function
	.section	.AMDGPU.csdata,"",@progbits
; Kernel info:
; codeLenInByte = 1412
; NumSgprs: 80
; NumVgprs: 42
; NumAgprs: 0
; TotalNumVgprs: 42
; ScratchSize: 64
; MemoryBound: 0
; FloatMode: 240
; IeeeMode: 1
; LDSByteSize: 0 bytes/workgroup (compile time only)
; SGPRBlocks: 9
; VGPRBlocks: 5
; NumSGPRsForWavesPerEU: 80
; NumVGPRsForWavesPerEU: 42
; AccumOffset: 44
; Occupancy: 8
; WaveLimiterHint : 1
; COMPUTE_PGM_RSRC2:SCRATCH_EN: 1
; COMPUTE_PGM_RSRC2:USER_SGPR: 8
; COMPUTE_PGM_RSRC2:TRAP_HANDLER: 0
; COMPUTE_PGM_RSRC2:TGID_X_EN: 1
; COMPUTE_PGM_RSRC2:TGID_Y_EN: 1
; COMPUTE_PGM_RSRC2:TGID_Z_EN: 1
; COMPUTE_PGM_RSRC2:TIDIG_COMP_CNT: 1
; COMPUTE_PGM_RSRC3_GFX90A:ACCUM_OFFSET: 10
; COMPUTE_PGM_RSRC3_GFX90A:TG_SPLIT: 0
	.section	.text._ZN9rocsolver6v33100L21syevj_offd_kernel_orgI19rocblas_complex_numIfEfPS3_EEviiT1_iilT0_PT_PiS9_S9_,"axG",@progbits,_ZN9rocsolver6v33100L21syevj_offd_kernel_orgI19rocblas_complex_numIfEfPS3_EEviiT1_iilT0_PT_PiS9_S9_,comdat
	.globl	_ZN9rocsolver6v33100L21syevj_offd_kernel_orgI19rocblas_complex_numIfEfPS3_EEviiT1_iilT0_PT_PiS9_S9_ ; -- Begin function _ZN9rocsolver6v33100L21syevj_offd_kernel_orgI19rocblas_complex_numIfEfPS3_EEviiT1_iilT0_PT_PiS9_S9_
	.p2align	8
	.type	_ZN9rocsolver6v33100L21syevj_offd_kernel_orgI19rocblas_complex_numIfEfPS3_EEviiT1_iilT0_PT_PiS9_S9_,@function
_ZN9rocsolver6v33100L21syevj_offd_kernel_orgI19rocblas_complex_numIfEfPS3_EEviiT1_iilT0_PT_PiS9_S9_: ; @_ZN9rocsolver6v33100L21syevj_offd_kernel_orgI19rocblas_complex_numIfEfPS3_EEviiT1_iilT0_PT_PiS9_S9_
; %bb.0:
	s_load_dwordx8 s[8:15], s[4:5], 0x28
	s_mov_b32 s0, s7
	s_ashr_i32 s1, s7, 31
	s_lshl_b64 s[2:3], s[0:1], 2
	s_mov_b32 s7, 0
	s_waitcnt lgkmcnt(0)
	s_add_u32 s2, s14, s2
	s_addc_u32 s3, s15, s3
	s_load_dword s2, s[2:3], 0x4
	s_waitcnt lgkmcnt(0)
	s_cmp_lg_u32 s2, 0
	s_cbranch_scc1 .LBB88_51
; %bb.1:
	s_lshl_b64 s[2:3], s[6:7], 2
	s_add_u32 s10, s10, s2
	s_addc_u32 s11, s11, s3
	s_add_u32 s2, s12, s2
	s_load_dword s7, s[10:11], 0x0
	s_addc_u32 s3, s13, s3
	s_load_dword s10, s[2:3], 0x0
	s_load_dwordx2 s[12:13], s[4:5], 0x0
	s_waitcnt lgkmcnt(0)
	s_max_i32 s34, s7, s10
	s_cmp_ge_i32 s34, s12
	s_cbranch_scc1 .LBB88_51
; %bb.2:
	s_load_dword s11, s[4:5], 0x54
	s_add_u32 s2, s4, 0x48
	s_addc_u32 s3, s5, 0
	s_min_i32 s7, s7, s10
	v_bfe_u32 v6, v0, 10, 10
	s_waitcnt lgkmcnt(0)
	s_and_b32 s12, s11, 0xffff
	s_mul_i32 s7, s7, s12
	v_add_u32_e32 v1, s7, v6
	v_cmp_gt_i32_e32 vcc, s13, v1
	s_and_saveexec_b64 s[10:11], vcc
	s_cbranch_execz .LBB88_51
; %bb.3:
	s_cmp_eq_u64 s[8:9], 0
	s_mov_b64 s[14:15], 0
	s_cbranch_scc1 .LBB88_5
; %bb.4:
	s_load_dword s2, s[2:3], 0x0
	s_waitcnt lgkmcnt(0)
	s_mul_i32 s2, s2, s0
	s_add_i32 s2, s2, s6
	s_mul_i32 s2, s2, s12
	s_mul_i32 s2, s2, s12
	s_lshl_b32 s2, s2, 2
	s_ashr_i32 s3, s2, 31
	s_lshl_b64 s[2:3], s[2:3], 3
	s_add_u32 s14, s8, s2
	s_addc_u32 s15, s9, s3
.LBB88_5:
	s_lshl_b32 s6, s12, 1
	v_and_b32_e32 v0, 0x3ff, v0
	v_add_u32_e32 v10, s12, v6
	s_cmp_lg_u64 s[14:15], 0
	v_mul_u32_u24_e32 v5, s6, v6
	s_cselect_b64 s[16:17], -1, 0
	s_cmp_eq_u64 s[14:15], 0
	v_mad_u32_u24 v2, v10, s6, v0
	v_add_lshl_u32 v8, v5, v0, 3
	s_cbranch_scc1 .LBB88_7
; %bb.6:
	v_cmp_eq_u32_e32 vcc, v0, v6
	v_cndmask_b32_e64 v12, 0, 1.0, vcc
	v_mov_b32_e32 v13, 0
	v_mov_b32_e32 v7, s15
	v_add_co_u32_e32 v14, vcc, s14, v8
	v_addc_co_u32_e32 v15, vcc, 0, v7, vcc
	v_mov_b32_e32 v3, v13
	s_mov_b32 s2, 0
	flat_store_dwordx2 v[14:15], v[12:13]
	v_lshlrev_b64 v[14:15], 3, v[2:3]
	v_add_u32_e32 v4, s12, v0
	v_add_co_u32_e32 v14, vcc, s14, v14
	s_mov_b32 s3, s2
	v_addc_co_u32_e32 v15, vcc, v7, v15, vcc
	v_pk_mov_b32 v[16:17], s[2:3], s[2:3] op_sel:[0,1]
	v_add_lshl_u32 v3, v5, v4, 3
	flat_store_dwordx2 v[14:15], v[16:17]
	v_add_co_u32_e32 v14, vcc, s14, v3
	v_addc_co_u32_e32 v15, vcc, 0, v7, vcc
	flat_store_dwordx2 v[14:15], v[16:17]
	v_mad_u32_u24 v14, v10, s6, v4
	v_mov_b32_e32 v15, v13
	v_lshlrev_b64 v[14:15], 3, v[14:15]
	v_add_co_u32_e32 v14, vcc, s14, v14
	v_addc_co_u32_e32 v15, vcc, v7, v15, vcc
	flat_store_dwordx2 v[14:15], v[12:13]
.LBB88_7:
	s_cmp_eq_u32 s12, 0
	s_mov_b32 s18, 0
	s_cbranch_scc1 .LBB88_51
; %bb.8:
	s_load_dword s19, s[4:5], 0x20
	v_mov_b32_e32 v3, 0x800000
	s_mul_i32 s34, s34, s12
	v_add_u32_e32 v34, s34, v6
	v_mul_u32_u24_e32 v38, s6, v10
	s_waitcnt lgkmcnt(0)
	v_div_scale_f32 v4, s[2:3], s19, s19, v3
	v_rcp_f32_e32 v7, v4
	s_load_dwordx4 s[8:11], s[4:5], 0x8
	s_load_dwordx2 s[2:3], s[4:5], 0x18
	s_mov_b32 s4, 0x800000
	v_mov_b32_e32 v9, s19
	v_fma_f32 v11, -v4, v7, 1.0
	v_fmac_f32_e32 v7, v11, v7
	v_div_scale_f32 v9, vcc, s4, v9, s4
	v_mul_f32_e32 v11, v9, v7
	v_fma_f32 v12, -v4, v11, v9
	v_fmac_f32_e32 v11, v12, v7
	v_fma_f32 v4, -v4, v11, v9
	v_div_fmas_f32 v4, v4, v7, v11
	s_lshl_b32 s4, s12, 2
	v_div_fixup_f32 v23, v4, s19, v3
	s_add_i32 s19, s4, 0
	s_waitcnt lgkmcnt(0)
	s_ashr_i32 s5, s10, 31
	s_mov_b32 s4, s10
	s_mul_i32 s3, s0, s3
	s_mul_hi_u32 s10, s0, s2
	s_add_i32 s3, s10, s3
	s_mul_i32 s1, s1, s2
	s_add_i32 s1, s3, s1
	s_mul_i32 s0, s0, s2
	s_lshl_b64 s[0:1], s[0:1], 3
	s_add_u32 s2, s8, s0
	s_addc_u32 s3, s9, s1
	s_lshl_b64 s[0:1], s[4:5], 3
	v_add_u32_e32 v4, s7, v0
	s_add_u32 s10, s2, s0
	v_mul_lo_u32 v35, v4, s11
	s_addc_u32 s33, s3, s1
	v_cmp_eq_u32_e64 s[0:1], 0, v6
	v_add_u32_e32 v6, v35, v4
	v_ashrrev_i32_e32 v7, 31, v6
	v_lshlrev_b64 v[6:7], 3, v[6:7]
	v_mov_b32_e32 v3, s33
	v_add_co_u32_e32 v6, vcc, s10, v6
	v_addc_co_u32_e32 v7, vcc, v3, v7, vcc
	v_mov_b32_e32 v3, 0
	v_mov_b32_e32 v12, s15
	v_add_co_u32_e32 v8, vcc, s14, v8
	v_addc_co_u32_e32 v9, vcc, 0, v12, vcc
	v_lshlrev_b64 v[10:11], 3, v[2:3]
	v_add_co_u32_e32 v10, vcc, s14, v10
	v_addc_co_u32_e32 v11, vcc, v12, v11, vcc
	v_add_u32_e32 v12, v35, v1
	v_ashrrev_i32_e32 v13, 31, v12
	v_lshlrev_b64 v[12:13], 3, v[12:13]
	v_add_u32_e32 v14, v35, v34
	v_mov_b32_e32 v2, s33
	v_add_co_u32_e32 v12, vcc, s10, v12
	v_ashrrev_i32_e32 v15, 31, v14
	v_mul_lo_u32 v39, v1, s11
	v_addc_co_u32_e32 v13, vcc, v2, v13, vcc
	v_lshlrev_b64 v[14:15], 3, v[14:15]
	v_add_u32_e32 v16, v39, v4
	v_cvt_f32_u32_e32 v19, s12
	v_add_co_u32_e32 v14, vcc, s10, v14
	v_ashrrev_i32_e32 v17, 31, v16
	v_addc_co_u32_e32 v15, vcc, v2, v15, vcc
	v_lshlrev_b64 v[16:17], 3, v[16:17]
	v_add_co_u32_e32 v16, vcc, s10, v16
	v_addc_co_u32_e32 v17, vcc, v2, v17, vcc
	v_rcp_iflag_f32_e32 v2, v19
	v_mul_lo_u32 v40, v34, s11
	v_add_u32_e32 v18, v40, v4
	v_ashrrev_i32_e32 v19, 31, v18
	v_mul_f32_e32 v2, 0x4f7ffffe, v2
	v_cvt_u32_f32_e32 v2, v2
	v_lshlrev_b64 v[18:19], 3, v[18:19]
	v_mov_b32_e32 v20, s33
	v_add_co_u32_e32 v18, vcc, s10, v18
	s_sub_i32 s6, 0, s12
	v_addc_co_u32_e32 v19, vcc, v20, v19, vcc
	v_mul_lo_u32 v20, s6, v2
	v_mul_hi_u32 v20, v2, v20
	v_cmp_gt_i32_e64 s[2:3], s13, v4
	v_add_u32_e32 v41, v2, v20
	v_lshl_add_u32 v36, v0, 2, 0
	v_lshl_add_u32 v37, v0, 3, s19
	v_cmp_gt_i32_e64 s[4:5], s13, v34
	s_and_b64 s[20:21], s[0:1], s[2:3]
	v_mad_u64_u32 v[20:21], s[6:7], v0, v41, 0
	s_mov_b32 s35, 0xf800000
	v_mov_b32_e32 v42, 0x260
	s_mov_b32 s36, 0x7f800000
	v_mov_b32_e32 v43, 0x7f800000
	v_mov_b32_e32 v44, 0xff800000
	s_mov_b32 s37, s12
                                        ; implicit-def: $vgpr27
                                        ; implicit-def: $vgpr22
                                        ; implicit-def: $vgpr24
                                        ; implicit-def: $vgpr28_vgpr29
	s_branch .LBB88_10
.LBB88_9:                               ;   in Loop: Header=BB88_10 Depth=1
	s_or_b64 exec, exec, s[6:7]
	s_add_i32 s37, s37, -1
	v_add_co_u32_e32 v20, vcc, v20, v41
	v_add_u32_e32 v0, 1, v0
	s_cmp_lg_u32 s37, 0
	v_addc_co_u32_e32 v21, vcc, 0, v21, vcc
	s_cbranch_scc0 .LBB88_51
.LBB88_10:                              ; =>This Inner Loop Header: Depth=1
	v_mul_lo_u32 v2, s12, v21
	v_sub_u32_e32 v2, v0, v2
	v_not_b32_e32 v25, v21
	v_mad_u64_u32 v[30:31], s[6:7], s12, v25, v[0:1]
	v_cmp_le_u32_e32 vcc, s12, v2
	v_cndmask_b32_e32 v2, v2, v30, vcc
	v_subrev_u32_e32 v25, s12, v2
	v_cmp_le_u32_e32 vcc, s12, v2
	v_cndmask_b32_e32 v25, v2, v25, vcc
	v_add_u32_e32 v45, s34, v25
	v_cmp_gt_i32_e64 s[6:7], s13, v45
	s_and_b64 s[8:9], s[20:21], s[6:7]
	v_mul_lo_u32 v46, v45, s11
	s_and_saveexec_b64 s[22:23], s[8:9]
	s_cbranch_execz .LBB88_36
; %bb.11:                               ;   in Loop: Header=BB88_10 Depth=1
	v_add_u32_e32 v26, v46, v4
	v_ashrrev_i32_e32 v27, 31, v26
	v_lshlrev_b64 v[26:27], 3, v[26:27]
	v_mov_b32_e32 v2, s33
	v_add_co_u32_e32 v26, vcc, s10, v26
	v_addc_co_u32_e32 v27, vcc, v2, v27, vcc
	global_load_dwordx2 v[30:31], v[26:27], off
                                        ; implicit-def: $vgpr26
	s_waitcnt vmcnt(0)
	v_cmp_gt_f32_e32 vcc, 0, v30
	v_cndmask_b32_e64 v2, v30, -v30, vcc
	v_cmp_gt_f32_e32 vcc, 0, v31
	v_cndmask_b32_e64 v27, v31, -v31, vcc
	v_cmp_ngt_f32_e32 vcc, v2, v27
	s_and_saveexec_b64 s[8:9], vcc
	s_xor_b64 s[24:25], exec, s[8:9]
	s_cbranch_execz .LBB88_15
; %bb.12:                               ;   in Loop: Header=BB88_10 Depth=1
	v_cmp_neq_f32_e32 vcc, 0, v31
	v_mov_b32_e32 v26, 0
	s_and_saveexec_b64 s[26:27], vcc
	s_cbranch_execz .LBB88_14
; %bb.13:                               ;   in Loop: Header=BB88_10 Depth=1
	v_div_scale_f32 v26, s[8:9], v27, v27, v2
	v_rcp_f32_e32 v28, v26
	v_div_scale_f32 v29, vcc, v2, v27, v2
	v_fma_f32 v32, -v26, v28, 1.0
	v_fmac_f32_e32 v28, v32, v28
	v_mul_f32_e32 v32, v29, v28
	v_fma_f32 v33, -v26, v32, v29
	v_fmac_f32_e32 v32, v33, v28
	v_fma_f32 v26, -v26, v32, v29
	v_div_fmas_f32 v26, v26, v28, v32
	v_div_fixup_f32 v2, v26, v27, v2
	v_fma_f32 v2, v2, v2, 1.0
	v_mul_f32_e32 v26, 0x4f800000, v2
	v_cmp_gt_f32_e32 vcc, s35, v2
	v_cndmask_b32_e32 v2, v2, v26, vcc
	v_sqrt_f32_e32 v26, v2
	v_add_u32_e32 v28, -1, v26
	v_fma_f32 v29, -v28, v26, v2
	v_cmp_ge_f32_e64 s[8:9], 0, v29
	v_add_u32_e32 v29, 1, v26
	v_cndmask_b32_e64 v28, v26, v28, s[8:9]
	v_fma_f32 v26, -v29, v26, v2
	v_cmp_lt_f32_e64 s[8:9], 0, v26
	v_cndmask_b32_e64 v26, v28, v29, s[8:9]
	v_mul_f32_e32 v28, 0x37800000, v26
	v_cndmask_b32_e32 v26, v26, v28, vcc
	v_cmp_class_f32_e32 vcc, v2, v42
	v_cndmask_b32_e32 v2, v26, v2, vcc
	v_mul_f32_e32 v26, v27, v2
.LBB88_14:                              ;   in Loop: Header=BB88_10 Depth=1
	s_or_b64 exec, exec, s[26:27]
                                        ; implicit-def: $vgpr2
                                        ; implicit-def: $vgpr27
.LBB88_15:                              ;   in Loop: Header=BB88_10 Depth=1
	s_andn2_saveexec_b64 s[24:25], s[24:25]
	s_cbranch_execz .LBB88_17
; %bb.16:                               ;   in Loop: Header=BB88_10 Depth=1
	v_div_scale_f32 v26, s[8:9], v2, v2, v27
	v_rcp_f32_e32 v28, v26
	v_div_scale_f32 v29, vcc, v27, v2, v27
	v_fma_f32 v32, -v26, v28, 1.0
	v_fmac_f32_e32 v28, v32, v28
	v_mul_f32_e32 v32, v29, v28
	v_fma_f32 v33, -v26, v32, v29
	v_fmac_f32_e32 v32, v33, v28
	v_fma_f32 v26, -v26, v32, v29
	v_div_fmas_f32 v26, v26, v28, v32
	v_div_fixup_f32 v26, v26, v2, v27
	v_fma_f32 v26, v26, v26, 1.0
	v_mul_f32_e32 v27, 0x4f800000, v26
	v_cmp_gt_f32_e32 vcc, s35, v26
	v_cndmask_b32_e32 v26, v26, v27, vcc
	v_sqrt_f32_e32 v27, v26
	v_add_u32_e32 v28, -1, v27
	v_fma_f32 v29, -v28, v27, v26
	v_cmp_ge_f32_e64 s[8:9], 0, v29
	v_add_u32_e32 v29, 1, v27
	v_cndmask_b32_e64 v28, v27, v28, s[8:9]
	v_fma_f32 v27, -v29, v27, v26
	v_cmp_lt_f32_e64 s[8:9], 0, v27
	v_cndmask_b32_e64 v27, v28, v29, s[8:9]
	v_mul_f32_e32 v28, 0x37800000, v27
	v_cndmask_b32_e32 v27, v27, v28, vcc
	v_cmp_class_f32_e32 vcc, v26, v42
	v_cndmask_b32_e32 v26, v27, v26, vcc
	v_mul_f32_e32 v26, v2, v26
.LBB88_17:                              ;   in Loop: Header=BB88_10 Depth=1
	s_or_b64 exec, exec, s[24:25]
	v_mul_f32_e32 v2, v26, v26
	s_mov_b32 s19, s18
	v_cmp_nlt_f32_e32 vcc, v2, v23
	v_pk_mov_b32 v[28:29], s[18:19], s[18:19] op_sel:[0,1]
	v_mov_b32_e32 v27, 1.0
	s_and_saveexec_b64 s[24:25], vcc
	s_cbranch_execz .LBB88_35
; %bb.18:                               ;   in Loop: Header=BB88_10 Depth=1
	v_add_u32_e32 v28, v46, v45
	v_ashrrev_i32_e32 v29, 31, v28
	v_lshlrev_b64 v[28:29], 3, v[28:29]
	v_mov_b32_e32 v2, s33
	v_add_co_u32_e32 v28, vcc, s10, v28
	v_addc_co_u32_e32 v29, vcc, v2, v29, vcc
	global_load_dword v2, v[28:29], off
	global_load_dword v27, v[6:7], off
	v_add_f32_e32 v28, v26, v26
	s_waitcnt vmcnt(0)
	v_sub_f32_e32 v29, v2, v27
	v_max_f32_e64 v2, |v29|, |v28|
	v_cvt_f64_f32_e32 v[32:33], v2
	v_frexp_exp_i32_f64_e32 v27, v[32:33]
	v_sub_u32_e32 v32, 0, v27
	v_ldexp_f32 v33, |v29|, v32
	v_ldexp_f32 v32, |v28|, v32
	v_mul_f32_e32 v32, v32, v32
	v_fmac_f32_e32 v32, v33, v33
	v_sqrt_f32_e32 v33, v32
	v_cmp_ngt_f32_e32 vcc, 0, v29
                                        ; implicit-def: $vgpr32
	s_and_saveexec_b64 s[8:9], vcc
	s_xor_b64 s[8:9], exec, s[8:9]
; %bb.19:                               ;   in Loop: Header=BB88_10 Depth=1
	v_ldexp_f32 v27, v33, v27
	v_cmp_neq_f32_e32 vcc, s36, v2
	v_cndmask_b32_e32 v32, v43, v27, vcc
                                        ; implicit-def: $vgpr33
                                        ; implicit-def: $vgpr27
                                        ; implicit-def: $vgpr2
; %bb.20:                               ;   in Loop: Header=BB88_10 Depth=1
	s_andn2_saveexec_b64 s[8:9], s[8:9]
; %bb.21:                               ;   in Loop: Header=BB88_10 Depth=1
	v_ldexp_f32 v27, -v33, v27
	v_cmp_neq_f32_e32 vcc, s36, v2
	v_cndmask_b32_e32 v32, v44, v27, vcc
; %bb.22:                               ;   in Loop: Header=BB88_10 Depth=1
	s_or_b64 exec, exec, s[8:9]
	v_cmp_neq_f32_e32 vcc, 0, v28
	v_mov_b32_e32 v2, 0
	v_mov_b32_e32 v27, 1.0
	s_and_saveexec_b64 s[26:27], vcc
	s_cbranch_execz .LBB88_30
; %bb.23:                               ;   in Loop: Header=BB88_10 Depth=1
	v_add_f32_e32 v29, v29, v32
	v_cmp_neq_f32_e32 vcc, 0, v29
	v_mov_b32_e32 v27, 0
	v_mov_b32_e32 v2, 1.0
	s_and_saveexec_b64 s[28:29], vcc
	s_cbranch_execz .LBB88_29
; %bb.24:                               ;   in Loop: Header=BB88_10 Depth=1
	v_cmp_ngt_f32_e64 s[8:9], |v28|, |v29|
                                        ; implicit-def: $vgpr27
                                        ; implicit-def: $vgpr2
	s_and_saveexec_b64 s[30:31], s[8:9]
	s_xor_b64 s[30:31], exec, s[30:31]
	s_cbranch_execz .LBB88_26
; %bb.25:                               ;   in Loop: Header=BB88_10 Depth=1
	v_div_scale_f32 v2, s[8:9], v29, v29, -v28
	v_rcp_f32_e32 v27, v2
	v_div_scale_f32 v32, vcc, -v28, v29, -v28
	v_fma_f32 v33, -v2, v27, 1.0
	v_fmac_f32_e32 v27, v33, v27
	v_mul_f32_e32 v33, v32, v27
	v_fma_f32 v47, -v2, v33, v32
	v_fmac_f32_e32 v33, v47, v27
	v_fma_f32 v2, -v2, v33, v32
	v_div_fmas_f32 v2, v2, v27, v33
	v_div_fixup_f32 v2, v2, v29, -v28
	v_fma_f32 v27, v2, v2, 1.0
	v_mul_f32_e32 v28, 0x4f800000, v27
	v_cmp_gt_f32_e32 vcc, s35, v27
	v_cndmask_b32_e32 v27, v27, v28, vcc
	v_sqrt_f32_e32 v28, v27
	v_add_u32_e32 v29, -1, v28
	v_fma_f32 v32, -v29, v28, v27
	v_cmp_ge_f32_e64 s[8:9], 0, v32
	v_add_u32_e32 v32, 1, v28
	v_cndmask_b32_e64 v29, v28, v29, s[8:9]
	v_fma_f32 v28, -v32, v28, v27
	v_cmp_lt_f32_e64 s[8:9], 0, v28
	v_cndmask_b32_e64 v28, v29, v32, s[8:9]
	v_mul_f32_e32 v29, 0x37800000, v28
	v_cndmask_b32_e32 v28, v28, v29, vcc
	v_cmp_class_f32_e32 vcc, v27, v42
	v_cndmask_b32_e32 v27, v28, v27, vcc
	v_div_scale_f32 v28, s[8:9], v27, v27, 1.0
	v_rcp_f32_e32 v29, v28
	v_fma_f32 v32, -v28, v29, 1.0
	v_fmac_f32_e32 v29, v32, v29
	v_div_scale_f32 v32, vcc, 1.0, v27, 1.0
	v_mul_f32_e32 v33, v32, v29
	v_fma_f32 v47, -v28, v33, v32
	v_fmac_f32_e32 v33, v47, v29
	v_fma_f32 v28, -v28, v33, v32
	v_div_fmas_f32 v28, v28, v29, v33
	v_div_fixup_f32 v27, v28, v27, 1.0
	v_mul_f32_e32 v2, v2, v27
                                        ; implicit-def: $vgpr28
                                        ; implicit-def: $vgpr29
.LBB88_26:                              ;   in Loop: Header=BB88_10 Depth=1
	s_andn2_saveexec_b64 s[30:31], s[30:31]
	s_cbranch_execz .LBB88_28
; %bb.27:                               ;   in Loop: Header=BB88_10 Depth=1
	v_div_scale_f32 v2, s[8:9], v28, v28, -v29
	v_rcp_f32_e32 v27, v2
	v_div_scale_f32 v32, vcc, -v29, v28, -v29
	v_fma_f32 v33, -v2, v27, 1.0
	v_fmac_f32_e32 v27, v33, v27
	v_mul_f32_e32 v33, v32, v27
	v_fma_f32 v47, -v2, v33, v32
	v_fmac_f32_e32 v33, v47, v27
	v_fma_f32 v2, -v2, v33, v32
	v_div_fmas_f32 v2, v2, v27, v33
	v_div_fixup_f32 v27, v2, v28, -v29
	v_fma_f32 v2, v27, v27, 1.0
	v_mul_f32_e32 v28, 0x4f800000, v2
	v_cmp_gt_f32_e32 vcc, s35, v2
	v_cndmask_b32_e32 v2, v2, v28, vcc
	v_sqrt_f32_e32 v28, v2
	v_add_u32_e32 v29, -1, v28
	v_fma_f32 v32, -v29, v28, v2
	v_cmp_ge_f32_e64 s[8:9], 0, v32
	v_add_u32_e32 v32, 1, v28
	v_cndmask_b32_e64 v29, v28, v29, s[8:9]
	v_fma_f32 v28, -v32, v28, v2
	v_cmp_lt_f32_e64 s[8:9], 0, v28
	v_cndmask_b32_e64 v28, v29, v32, s[8:9]
	v_mul_f32_e32 v29, 0x37800000, v28
	v_cndmask_b32_e32 v28, v28, v29, vcc
	v_cmp_class_f32_e32 vcc, v2, v42
	v_cndmask_b32_e32 v2, v28, v2, vcc
	v_div_scale_f32 v28, s[8:9], v2, v2, 1.0
	v_rcp_f32_e32 v29, v28
	v_fma_f32 v32, -v28, v29, 1.0
	v_fmac_f32_e32 v29, v32, v29
	v_div_scale_f32 v32, vcc, 1.0, v2, 1.0
	v_mul_f32_e32 v33, v32, v29
	v_fma_f32 v47, -v28, v33, v32
	v_fmac_f32_e32 v33, v47, v29
	v_fma_f32 v28, -v28, v33, v32
	v_div_fmas_f32 v28, v28, v29, v33
	v_div_fixup_f32 v2, v28, v2, 1.0
	v_mul_f32_e32 v27, v27, v2
.LBB88_28:                              ;   in Loop: Header=BB88_10 Depth=1
	s_or_b64 exec, exec, s[30:31]
.LBB88_29:                              ;   in Loop: Header=BB88_10 Depth=1
	s_or_b64 exec, exec, s[28:29]
.LBB88_30:                              ;   in Loop: Header=BB88_10 Depth=1
	s_or_b64 exec, exec, s[26:27]
	v_cmp_gt_f32_e32 vcc, 0, v26
	v_pk_mul_f32 v[32:33], v[30:31], v[2:3] op_sel_hi:[1,0]
	v_cndmask_b32_e64 v2, v26, -v26, vcc
	v_mov_b32_e32 v30, v33
	v_mov_b32_e32 v31, v32
	v_cmp_nlt_f32_e32 vcc, 0, v2
                                        ; implicit-def: $vgpr28_vgpr29
	s_and_saveexec_b64 s[8:9], vcc
	s_xor_b64 s[8:9], exec, s[8:9]
	s_cbranch_execz .LBB88_32
; %bb.31:                               ;   in Loop: Header=BB88_10 Depth=1
	v_div_scale_f32 v2, s[26:27], 0, 0, v26
	v_rcp_f32_e32 v28, v2
	v_div_scale_f32 v29, vcc, v26, 0, v26
	v_fma_f32 v47, -v2, v28, 1.0
	v_fmac_f32_e32 v28, v47, v28
	v_mul_f32_e32 v47, v29, v28
	v_fma_f32 v48, -v2, v47, v29
	v_fmac_f32_e32 v47, v48, v28
	v_fma_f32 v2, -v2, v47, v29
	v_div_fmas_f32 v2, v2, v28, v47
	v_div_fixup_f32 v2, v2, 0, v26
	v_fma_f32 v26, v26, v2, 0
	v_div_scale_f32 v28, s[26:27], v26, v26, 1.0
	v_rcp_f32_e32 v29, v28
	v_fma_f32 v47, -v28, v29, 1.0
	v_fmac_f32_e32 v29, v47, v29
	v_div_scale_f32 v47, vcc, 1.0, v26, 1.0
	v_mul_f32_e32 v48, v47, v29
	v_fma_f32 v49, -v28, v48, v47
	v_fmac_f32_e32 v48, v49, v29
	v_fma_f32 v28, -v28, v48, v47
	v_div_fmas_f32 v28, v28, v29, v48
	v_div_fixup_f32 v26, v28, v26, 1.0
	v_pk_fma_f32 v[28:29], v[2:3], v[32:33], v[30:31]
	v_pk_fma_f32 v[30:31], v[2:3], v[32:33], v[30:31] op_sel_hi:[0,1,1] neg_lo:[0,0,1] neg_hi:[0,0,1]
	v_mov_b32_e32 v29, v31
	v_pk_mul_f32 v[28:29], v[26:27], v[28:29] op_sel_hi:[0,1]
                                        ; implicit-def: $vgpr26
                                        ; implicit-def: $vgpr30_vgpr31
                                        ; implicit-def: $vgpr32_vgpr33
.LBB88_32:                              ;   in Loop: Header=BB88_10 Depth=1
	s_andn2_saveexec_b64 s[8:9], s[8:9]
	s_cbranch_execz .LBB88_34
; %bb.33:                               ;   in Loop: Header=BB88_10 Depth=1
	v_div_scale_f32 v2, s[26:27], v26, v26, 0
	v_rcp_f32_e32 v28, v2
	v_div_scale_f32 v29, vcc, 0, v26, 0
	v_fma_f32 v47, -v2, v28, 1.0
	v_fmac_f32_e32 v28, v47, v28
	v_mul_f32_e32 v47, v29, v28
	v_fma_f32 v48, -v2, v47, v29
	v_fmac_f32_e32 v47, v48, v28
	v_fma_f32 v2, -v2, v47, v29
	v_div_fmas_f32 v2, v2, v28, v47
	v_div_fixup_f32 v2, v2, v26, 0
	v_fmac_f32_e32 v26, 0, v2
	v_div_scale_f32 v28, s[26:27], v26, v26, 1.0
	v_rcp_f32_e32 v29, v28
	v_fma_f32 v47, -v28, v29, 1.0
	v_fmac_f32_e32 v29, v47, v29
	v_div_scale_f32 v47, vcc, 1.0, v26, 1.0
	v_mul_f32_e32 v48, v47, v29
	v_fma_f32 v49, -v28, v48, v47
	v_fmac_f32_e32 v48, v49, v29
	v_fma_f32 v28, -v28, v48, v47
	v_div_fmas_f32 v28, v28, v29, v48
	v_div_fixup_f32 v26, v28, v26, 1.0
	v_pk_fma_f32 v[28:29], v[2:3], v[30:31], v[32:33]
	v_pk_fma_f32 v[30:31], v[2:3], v[30:31], v[32:33] op_sel_hi:[0,1,1] neg_lo:[1,0,0] neg_hi:[1,0,0]
	v_mov_b32_e32 v29, v31
	v_pk_mul_f32 v[28:29], v[26:27], v[28:29] op_sel_hi:[0,1]
.LBB88_34:                              ;   in Loop: Header=BB88_10 Depth=1
	s_or_b64 exec, exec, s[8:9]
.LBB88_35:                              ;   in Loop: Header=BB88_10 Depth=1
	s_or_b64 exec, exec, s[24:25]
	ds_write_b32 v36, v27
	ds_write2_b32 v37, v28, v29 offset1:1
.LBB88_36:                              ;   in Loop: Header=BB88_10 Depth=1
	s_or_b64 exec, exec, s[22:23]
	s_and_b64 s[8:9], s[2:3], s[6:7]
	s_waitcnt lgkmcnt(0)
	s_barrier
	s_and_saveexec_b64 s[22:23], s[8:9]
	s_cbranch_execz .LBB88_45
; %bb.37:                               ;   in Loop: Header=BB88_10 Depth=1
	ds_read2_b32 v[28:29], v37 offset1:1
	ds_read_b32 v27, v36
	s_and_b64 vcc, exec, s[16:17]
	s_waitcnt lgkmcnt(0)
	v_xor_b32_e32 v22, 0x80000000, v29
	s_cbranch_vccz .LBB88_50
; %bb.38:                               ;   in Loop: Header=BB88_10 Depth=1
	v_add_u32_e32 v26, s12, v25
	v_add_u32_e32 v2, v26, v5
	v_lshlrev_b64 v[24:25], 3, v[2:3]
	v_mov_b32_e32 v2, s15
	v_add_co_u32_e32 v32, vcc, s14, v24
	v_addc_co_u32_e32 v33, vcc, v2, v25, vcc
	flat_load_dwordx2 v[30:31], v[8:9]
	flat_load_dwordx2 v[48:49], v[32:33]
	v_xor_b32_e32 v24, 0x80000000, v29
	v_mov_b32_e32 v25, v29
	v_mov_b32_e32 v2, v27
	s_waitcnt vmcnt(0) lgkmcnt(0)
	v_pk_mul_f32 v[50:51], v[24:25], v[30:31]
	v_pk_mul_f32 v[52:53], v[48:49], v[28:29]
	v_mul_f32_e32 v47, v49, v28
	v_add_f32_e32 v52, v52, v53
	v_fma_f32 v53, -v29, v48, v47
	v_pk_fma_f32 v[50:51], v[30:31], v[28:29], v[50:51] op_sel:[0,0,1] op_sel_hi:[1,0,0] neg_lo:[1,0,0] neg_hi:[1,0,0]
	v_fmac_f32_e32 v52, v27, v30
	v_fmac_f32_e32 v53, v27, v31
	v_pk_fma_f32 v[50:51], v[2:3], v[48:49], v[50:51] op_sel_hi:[0,1,1]
	flat_store_dwordx2 v[8:9], v[52:53]
	flat_store_dwordx2 v[32:33], v[50:51]
	s_and_saveexec_b64 s[24:25], s[4:5]
	s_cbranch_execz .LBB88_40
; %bb.39:                               ;   in Loop: Header=BB88_10 Depth=1
	v_add_u32_e32 v2, v26, v38
	v_lshlrev_b64 v[30:31], 3, v[2:3]
	v_mov_b32_e32 v2, s15
	v_add_co_u32_e32 v30, vcc, s14, v30
	flat_load_dwordx2 v[32:33], v[10:11]
	v_addc_co_u32_e32 v31, vcc, v2, v31, vcc
	flat_load_dwordx2 v[48:49], v[30:31]
	v_mov_b32_e32 v50, v28
	v_mov_b32_e32 v51, v28
	;; [unrolled: 1-line block ×4, first 2 shown]
	s_waitcnt vmcnt(0) lgkmcnt(0)
	v_pk_mul_f32 v[52:53], v[24:25], v[32:33]
	v_pk_fma_f32 v[50:51], v[32:33], v[50:51], v[52:53] op_sel:[0,0,1] op_sel_hi:[1,1,0] neg_lo:[1,0,0] neg_hi:[1,0,0]
	v_pk_mul_f32 v[52:53], v[48:49], v[28:29]
	v_mul_f32_e32 v47, v49, v28
	v_add_f32_e32 v52, v52, v53
	v_fma_f32 v53, -v2, v48, v47
	v_fmac_f32_e32 v52, v27, v32
	v_fmac_f32_e32 v53, v27, v33
	v_pk_fma_f32 v[50:51], v[26:27], v[48:49], v[50:51]
	flat_store_dwordx2 v[10:11], v[52:53]
	flat_store_dwordx2 v[30:31], v[50:51]
.LBB88_40:                              ;   in Loop: Header=BB88_10 Depth=1
	s_or_b64 exec, exec, s[24:25]
	v_mov_b32_e32 v26, v27
	v_mov_b32_e32 v31, v28
	;; [unrolled: 1-line block ×3, first 2 shown]
	s_cbranch_execnz .LBB88_42
.LBB88_41:                              ;   in Loop: Header=BB88_10 Depth=1
	v_xor_b32_e32 v24, 0x80000000, v29
	v_mov_b32_e32 v25, v29
	v_mov_b32_e32 v26, v27
	;; [unrolled: 1-line block ×4, first 2 shown]
.LBB88_42:                              ;   in Loop: Header=BB88_10 Depth=1
	v_add_u32_e32 v32, v46, v1
	v_ashrrev_i32_e32 v33, 31, v32
	v_lshlrev_b64 v[32:33], 3, v[32:33]
	v_mov_b32_e32 v2, s33
	v_add_co_u32_e32 v32, vcc, s10, v32
	v_addc_co_u32_e32 v33, vcc, v2, v33, vcc
	global_load_dwordx2 v[48:49], v[12:13], off
	global_load_dwordx2 v[50:51], v[32:33], off
	s_waitcnt vmcnt(0)
	v_pk_mul_f32 v[52:53], v[24:25], v[48:49]
	v_pk_mul_f32 v[54:55], v[50:51], v[28:29]
	v_mul_f32_e32 v2, v51, v28
	v_add_f32_e32 v54, v54, v55
	v_fma_f32 v55, -v29, v50, v2
	v_pk_fma_f32 v[52:53], v[48:49], v[30:31], v[52:53] op_sel:[0,0,1] op_sel_hi:[1,1,0] neg_lo:[1,0,0] neg_hi:[1,0,0]
	v_fmac_f32_e32 v54, v27, v48
	v_fmac_f32_e32 v55, v27, v49
	v_pk_fma_f32 v[52:53], v[26:27], v[50:51], v[52:53]
	global_store_dwordx2 v[12:13], v[54:55], off
	global_store_dwordx2 v[32:33], v[52:53], off
	s_and_saveexec_b64 s[24:25], s[4:5]
	s_cbranch_execz .LBB88_44
; %bb.43:                               ;   in Loop: Header=BB88_10 Depth=1
	v_add_u32_e32 v32, v46, v34
	v_ashrrev_i32_e32 v33, 31, v32
	v_lshlrev_b64 v[32:33], 3, v[32:33]
	v_mov_b32_e32 v2, s33
	v_add_co_u32_e32 v32, vcc, s10, v32
	global_load_dwordx2 v[46:47], v[14:15], off
	v_addc_co_u32_e32 v33, vcc, v2, v33, vcc
	global_load_dwordx2 v[48:49], v[32:33], off
	s_waitcnt vmcnt(0)
	v_pk_mul_f32 v[24:25], v[24:25], v[46:47]
	v_pk_fma_f32 v[24:25], v[46:47], v[30:31], v[24:25] op_sel:[0,0,1] op_sel_hi:[1,1,0] neg_lo:[1,0,0] neg_hi:[1,0,0]
	v_pk_mul_f32 v[30:31], v[48:49], v[28:29]
	v_mul_f32_e32 v2, v49, v28
	v_add_f32_e32 v30, v30, v31
	v_fma_f32 v31, -v29, v48, v2
	v_fmac_f32_e32 v30, v27, v46
	v_fmac_f32_e32 v31, v27, v47
	v_pk_fma_f32 v[24:25], v[26:27], v[48:49], v[24:25]
	global_store_dwordx2 v[14:15], v[30:31], off
	global_store_dwordx2 v[32:33], v[24:25], off
.LBB88_44:                              ;   in Loop: Header=BB88_10 Depth=1
	s_or_b64 exec, exec, s[24:25]
	v_mov_b32_e32 v24, v28
.LBB88_45:                              ;   in Loop: Header=BB88_10 Depth=1
	s_or_b64 exec, exec, s[22:23]
	s_waitcnt lgkmcnt(0)
	s_barrier
	s_and_saveexec_b64 s[22:23], s[8:9]
	s_cbranch_execz .LBB88_48
; %bb.46:                               ;   in Loop: Header=BB88_10 Depth=1
	v_add_u32_e32 v30, v45, v39
	v_ashrrev_i32_e32 v31, 31, v30
	v_lshlrev_b64 v[30:31], 3, v[30:31]
	v_mov_b32_e32 v2, s33
	v_add_co_u32_e32 v30, vcc, s10, v30
	v_addc_co_u32_e32 v31, vcc, v2, v31, vcc
	global_load_dwordx2 v[32:33], v[16:17], off
	global_load_dwordx2 v[46:47], v[30:31], off
	v_mov_b32_e32 v2, v27
	s_waitcnt vmcnt(0)
	v_pk_mul_f32 v[48:49], v[22:23], v[32:33] op_sel_hi:[0,1] neg_lo:[1,0]
	v_pk_mul_f32 v[50:51], v[28:29], v[46:47]
	v_mul_f32_e32 v53, v29, v46
	v_sub_f32_e32 v52, v50, v51
	v_fmac_f32_e32 v53, v28, v47
	v_pk_fma_f32 v[48:49], v[24:25], v[32:33], v[48:49] op_sel:[0,0,1] op_sel_hi:[0,1,0] neg_lo:[1,0,0] neg_hi:[1,0,0]
	v_fmac_f32_e32 v52, v27, v32
	v_fmac_f32_e32 v53, v27, v33
	v_pk_fma_f32 v[48:49], v[2:3], v[46:47], v[48:49] op_sel_hi:[0,1,1]
	global_store_dwordx2 v[16:17], v[52:53], off
	global_store_dwordx2 v[30:31], v[48:49], off
	s_and_b64 exec, exec, s[4:5]
	s_cbranch_execz .LBB88_48
; %bb.47:                               ;   in Loop: Header=BB88_10 Depth=1
	v_add_u32_e32 v30, v45, v40
	v_ashrrev_i32_e32 v31, 31, v30
	v_lshlrev_b64 v[30:31], 3, v[30:31]
	v_mov_b32_e32 v2, s33
	v_add_co_u32_e32 v30, vcc, s10, v30
	v_addc_co_u32_e32 v31, vcc, v2, v31, vcc
	global_load_dwordx2 v[32:33], v[18:19], off
	global_load_dwordx2 v[46:47], v[30:31], off
	v_mov_b32_e32 v2, v29
	v_xor_b32_e32 v48, 0x80000000, v22
	v_mov_b32_e32 v49, v22
	v_mov_b32_e32 v25, v24
	v_mov_b32_e32 v26, v27
	s_waitcnt vmcnt(1)
	v_pk_mul_f32 v[48:49], v[48:49], v[32:33]
	s_waitcnt vmcnt(0)
	v_pk_mul_f32 v[50:51], v[28:29], v[46:47]
	v_mul_f32_e32 v53, v2, v46
	v_sub_f32_e32 v52, v50, v51
	v_fmac_f32_e32 v53, v28, v47
	v_pk_fma_f32 v[48:49], v[24:25], v[32:33], v[48:49] op_sel:[0,0,1] op_sel_hi:[1,1,0] neg_lo:[1,0,0] neg_hi:[1,0,0]
	v_fmac_f32_e32 v52, v27, v32
	v_fmac_f32_e32 v53, v27, v33
	v_pk_fma_f32 v[48:49], v[26:27], v[46:47], v[48:49]
	global_store_dwordx2 v[18:19], v[52:53], off
	global_store_dwordx2 v[30:31], v[48:49], off
.LBB88_48:                              ;   in Loop: Header=BB88_10 Depth=1
	s_or_b64 exec, exec, s[22:23]
	s_and_b64 s[8:9], s[0:1], s[6:7]
	s_barrier
	s_and_saveexec_b64 s[6:7], s[8:9]
	s_cbranch_execz .LBB88_9
; %bb.49:                               ;   in Loop: Header=BB88_10 Depth=1
	v_mad_u64_u32 v[30:31], s[8:9], v45, s11, v[4:5]
	v_ashrrev_i32_e32 v31, 31, v30
	v_lshlrev_b64 v[30:31], 3, v[30:31]
	v_mov_b32_e32 v2, s33
	v_add_co_u32_e32 v30, vcc, s10, v30
	s_mov_b32 s19, s18
	v_addc_co_u32_e32 v31, vcc, v2, v31, vcc
	v_pk_mov_b32 v[32:33], s[18:19], s[18:19] op_sel:[0,1]
	global_store_dwordx2 v[30:31], v[32:33], off
	v_add_u32_e32 v30, v45, v35
	v_ashrrev_i32_e32 v31, 31, v30
	v_lshlrev_b64 v[30:31], 3, v[30:31]
	v_add_co_u32_e32 v30, vcc, s10, v30
	v_addc_co_u32_e32 v31, vcc, v2, v31, vcc
	global_store_dwordx2 v[30:31], v[32:33], off
	s_branch .LBB88_9
.LBB88_50:                              ;   in Loop: Header=BB88_10 Depth=1
                                        ; implicit-def: $vgpr31
                                        ; implicit-def: $vgpr24_vgpr25
	v_mov_b32_e32 v30, v28
	s_branch .LBB88_41
.LBB88_51:
	s_endpgm
	.section	.rodata,"a",@progbits
	.p2align	6, 0x0
	.amdhsa_kernel _ZN9rocsolver6v33100L21syevj_offd_kernel_orgI19rocblas_complex_numIfEfPS3_EEviiT1_iilT0_PT_PiS9_S9_
		.amdhsa_group_segment_fixed_size 0
		.amdhsa_private_segment_fixed_size 0
		.amdhsa_kernarg_size 328
		.amdhsa_user_sgpr_count 6
		.amdhsa_user_sgpr_private_segment_buffer 1
		.amdhsa_user_sgpr_dispatch_ptr 0
		.amdhsa_user_sgpr_queue_ptr 0
		.amdhsa_user_sgpr_kernarg_segment_ptr 1
		.amdhsa_user_sgpr_dispatch_id 0
		.amdhsa_user_sgpr_flat_scratch_init 0
		.amdhsa_user_sgpr_kernarg_preload_length 0
		.amdhsa_user_sgpr_kernarg_preload_offset 0
		.amdhsa_user_sgpr_private_segment_size 0
		.amdhsa_uses_dynamic_stack 0
		.amdhsa_system_sgpr_private_segment_wavefront_offset 0
		.amdhsa_system_sgpr_workgroup_id_x 1
		.amdhsa_system_sgpr_workgroup_id_y 0
		.amdhsa_system_sgpr_workgroup_id_z 1
		.amdhsa_system_sgpr_workgroup_info 0
		.amdhsa_system_vgpr_workitem_id 1
		.amdhsa_next_free_vgpr 56
		.amdhsa_next_free_sgpr 38
		.amdhsa_accum_offset 56
		.amdhsa_reserve_vcc 1
		.amdhsa_reserve_flat_scratch 0
		.amdhsa_float_round_mode_32 0
		.amdhsa_float_round_mode_16_64 0
		.amdhsa_float_denorm_mode_32 3
		.amdhsa_float_denorm_mode_16_64 3
		.amdhsa_dx10_clamp 1
		.amdhsa_ieee_mode 1
		.amdhsa_fp16_overflow 0
		.amdhsa_tg_split 0
		.amdhsa_exception_fp_ieee_invalid_op 0
		.amdhsa_exception_fp_denorm_src 0
		.amdhsa_exception_fp_ieee_div_zero 0
		.amdhsa_exception_fp_ieee_overflow 0
		.amdhsa_exception_fp_ieee_underflow 0
		.amdhsa_exception_fp_ieee_inexact 0
		.amdhsa_exception_int_div_zero 0
	.end_amdhsa_kernel
	.section	.text._ZN9rocsolver6v33100L21syevj_offd_kernel_orgI19rocblas_complex_numIfEfPS3_EEviiT1_iilT0_PT_PiS9_S9_,"axG",@progbits,_ZN9rocsolver6v33100L21syevj_offd_kernel_orgI19rocblas_complex_numIfEfPS3_EEviiT1_iilT0_PT_PiS9_S9_,comdat
.Lfunc_end88:
	.size	_ZN9rocsolver6v33100L21syevj_offd_kernel_orgI19rocblas_complex_numIfEfPS3_EEviiT1_iilT0_PT_PiS9_S9_, .Lfunc_end88-_ZN9rocsolver6v33100L21syevj_offd_kernel_orgI19rocblas_complex_numIfEfPS3_EEviiT1_iilT0_PT_PiS9_S9_
                                        ; -- End function
	.section	.AMDGPU.csdata,"",@progbits
; Kernel info:
; codeLenInByte = 3816
; NumSgprs: 42
; NumVgprs: 56
; NumAgprs: 0
; TotalNumVgprs: 56
; ScratchSize: 0
; MemoryBound: 0
; FloatMode: 240
; IeeeMode: 1
; LDSByteSize: 0 bytes/workgroup (compile time only)
; SGPRBlocks: 5
; VGPRBlocks: 6
; NumSGPRsForWavesPerEU: 42
; NumVGPRsForWavesPerEU: 56
; AccumOffset: 56
; Occupancy: 8
; WaveLimiterHint : 0
; COMPUTE_PGM_RSRC2:SCRATCH_EN: 0
; COMPUTE_PGM_RSRC2:USER_SGPR: 6
; COMPUTE_PGM_RSRC2:TRAP_HANDLER: 0
; COMPUTE_PGM_RSRC2:TGID_X_EN: 1
; COMPUTE_PGM_RSRC2:TGID_Y_EN: 0
; COMPUTE_PGM_RSRC2:TGID_Z_EN: 1
; COMPUTE_PGM_RSRC2:TIDIG_COMP_CNT: 1
; COMPUTE_PGM_RSRC3_GFX90A:ACCUM_OFFSET: 13
; COMPUTE_PGM_RSRC3_GFX90A:TG_SPLIT: 0
	.section	.text._ZN9rocsolver6v33100L17syevj_offd_kernelI19rocblas_complex_numIfEfPS3_EEviiT1_iilT0_PT_PiS9_S9_i,"axG",@progbits,_ZN9rocsolver6v33100L17syevj_offd_kernelI19rocblas_complex_numIfEfPS3_EEviiT1_iilT0_PT_PiS9_S9_i,comdat
	.globl	_ZN9rocsolver6v33100L17syevj_offd_kernelI19rocblas_complex_numIfEfPS3_EEviiT1_iilT0_PT_PiS9_S9_i ; -- Begin function _ZN9rocsolver6v33100L17syevj_offd_kernelI19rocblas_complex_numIfEfPS3_EEviiT1_iilT0_PT_PiS9_S9_i
	.p2align	8
	.type	_ZN9rocsolver6v33100L17syevj_offd_kernelI19rocblas_complex_numIfEfPS3_EEviiT1_iilT0_PT_PiS9_S9_i,@function
_ZN9rocsolver6v33100L17syevj_offd_kernelI19rocblas_complex_numIfEfPS3_EEviiT1_iilT0_PT_PiS9_S9_i: ; @_ZN9rocsolver6v33100L17syevj_offd_kernelI19rocblas_complex_numIfEfPS3_EEviiT1_iilT0_PT_PiS9_S9_i
; %bb.0:
	s_mov_b32 s20, s7
	s_load_dwordx2 s[22:23], s[4:5], 0x0
	s_load_dword s7, s[4:5], 0x48
	s_waitcnt lgkmcnt(0)
	s_abs_i32 s0, s22
	v_cvt_f32_u32_e32 v1, s0
	s_cmp_ge_u32 s20, s7
	v_rcp_iflag_f32_e32 v1, v1
	v_mul_f32_e32 v1, 0x4f7ffffe, v1
	v_cvt_u32_f32_e32 v1, v1
	v_readfirstlane_b32 s1, v1
	s_cbranch_scc1 .LBB89_94
; %bb.1:
	s_sub_i32 s8, 0, s0
	s_mul_i32 s8, s8, s1
	s_add_i32 s2, s23, -1
	s_mul_hi_u32 s8, s1, s8
	s_ashr_i32 s3, s2, 31
	s_abs_i32 s2, s2
	s_add_i32 s1, s1, s8
	s_ashr_i32 s21, s22, 31
	s_mul_hi_u32 s1, s2, s1
	s_xor_b32 s3, s3, s21
	s_mul_i32 s21, s1, s0
	s_sub_i32 s2, s2, s21
	s_add_i32 s21, s1, 1
	s_sub_i32 s28, s2, s0
	s_cmp_ge_u32 s2, s0
	s_cselect_b32 s1, s21, s1
	s_cselect_b32 s2, s28, s2
	s_add_i32 s21, s1, 1
	s_cmp_ge_u32 s2, s0
	s_cselect_b32 s0, s21, s1
	s_xor_b32 s0, s0, s3
	s_sub_i32 s33, s0, s3
	s_add_i32 s0, s33, 1
	s_lshr_b32 s1, s0, 31
	s_add_i32 s1, s0, s1
	s_and_b32 s1, s1, -2
	s_sub_i32 s1, s0, s1
	s_add_i32 s0, s1, s0
	s_load_dwordx4 s[8:11], s[4:5], 0x8
	s_load_dwordx2 s[26:27], s[4:5], 0x18
	s_load_dword s25, s[4:5], 0x20
	s_load_dwordx8 s[12:19], s[4:5], 0x28
	s_lshr_b32 s1, s0, 31
	s_load_dword s62, s[4:5], 0x50
	s_load_dwordx2 s[28:29], s[4:5], 0x58
	s_add_i32 s0, s0, s1
	s_lshl_b32 s68, s22, 2
	s_ashr_i32 s63, s0, 1
	s_add_i32 s21, s68, 0
	s_lshl_b32 s0, s22, 3
	s_add_i32 s65, s21, s0
	s_mov_b64 s[0:1], src_shared_base
	s_lshl_b32 s67, s22, 1
	s_mov_b32 s66, s1
	s_mul_hi_i32 s1, s67, s67
	s_mul_i32 s0, s67, s67
	s_waitcnt lgkmcnt(0)
	s_lshr_b32 s64, s29, 16
	s_and_b32 s29, s29, 0xffff
	s_mul_i32 s3, s22, 12
	s_lshl_b64 s[0:1], s[0:1], 3
	v_and_b32_e32 v14, 0x3ff, v0
	v_bfe_u32 v15, v0, 10, 10
	s_mul_hi_i32 s2, s22, 12
	s_add_u32 s0, s0, s3
	v_mov_b32_e32 v0, 0x10000
	s_addc_u32 s1, s1, s2
	v_mov_b32_e32 v1, 0
	s_ashr_i32 s39, s10, 31
	v_cmp_gt_u64_e64 s[0:1], s[0:1], v[0:1]
	s_cmp_lt_u32 s6, s63
	s_mul_i32 s2, s33, s22
	v_mov_b32_e32 v0, 0x800000
	s_cselect_b64 s[30:31], -1, 0
	s_sub_i32 s69, s23, s2
	v_div_scale_f32 v1, s[2:3], s25, s25, v0
	v_rcp_f32_e32 v2, v1
	s_mov_b32 s2, 0x800000
	s_cmp_lg_u64 s[12:13], 0
	s_cselect_b64 s[34:35], -1, 0
	v_fma_f32 v3, -v1, v2, 1.0
	v_fmac_f32_e32 v2, v3, v2
	v_mov_b32_e32 v3, s25
	v_div_scale_f32 v3, vcc, s2, v3, s2
	v_mul_f32_e32 v4, v3, v2
	v_fma_f32 v5, -v1, v4, v3
	v_fmac_f32_e32 v4, v5, v2
	v_fma_f32 v1, -v1, v4, v3
	v_div_fmas_f32 v1, v1, v2, v4
	v_div_fixup_f32 v16, v1, s25, v0
	v_cvt_f32_u32_e32 v0, s22
	s_cmp_gt_i32 s22, 0
	s_cselect_b64 s[36:37], -1, 0
	s_ashr_i32 s70, s11, 31
	v_rcp_iflag_f32_e32 v0, v0
	s_mov_b32 s38, s10
	s_add_u32 s72, s18, 4
	s_mov_b32 s71, s11
	v_mul_f32_e32 v0, 0x4f7ffffe, v0
	v_cvt_u32_f32_e32 v0, v0
	s_addc_u32 s73, s19, 0
	s_lshl_b64 s[10:11], s[38:39], 3
	s_add_u32 s74, s8, s10
	s_addc_u32 s75, s9, s11
	s_sub_i32 s76, 0, s22
	v_mul_lo_u32 v1, s76, v0
	v_mul_hi_u32 v1, v0, v1
	v_add_u32_e32 v17, v0, v1
	v_mul_lo_u32 v0, v15, s22
	v_lshlrev_b32_e32 v18, 1, v0
	v_add_u32_e32 v0, s22, v15
	s_mul_i32 s8, s22, s64
	v_mul_lo_u32 v0, s22, v0
	s_mov_b32 s24, 0
	s_mul_i32 s68, s68, s22
	v_cmp_gt_u32_e64 s[2:3], s22, v15
	v_cmp_gt_u32_e64 s[4:5], s22, v14
	v_mov_b32_e32 v1, 0
	s_lshl_b32 s77, s8, 1
	v_lshl_add_u32 v19, v14, 2, 0
	s_lshl_b32 s78, s29, 2
	v_lshl_add_u32 v20, v14, 3, s21
	s_lshl_b32 s79, s29, 3
	v_add_u32_e32 v21, v14, v18
	v_lshl_add_u32 v22, v0, 1, v14
	s_mov_b32 s80, 0xf800000
	v_mov_b32_e32 v23, 0x260
	s_mov_b32 s81, 0x7f800000
	v_mov_b32_e32 v24, 0x7f800000
	v_mov_b32_e32 v25, 0xff800000
	s_branch .LBB89_3
.LBB89_2:                               ;   in Loop: Header=BB89_3 Depth=1
	s_add_i32 s20, s20, s28
	s_cmp_ge_u32 s20, s7
	s_cbranch_scc1 .LBB89_94
.LBB89_3:                               ; =>This Loop Header: Depth=1
                                        ;     Child Loop BB89_8 Depth 2
                                        ;       Child Loop BB89_16 Depth 3
                                        ;         Child Loop BB89_18 Depth 4
                                        ;       Child Loop BB89_23 Depth 3
                                        ;         Child Loop BB89_26 Depth 4
                                        ;           Child Loop BB89_31 Depth 5
                                        ;         Child Loop BB89_58 Depth 4
                                        ;           Child Loop BB89_61 Depth 5
	;; [unrolled: 2-line block ×4, first 2 shown]
                                        ;       Child Loop BB89_91 Depth 3
                                        ;         Child Loop BB89_93 Depth 4
	s_mov_b32 s21, s24
	s_lshl_b64 s[8:9], s[20:21], 2
	s_add_u32 s8, s72, s8
	s_addc_u32 s9, s73, s9
	global_load_dword v0, v1, s[8:9]
	s_waitcnt vmcnt(0)
	v_cmp_ne_u32_e32 vcc, 0, v0
	s_cbranch_vccnz .LBB89_2
; %bb.4:                                ;   in Loop: Header=BB89_3 Depth=1
	s_andn2_b64 vcc, exec, s[30:31]
	s_cbranch_vccnz .LBB89_2
; %bb.5:                                ;   in Loop: Header=BB89_3 Depth=1
	s_mul_i32 s8, s20, s27
	s_mul_hi_u32 s9, s20, s26
	s_add_i32 s9, s9, s8
	s_mul_i32 s8, s20, s26
	s_lshl_b64 s[8:9], s[8:9], 3
	s_add_u32 s21, s74, s8
	s_addc_u32 s82, s75, s9
	s_mul_i32 s83, s20, s63
	s_mov_b32 s18, s6
	s_branch .LBB89_8
.LBB89_6:                               ;   in Loop: Header=BB89_8 Depth=2
	s_or_b64 exec, exec, s[40:41]
	s_waitcnt lgkmcnt(0)
	s_barrier
.LBB89_7:                               ;   in Loop: Header=BB89_8 Depth=2
	s_add_i32 s18, s18, s62
	s_cmp_lt_u32 s18, s63
	s_cbranch_scc0 .LBB89_2
.LBB89_8:                               ;   Parent Loop BB89_3 Depth=1
                                        ; =>  This Loop Header: Depth=2
                                        ;       Child Loop BB89_16 Depth 3
                                        ;         Child Loop BB89_18 Depth 4
                                        ;       Child Loop BB89_23 Depth 3
                                        ;         Child Loop BB89_26 Depth 4
                                        ;           Child Loop BB89_31 Depth 5
                                        ;         Child Loop BB89_58 Depth 4
                                        ;           Child Loop BB89_61 Depth 5
	;; [unrolled: 2-line block ×4, first 2 shown]
                                        ;       Child Loop BB89_91 Depth 3
                                        ;         Child Loop BB89_93 Depth 4
	s_mov_b32 s19, s24
	s_lshl_b64 s[8:9], s[18:19], 2
	s_add_u32 s10, s14, s8
	s_addc_u32 s11, s15, s9
	s_add_u32 s8, s16, s8
	s_addc_u32 s9, s17, s9
	global_load_dword v0, v1, s[10:11]
	global_load_dword v2, v1, s[8:9]
	s_waitcnt vmcnt(0)
	v_readfirstlane_b32 s8, v0
	s_waitcnt vmcnt(0)
	v_readfirstlane_b32 s9, v2
	s_max_i32 s85, s8, s9
	s_cmp_gt_i32 s85, s33
	s_cbranch_scc1 .LBB89_7
; %bb.9:                                ;   in Loop: Header=BB89_8 Depth=2
	s_andn2_b64 vcc, exec, s[34:35]
	s_cbranch_vccnz .LBB89_11
; %bb.10:                               ;   in Loop: Header=BB89_8 Depth=2
	s_add_i32 s8, s18, s83
	s_mul_i32 s8, s68, s8
	s_mov_b32 s9, s24
	s_lshl_b64 s[8:9], s[8:9], 3
	s_add_u32 s38, s12, s8
	s_addc_u32 s39, s13, s9
	s_branch .LBB89_12
.LBB89_11:                              ;   in Loop: Header=BB89_8 Depth=2
	s_mov_b64 s[38:39], 0
.LBB89_12:                              ;   in Loop: Header=BB89_8 Depth=2
	v_min_i32_e32 v2, v2, v0
	v_mov_b32_e32 v0, s22
	v_mov_b32_e32 v3, s69
	v_cmp_eq_u32_e32 vcc, s33, v2
	s_cmp_eq_u32 s33, s85
	v_cndmask_b32_e32 v0, v0, v3, vcc
	s_cselect_b32 s8, s69, s22
	v_add_u32_e32 v26, s8, v0
	s_and_b64 s[8:9], s[0:1], exec
	s_cselect_b32 s19, s39, s66
	s_cselect_b32 s84, s38, s65
	s_cmp_eq_u64 s[38:39], 0
	s_cselect_b64 s[40:41], -1, 0
	s_cmp_lg_u64 s[38:39], 0
	s_cselect_b64 s[42:43], -1, 0
	s_and_b64 vcc, exec, s[40:41]
	s_cbranch_vccnz .LBB89_20
; %bb.13:                               ;   in Loop: Header=BB89_8 Depth=2
	v_cmp_lt_u32_e32 vcc, v15, v26
	s_barrier
	s_and_saveexec_b64 s[44:45], vcc
	s_cbranch_execz .LBB89_19
; %bb.14:                               ;   in Loop: Header=BB89_8 Depth=2
	v_cmp_lt_u32_e32 vcc, v14, v26
	s_mov_b64 s[46:47], 0
	v_mov_b32_e32 v3, v18
	v_mov_b32_e32 v4, v15
	s_branch .LBB89_16
.LBB89_15:                              ;   in Loop: Header=BB89_16 Depth=3
	s_or_b64 exec, exec, s[48:49]
	v_add_u32_e32 v4, s64, v4
	v_cmp_ge_u32_e64 s[8:9], v4, v26
	s_or_b64 s[46:47], s[8:9], s[46:47]
	v_add_u32_e32 v3, s77, v3
	s_andn2_b64 exec, exec, s[46:47]
	s_cbranch_execz .LBB89_19
.LBB89_16:                              ;   Parent Loop BB89_3 Depth=1
                                        ;     Parent Loop BB89_8 Depth=2
                                        ; =>    This Loop Header: Depth=3
                                        ;         Child Loop BB89_18 Depth 4
	s_and_saveexec_b64 s[48:49], vcc
	s_cbranch_execz .LBB89_15
; %bb.17:                               ;   in Loop: Header=BB89_16 Depth=3
	s_mov_b64 s[50:51], 0
	v_mov_b32_e32 v5, v14
.LBB89_18:                              ;   Parent Loop BB89_3 Depth=1
                                        ;     Parent Loop BB89_8 Depth=2
                                        ;       Parent Loop BB89_16 Depth=3
                                        ; =>      This Inner Loop Header: Depth=4
	v_add_u32_e32 v0, v3, v5
	v_cmp_eq_u32_e64 s[8:9], v4, v5
	v_add_u32_e32 v5, s29, v5
	v_lshlrev_b64 v[8:9], 3, v[0:1]
	v_cndmask_b32_e64 v6, 0, 1.0, s[8:9]
	v_mov_b32_e32 v10, s19
	v_cmp_ge_u32_e64 s[8:9], v5, v26
	v_add_co_u32_e64 v8, s[10:11], s84, v8
	v_mov_b32_e32 v7, v1
	v_addc_co_u32_e64 v9, s[10:11], v10, v9, s[10:11]
	s_or_b64 s[50:51], s[8:9], s[50:51]
	flat_store_dwordx2 v[8:9], v[6:7]
	s_andn2_b64 exec, exec, s[50:51]
	s_cbranch_execnz .LBB89_18
	s_branch .LBB89_15
.LBB89_19:                              ;   in Loop: Header=BB89_8 Depth=2
	s_or_b64 exec, exec, s[44:45]
	s_waitcnt lgkmcnt(0)
	s_barrier
.LBB89_20:                              ;   in Loop: Header=BB89_8 Depth=2
	s_andn2_b64 vcc, exec, s[36:37]
	s_cbranch_vccnz .LBB89_87
; %bb.21:                               ;   in Loop: Header=BB89_8 Depth=2
	v_mul_lo_u32 v27, v2, s22
	s_mul_i32 s85, s85, s22
	v_add_u32_e32 v28, v14, v27
	s_mov_b32 s86, 0
	v_mov_b32_e32 v29, v14
	s_branch .LBB89_23
.LBB89_22:                              ;   in Loop: Header=BB89_23 Depth=3
	s_or_b64 exec, exec, s[10:11]
	s_add_i32 s86, s86, 1
	s_cmp_eq_u32 s86, s22
	v_add_u32_e32 v29, 1, v29
	s_cbranch_scc1 .LBB89_87
.LBB89_23:                              ;   Parent Loop BB89_3 Depth=1
                                        ;     Parent Loop BB89_8 Depth=2
                                        ; =>    This Loop Header: Depth=3
                                        ;         Child Loop BB89_26 Depth 4
                                        ;           Child Loop BB89_31 Depth 5
                                        ;         Child Loop BB89_58 Depth 4
                                        ;           Child Loop BB89_61 Depth 5
	;; [unrolled: 2-line block ×4, first 2 shown]
	s_and_saveexec_b64 s[44:45], s[2:3]
	s_cbranch_execz .LBB89_55
; %bb.24:                               ;   in Loop: Header=BB89_23 Depth=3
	s_mov_b64 s[46:47], 0
	v_mov_b32_e32 v10, v15
	s_branch .LBB89_26
.LBB89_25:                              ;   in Loop: Header=BB89_26 Depth=4
	s_or_b64 exec, exec, s[48:49]
	v_add_u32_e32 v10, s64, v10
	v_cmp_le_u32_e32 vcc, s22, v10
	s_or_b64 s[46:47], vcc, s[46:47]
	s_andn2_b64 exec, exec, s[46:47]
	s_cbranch_execz .LBB89_55
.LBB89_26:                              ;   Parent Loop BB89_3 Depth=1
                                        ;     Parent Loop BB89_8 Depth=2
                                        ;       Parent Loop BB89_23 Depth=3
                                        ; =>      This Loop Header: Depth=4
                                        ;           Child Loop BB89_31 Depth 5
	s_and_saveexec_b64 s[48:49], s[4:5]
	s_cbranch_execz .LBB89_25
; %bb.27:                               ;   in Loop: Header=BB89_26 Depth=4
	v_cmp_eq_u32_e64 s[8:9], 0, v10
	s_mov_b64 s[50:51], 0
	v_mov_b32_e32 v11, v20
	v_mov_b32_e32 v12, v19
	;; [unrolled: 1-line block ×4, first 2 shown]
	s_branch .LBB89_31
.LBB89_28:                              ;   in Loop: Header=BB89_31 Depth=5
	s_or_b64 exec, exec, s[10:11]
.LBB89_29:                              ;   in Loop: Header=BB89_31 Depth=5
	s_or_b64 exec, exec, s[54:55]
	ds_write_b32 v12, v32
	ds_write2_b32 v11, v8, v9 offset1:1
.LBB89_30:                              ;   in Loop: Header=BB89_31 Depth=5
	s_or_b64 exec, exec, s[52:53]
	v_add_u32_e32 v30, s29, v30
	v_cmp_le_u32_e32 vcc, s22, v30
	v_add_u32_e32 v13, s29, v13
	v_add_u32_e32 v12, s78, v12
	s_or_b64 s[50:51], vcc, s[50:51]
	v_add_u32_e32 v11, s79, v11
	s_andn2_b64 exec, exec, s[50:51]
	s_cbranch_execz .LBB89_25
.LBB89_31:                              ;   Parent Loop BB89_3 Depth=1
                                        ;     Parent Loop BB89_8 Depth=2
                                        ;       Parent Loop BB89_23 Depth=3
                                        ;         Parent Loop BB89_26 Depth=4
                                        ; =>        This Inner Loop Header: Depth=5
	v_mul_hi_u32 v3, v17, v13
	v_add_u32_e32 v2, s86, v30
	v_not_b32_e32 v6, v3
	v_mad_u64_u32 v[4:5], s[10:11], s76, v3, v[2:3]
	v_mad_u64_u32 v[2:3], s[10:11], s22, v6, v[2:3]
	v_cmp_le_u32_e32 vcc, s22, v4
	v_cndmask_b32_e32 v2, v4, v2, vcc
	v_subrev_u32_e32 v3, s22, v2
	v_cmp_le_u32_e32 vcc, s22, v2
	v_add_u32_e32 v0, v27, v30
	v_cndmask_b32_e32 v2, v2, v3, vcc
	v_add_u32_e32 v4, s85, v2
	v_cmp_gt_u32_e32 vcc, s23, v0
	s_and_b64 s[10:11], s[8:9], vcc
	v_cmp_gt_u32_e32 vcc, s23, v4
	s_and_b64 s[10:11], s[10:11], vcc
	s_and_saveexec_b64 s[52:53], s[10:11]
	s_cbranch_execz .LBB89_30
; %bb.32:                               ;   in Loop: Header=BB89_31 Depth=5
	v_mad_u64_u32 v[2:3], s[10:11], v4, s71, 0
	v_mov_b32_e32 v6, v3
	v_mad_u64_u32 v[6:7], s[10:11], v4, s70, v[6:7]
	v_mov_b32_e32 v3, v6
	v_lshlrev_b64 v[2:3], 3, v[2:3]
	v_mov_b32_e32 v5, s82
	v_add_co_u32_e32 v33, vcc, s21, v2
	v_addc_co_u32_e32 v34, vcc, v5, v3, vcc
	v_lshlrev_b64 v[6:7], 3, v[0:1]
	v_add_co_u32_e32 v2, vcc, v33, v6
	v_addc_co_u32_e32 v3, vcc, v34, v7, vcc
	global_load_dwordx2 v[2:3], v[2:3], off
                                        ; implicit-def: $vgpr31
	s_waitcnt vmcnt(0)
	v_cmp_gt_f32_e32 vcc, 0, v2
	v_cndmask_b32_e64 v5, v2, -v2, vcc
	v_cmp_gt_f32_e32 vcc, 0, v3
	v_cndmask_b32_e64 v8, v3, -v3, vcc
	v_cmp_ngt_f32_e32 vcc, v5, v8
	s_and_saveexec_b64 s[10:11], vcc
	s_xor_b64 s[54:55], exec, s[10:11]
	s_cbranch_execz .LBB89_36
; %bb.33:                               ;   in Loop: Header=BB89_31 Depth=5
	v_cmp_neq_f32_e32 vcc, 0, v3
	v_mov_b32_e32 v31, 0
	s_and_saveexec_b64 s[56:57], vcc
	s_cbranch_execz .LBB89_35
; %bb.34:                               ;   in Loop: Header=BB89_31 Depth=5
	v_div_scale_f32 v9, s[10:11], v8, v8, v5
	v_rcp_f32_e32 v31, v9
	v_div_scale_f32 v32, vcc, v5, v8, v5
	v_fma_f32 v35, -v9, v31, 1.0
	v_fmac_f32_e32 v31, v35, v31
	v_mul_f32_e32 v35, v32, v31
	v_fma_f32 v36, -v9, v35, v32
	v_fmac_f32_e32 v35, v36, v31
	v_fma_f32 v9, -v9, v35, v32
	v_div_fmas_f32 v9, v9, v31, v35
	v_div_fixup_f32 v5, v9, v8, v5
	v_fma_f32 v5, v5, v5, 1.0
	v_mul_f32_e32 v9, 0x4f800000, v5
	v_cmp_gt_f32_e32 vcc, s80, v5
	v_cndmask_b32_e32 v5, v5, v9, vcc
	v_sqrt_f32_e32 v9, v5
	v_add_u32_e32 v31, -1, v9
	v_fma_f32 v32, -v31, v9, v5
	v_cmp_ge_f32_e64 s[10:11], 0, v32
	v_add_u32_e32 v32, 1, v9
	v_cndmask_b32_e64 v31, v9, v31, s[10:11]
	v_fma_f32 v9, -v32, v9, v5
	v_cmp_lt_f32_e64 s[10:11], 0, v9
	v_cndmask_b32_e64 v9, v31, v32, s[10:11]
	v_mul_f32_e32 v31, 0x37800000, v9
	v_cndmask_b32_e32 v9, v9, v31, vcc
	v_cmp_class_f32_e32 vcc, v5, v23
	v_cndmask_b32_e32 v5, v9, v5, vcc
	v_mul_f32_e32 v31, v8, v5
.LBB89_35:                              ;   in Loop: Header=BB89_31 Depth=5
	s_or_b64 exec, exec, s[56:57]
                                        ; implicit-def: $vgpr5
                                        ; implicit-def: $vgpr8
.LBB89_36:                              ;   in Loop: Header=BB89_31 Depth=5
	s_andn2_saveexec_b64 s[54:55], s[54:55]
	s_cbranch_execz .LBB89_38
; %bb.37:                               ;   in Loop: Header=BB89_31 Depth=5
	v_div_scale_f32 v9, s[10:11], v5, v5, v8
	v_rcp_f32_e32 v31, v9
	v_div_scale_f32 v32, vcc, v8, v5, v8
	v_fma_f32 v35, -v9, v31, 1.0
	v_fmac_f32_e32 v31, v35, v31
	v_mul_f32_e32 v35, v32, v31
	v_fma_f32 v36, -v9, v35, v32
	v_fmac_f32_e32 v35, v36, v31
	v_fma_f32 v9, -v9, v35, v32
	v_div_fmas_f32 v9, v9, v31, v35
	v_div_fixup_f32 v8, v9, v5, v8
	v_fma_f32 v8, v8, v8, 1.0
	v_mul_f32_e32 v9, 0x4f800000, v8
	v_cmp_gt_f32_e32 vcc, s80, v8
	v_cndmask_b32_e32 v8, v8, v9, vcc
	v_sqrt_f32_e32 v9, v8
	v_add_u32_e32 v31, -1, v9
	v_fma_f32 v32, -v31, v9, v8
	v_cmp_ge_f32_e64 s[10:11], 0, v32
	v_add_u32_e32 v32, 1, v9
	v_cndmask_b32_e64 v31, v9, v31, s[10:11]
	v_fma_f32 v9, -v32, v9, v8
	v_cmp_lt_f32_e64 s[10:11], 0, v9
	v_cndmask_b32_e64 v9, v31, v32, s[10:11]
	v_mul_f32_e32 v31, 0x37800000, v9
	v_cndmask_b32_e32 v9, v9, v31, vcc
	v_cmp_class_f32_e32 vcc, v8, v23
	v_cndmask_b32_e32 v8, v9, v8, vcc
	v_mul_f32_e32 v31, v5, v8
.LBB89_38:                              ;   in Loop: Header=BB89_31 Depth=5
	s_or_b64 exec, exec, s[54:55]
	v_mul_f32_e32 v5, v31, v31
	v_cmp_nlt_f32_e32 vcc, v5, v16
	v_mov_b32_e32 v9, 0
	v_mov_b32_e32 v32, 1.0
	v_mov_b32_e32 v8, 0
	s_and_saveexec_b64 s[54:55], vcc
	s_cbranch_execz .LBB89_29
; %bb.39:                               ;   in Loop: Header=BB89_31 Depth=5
	v_mov_b32_e32 v5, v1
	v_mad_u64_u32 v[8:9], s[10:11], v0, s71, 0
	v_lshlrev_b64 v[4:5], 3, v[4:5]
	v_mov_b32_e32 v32, v9
	v_add_co_u32_e32 v4, vcc, v33, v4
	v_mad_u64_u32 v[32:33], s[10:11], v0, s70, v[32:33]
	v_mov_b32_e32 v9, v32
	v_addc_co_u32_e32 v5, vcc, v34, v5, vcc
	v_lshlrev_b64 v[8:9], 3, v[8:9]
	v_mov_b32_e32 v0, s82
	v_add_co_u32_e32 v8, vcc, s21, v8
	v_addc_co_u32_e32 v0, vcc, v0, v9, vcc
	v_add_co_u32_e32 v6, vcc, v8, v6
	v_addc_co_u32_e32 v7, vcc, v0, v7, vcc
	global_load_dword v0, v[4:5], off
	s_nop 0
	global_load_dword v5, v[6:7], off
	v_add_f32_e32 v4, v31, v31
	s_waitcnt vmcnt(0)
	v_sub_f32_e32 v5, v0, v5
	v_max_f32_e64 v0, |v5|, |v4|
	v_cvt_f64_f32_e32 v[6:7], v0
	v_frexp_exp_i32_f64_e32 v7, v[6:7]
	v_sub_u32_e32 v6, 0, v7
	v_ldexp_f32 v8, |v5|, v6
	v_ldexp_f32 v6, |v4|, v6
	v_mul_f32_e32 v6, v6, v6
	v_fmac_f32_e32 v6, v8, v8
	v_sqrt_f32_e32 v8, v6
	v_cmp_ngt_f32_e32 vcc, 0, v5
                                        ; implicit-def: $vgpr6
	s_and_saveexec_b64 s[10:11], vcc
	s_xor_b64 s[10:11], exec, s[10:11]
; %bb.40:                               ;   in Loop: Header=BB89_31 Depth=5
	v_ldexp_f32 v6, v8, v7
	v_cmp_neq_f32_e32 vcc, s81, v0
	v_cndmask_b32_e32 v6, v24, v6, vcc
                                        ; implicit-def: $vgpr8
                                        ; implicit-def: $vgpr7
                                        ; implicit-def: $vgpr0
; %bb.41:                               ;   in Loop: Header=BB89_31 Depth=5
	s_andn2_saveexec_b64 s[10:11], s[10:11]
; %bb.42:                               ;   in Loop: Header=BB89_31 Depth=5
	v_ldexp_f32 v6, -v8, v7
	v_cmp_neq_f32_e32 vcc, s81, v0
	v_cndmask_b32_e32 v6, v25, v6, vcc
; %bb.43:                               ;   in Loop: Header=BB89_31 Depth=5
	s_or_b64 exec, exec, s[10:11]
	v_cmp_neq_f32_e32 vcc, 0, v4
	v_mov_b32_e32 v0, 0
	v_mov_b32_e32 v32, 1.0
	s_and_saveexec_b64 s[56:57], vcc
	s_cbranch_execz .LBB89_51
; %bb.44:                               ;   in Loop: Header=BB89_31 Depth=5
	v_add_f32_e32 v5, v5, v6
	v_cmp_neq_f32_e32 vcc, 0, v5
	v_mov_b32_e32 v32, 0
	v_mov_b32_e32 v0, 1.0
	s_and_saveexec_b64 s[58:59], vcc
	s_cbranch_execz .LBB89_50
; %bb.45:                               ;   in Loop: Header=BB89_31 Depth=5
	v_cmp_ngt_f32_e64 s[10:11], |v4|, |v5|
                                        ; implicit-def: $vgpr32
                                        ; implicit-def: $vgpr0
	s_and_saveexec_b64 s[60:61], s[10:11]
	s_xor_b64 s[60:61], exec, s[60:61]
	s_cbranch_execz .LBB89_47
; %bb.46:                               ;   in Loop: Header=BB89_31 Depth=5
	v_div_scale_f32 v0, s[10:11], v5, v5, -v4
	v_rcp_f32_e32 v6, v0
	v_div_scale_f32 v7, vcc, -v4, v5, -v4
	v_fma_f32 v8, -v0, v6, 1.0
	v_fmac_f32_e32 v6, v8, v6
	v_mul_f32_e32 v8, v7, v6
	v_fma_f32 v9, -v0, v8, v7
	v_fmac_f32_e32 v8, v9, v6
	v_fma_f32 v0, -v0, v8, v7
	v_div_fmas_f32 v0, v0, v6, v8
	v_div_fixup_f32 v0, v0, v5, -v4
	v_fma_f32 v4, v0, v0, 1.0
	v_mul_f32_e32 v5, 0x4f800000, v4
	v_cmp_gt_f32_e32 vcc, s80, v4
	v_cndmask_b32_e32 v4, v4, v5, vcc
	v_sqrt_f32_e32 v5, v4
	v_add_u32_e32 v6, -1, v5
	v_fma_f32 v7, -v6, v5, v4
	v_cmp_ge_f32_e64 s[10:11], 0, v7
	v_add_u32_e32 v7, 1, v5
	v_cndmask_b32_e64 v6, v5, v6, s[10:11]
	v_fma_f32 v5, -v7, v5, v4
	v_cmp_lt_f32_e64 s[10:11], 0, v5
	v_cndmask_b32_e64 v5, v6, v7, s[10:11]
	v_mul_f32_e32 v6, 0x37800000, v5
	v_cndmask_b32_e32 v5, v5, v6, vcc
	v_cmp_class_f32_e32 vcc, v4, v23
	v_cndmask_b32_e32 v4, v5, v4, vcc
	v_div_scale_f32 v5, s[10:11], v4, v4, 1.0
	v_rcp_f32_e32 v6, v5
	v_fma_f32 v7, -v5, v6, 1.0
	v_fmac_f32_e32 v6, v7, v6
	v_div_scale_f32 v7, vcc, 1.0, v4, 1.0
	v_mul_f32_e32 v8, v7, v6
	v_fma_f32 v9, -v5, v8, v7
	v_fmac_f32_e32 v8, v9, v6
	v_fma_f32 v5, -v5, v8, v7
	v_div_fmas_f32 v5, v5, v6, v8
	v_div_fixup_f32 v32, v5, v4, 1.0
	v_mul_f32_e32 v0, v0, v32
                                        ; implicit-def: $vgpr4
                                        ; implicit-def: $vgpr5
.LBB89_47:                              ;   in Loop: Header=BB89_31 Depth=5
	s_andn2_saveexec_b64 s[60:61], s[60:61]
	s_cbranch_execz .LBB89_49
; %bb.48:                               ;   in Loop: Header=BB89_31 Depth=5
	v_div_scale_f32 v0, s[10:11], v4, v4, -v5
	v_rcp_f32_e32 v6, v0
	v_div_scale_f32 v7, vcc, -v5, v4, -v5
	v_fma_f32 v8, -v0, v6, 1.0
	v_fmac_f32_e32 v6, v8, v6
	v_mul_f32_e32 v8, v7, v6
	v_fma_f32 v9, -v0, v8, v7
	v_fmac_f32_e32 v8, v9, v6
	v_fma_f32 v0, -v0, v8, v7
	v_div_fmas_f32 v0, v0, v6, v8
	v_div_fixup_f32 v4, v0, v4, -v5
	v_fma_f32 v0, v4, v4, 1.0
	v_mul_f32_e32 v5, 0x4f800000, v0
	v_cmp_gt_f32_e32 vcc, s80, v0
	v_cndmask_b32_e32 v0, v0, v5, vcc
	v_sqrt_f32_e32 v5, v0
	v_add_u32_e32 v6, -1, v5
	v_fma_f32 v7, -v6, v5, v0
	v_cmp_ge_f32_e64 s[10:11], 0, v7
	v_add_u32_e32 v7, 1, v5
	v_cndmask_b32_e64 v6, v5, v6, s[10:11]
	v_fma_f32 v5, -v7, v5, v0
	v_cmp_lt_f32_e64 s[10:11], 0, v5
	v_cndmask_b32_e64 v5, v6, v7, s[10:11]
	v_mul_f32_e32 v6, 0x37800000, v5
	v_cndmask_b32_e32 v5, v5, v6, vcc
	v_cmp_class_f32_e32 vcc, v0, v23
	v_cndmask_b32_e32 v0, v5, v0, vcc
	v_div_scale_f32 v5, s[10:11], v0, v0, 1.0
	v_rcp_f32_e32 v6, v5
	v_fma_f32 v7, -v5, v6, 1.0
	v_fmac_f32_e32 v6, v7, v6
	v_div_scale_f32 v7, vcc, 1.0, v0, 1.0
	v_mul_f32_e32 v8, v7, v6
	v_fma_f32 v9, -v5, v8, v7
	v_fmac_f32_e32 v8, v9, v6
	v_fma_f32 v5, -v5, v8, v7
	v_div_fmas_f32 v5, v5, v6, v8
	v_div_fixup_f32 v0, v5, v0, 1.0
	v_mul_f32_e32 v32, v4, v0
.LBB89_49:                              ;   in Loop: Header=BB89_31 Depth=5
	s_or_b64 exec, exec, s[60:61]
.LBB89_50:                              ;   in Loop: Header=BB89_31 Depth=5
	s_or_b64 exec, exec, s[58:59]
.LBB89_51:                              ;   in Loop: Header=BB89_31 Depth=5
	s_or_b64 exec, exec, s[56:57]
	v_cmp_gt_f32_e32 vcc, 0, v31
	v_pk_mul_f32 v[4:5], v[2:3], v[0:1] op_sel_hi:[1,0]
	v_cndmask_b32_e64 v0, v31, -v31, vcc
	v_mov_b32_e32 v2, v5
	v_mov_b32_e32 v3, v4
	v_cmp_nlt_f32_e32 vcc, 0, v0
                                        ; implicit-def: $vgpr9
	s_and_saveexec_b64 s[10:11], vcc
	s_xor_b64 s[10:11], exec, s[10:11]
	s_cbranch_execz .LBB89_53
; %bb.52:                               ;   in Loop: Header=BB89_31 Depth=5
	v_div_scale_f32 v0, s[56:57], 0, 0, v31
	v_rcp_f32_e32 v6, v0
	v_div_scale_f32 v7, vcc, v31, 0, v31
	v_fma_f32 v8, -v0, v6, 1.0
	v_fmac_f32_e32 v6, v8, v6
	v_mul_f32_e32 v8, v7, v6
	v_fma_f32 v9, -v0, v8, v7
	v_fmac_f32_e32 v8, v9, v6
	v_fma_f32 v0, -v0, v8, v7
	v_div_fmas_f32 v0, v0, v6, v8
	v_div_fixup_f32 v0, v0, 0, v31
	v_fma_f32 v6, v31, v0, 0
	v_div_scale_f32 v7, s[56:57], v6, v6, 1.0
	v_rcp_f32_e32 v8, v7
	v_fma_f32 v9, -v7, v8, 1.0
	v_fmac_f32_e32 v8, v9, v8
	v_div_scale_f32 v9, vcc, 1.0, v6, 1.0
	v_mul_f32_e32 v31, v9, v8
	v_fma_f32 v33, -v7, v31, v9
	v_fmac_f32_e32 v31, v33, v8
	v_fma_f32 v7, -v7, v31, v9
	v_div_fmas_f32 v7, v7, v8, v31
	v_pk_fma_f32 v[8:9], v[0:1], v[4:5], v[2:3]
	v_pk_fma_f32 v[2:3], v[0:1], v[4:5], v[2:3] op_sel_hi:[0,1,1] neg_lo:[0,0,1] neg_hi:[0,0,1]
	v_div_fixup_f32 v6, v7, v6, 1.0
	v_mov_b32_e32 v9, v3
	v_pk_mul_f32 v[8:9], v[6:7], v[8:9] op_sel_hi:[0,1]
                                        ; implicit-def: $vgpr31
                                        ; implicit-def: $vgpr2_vgpr3
                                        ; implicit-def: $vgpr4_vgpr5
.LBB89_53:                              ;   in Loop: Header=BB89_31 Depth=5
	s_andn2_saveexec_b64 s[10:11], s[10:11]
	s_cbranch_execz .LBB89_28
; %bb.54:                               ;   in Loop: Header=BB89_31 Depth=5
	v_div_scale_f32 v0, s[56:57], v31, v31, 0
	v_rcp_f32_e32 v6, v0
	v_div_scale_f32 v7, vcc, 0, v31, 0
	v_fma_f32 v8, -v0, v6, 1.0
	v_fmac_f32_e32 v6, v8, v6
	v_mul_f32_e32 v8, v7, v6
	v_fma_f32 v9, -v0, v8, v7
	v_fmac_f32_e32 v8, v9, v6
	v_fma_f32 v0, -v0, v8, v7
	v_div_fmas_f32 v0, v0, v6, v8
	v_div_fixup_f32 v0, v0, v31, 0
	v_fmac_f32_e32 v31, 0, v0
	v_div_scale_f32 v6, s[56:57], v31, v31, 1.0
	v_rcp_f32_e32 v7, v6
	v_fma_f32 v8, -v6, v7, 1.0
	v_fmac_f32_e32 v7, v8, v7
	v_div_scale_f32 v8, vcc, 1.0, v31, 1.0
	v_mul_f32_e32 v9, v8, v7
	v_fma_f32 v33, -v6, v9, v8
	v_fmac_f32_e32 v9, v33, v7
	v_fma_f32 v6, -v6, v9, v8
	v_div_fmas_f32 v6, v6, v7, v9
	v_pk_fma_f32 v[8:9], v[0:1], v[2:3], v[4:5]
	v_pk_fma_f32 v[2:3], v[0:1], v[2:3], v[4:5] op_sel_hi:[0,1,1] neg_lo:[1,0,0] neg_hi:[1,0,0]
	v_div_fixup_f32 v6, v6, v31, 1.0
	v_mov_b32_e32 v9, v3
	v_pk_mul_f32 v[8:9], v[6:7], v[8:9] op_sel_hi:[0,1]
	s_branch .LBB89_28
.LBB89_55:                              ;   in Loop: Header=BB89_23 Depth=3
	s_or_b64 exec, exec, s[44:45]
	s_waitcnt lgkmcnt(0)
	s_barrier
	s_and_saveexec_b64 s[10:11], s[2:3]
	s_cbranch_execz .LBB89_70
; %bb.56:                               ;   in Loop: Header=BB89_23 Depth=3
	s_mov_b64 s[44:45], 0
	v_mov_b32_e32 v30, v22
	v_mov_b32_e32 v31, v21
	;; [unrolled: 1-line block ×3, first 2 shown]
	s_branch .LBB89_58
.LBB89_57:                              ;   in Loop: Header=BB89_58 Depth=4
	s_or_b64 exec, exec, s[46:47]
	v_add_u32_e32 v32, s64, v32
	v_cmp_le_u32_e32 vcc, s22, v32
	v_add_u32_e32 v31, s77, v31
	s_or_b64 s[44:45], vcc, s[44:45]
	v_add_u32_e32 v30, s77, v30
	s_andn2_b64 exec, exec, s[44:45]
	s_cbranch_execz .LBB89_70
.LBB89_58:                              ;   Parent Loop BB89_3 Depth=1
                                        ;     Parent Loop BB89_8 Depth=2
                                        ;       Parent Loop BB89_23 Depth=3
                                        ; =>      This Loop Header: Depth=4
                                        ;           Child Loop BB89_61 Depth 5
	s_and_saveexec_b64 s[46:47], s[4:5]
	s_cbranch_execz .LBB89_57
; %bb.59:                               ;   in Loop: Header=BB89_58 Depth=4
	v_add_u32_e32 v0, v32, v27
	v_add_u32_e32 v4, s85, v32
	;; [unrolled: 1-line block ×3, first 2 shown]
	v_mov_b32_e32 v5, v1
	v_mul_lo_u32 v33, v32, s67
	v_cmp_gt_u32_e64 s[8:9], s23, v4
	v_mul_lo_u32 v34, v2, s67
	s_mov_b32 s25, 0
	s_mov_b64 s[48:49], 0
	v_lshlrev_b64 v[2:3], 3, v[0:1]
	v_lshlrev_b64 v[4:5], 3, v[4:5]
	v_mov_b32_e32 v35, v20
	v_mov_b32_e32 v36, v19
	;; [unrolled: 1-line block ×3, first 2 shown]
	s_branch .LBB89_61
.LBB89_60:                              ;   in Loop: Header=BB89_61 Depth=5
	s_or_b64 exec, exec, s[50:51]
	s_add_i32 s25, s25, s29
	v_add_u32_e32 v0, s25, v14
	v_cmp_le_u32_e32 vcc, s22, v0
	v_add_u32_e32 v37, s29, v37
	v_add_u32_e32 v36, s78, v36
	s_or_b64 s[48:49], vcc, s[48:49]
	v_add_u32_e32 v35, s79, v35
	s_andn2_b64 exec, exec, s[48:49]
	s_cbranch_execz .LBB89_57
.LBB89_61:                              ;   Parent Loop BB89_3 Depth=1
                                        ;     Parent Loop BB89_8 Depth=2
                                        ;       Parent Loop BB89_23 Depth=3
                                        ;         Parent Loop BB89_58 Depth=4
                                        ; =>        This Inner Loop Header: Depth=5
	v_mul_hi_u32 v0, v17, v37
	v_mul_lo_u32 v6, s22, v0
	v_sub_u32_e32 v6, s86, v6
	v_not_b32_e32 v0, v0
	v_add_u32_e32 v7, s25, v14
	v_mul_lo_u32 v0, s22, v0
	v_add_u32_e32 v6, v7, v6
	v_add3_u32 v0, s86, v0, v7
	v_cmp_le_u32_e32 vcc, s22, v6
	v_cndmask_b32_e32 v0, v6, v0, vcc
	v_subrev_u32_e32 v6, s22, v0
	v_cmp_le_u32_e32 vcc, s22, v0
	v_cndmask_b32_e32 v0, v0, v6, vcc
	v_add_u32_e32 v39, s25, v28
	v_add_u32_e32 v38, s85, v0
	v_max_u32_e32 v6, v39, v38
	v_cmp_gt_u32_e32 vcc, s23, v6
	s_and_saveexec_b64 s[50:51], vcc
	s_cbranch_execz .LBB89_60
; %bb.62:                               ;   in Loop: Header=BB89_61 Depth=5
	ds_read2_b32 v[8:9], v35 offset1:1
	ds_read_b32 v7, v36
	s_and_b64 vcc, exec, s[42:43]
	s_waitcnt lgkmcnt(0)
	v_xor_b32_e32 v10, 0x80000000, v9
	s_cbranch_vccz .LBB89_66
; %bb.63:                               ;   in Loop: Header=BB89_61 Depth=5
	v_add_u32_e32 v6, s22, v0
	v_add_u32_e32 v0, s25, v31
	v_lshlrev_b64 v[12:13], 3, v[0:1]
	v_mov_b32_e32 v0, s19
	v_add_co_u32_e32 v12, vcc, s84, v12
	v_addc_co_u32_e32 v13, vcc, v0, v13, vcc
	v_add_u32_e32 v0, v6, v33
	v_lshlrev_b64 v[40:41], 3, v[0:1]
	v_mov_b32_e32 v0, s19
	v_add_co_u32_e32 v40, vcc, s84, v40
	v_addc_co_u32_e32 v41, vcc, v0, v41, vcc
	flat_load_dwordx2 v[42:43], v[12:13]
	flat_load_dwordx2 v[44:45], v[40:41]
	v_mov_b32_e32 v0, v9
	v_mov_b32_e32 v11, v9
	;; [unrolled: 1-line block ×3, first 2 shown]
	s_waitcnt vmcnt(0) lgkmcnt(0)
	v_pk_mul_f32 v[48:49], v[0:1], v[42:43] op_sel_hi:[0,1] neg_lo:[1,0]
	v_mul_f32_e32 v50, v9, v45
	v_mul_f32_e32 v0, v9, v44
	v_fmac_f32_e32 v50, v44, v8
	v_fma_f32 v51, v45, v8, -v0
	v_pk_fma_f32 v[48:49], v[42:43], v[8:9], v[48:49] op_sel:[0,0,1] op_sel_hi:[1,0,0] neg_lo:[1,0,0] neg_hi:[1,0,0]
	v_fmac_f32_e32 v50, v7, v42
	v_fmac_f32_e32 v51, v7, v43
	v_pk_fma_f32 v[44:45], v[46:47], v[44:45], v[48:49] op_sel_hi:[0,1,1]
	flat_store_dwordx2 v[12:13], v[50:51]
	flat_store_dwordx2 v[40:41], v[44:45]
	s_and_saveexec_b64 s[52:53], s[8:9]
	s_cbranch_execz .LBB89_65
; %bb.64:                               ;   in Loop: Header=BB89_61 Depth=5
	v_add_u32_e32 v0, s25, v30
	v_lshlrev_b64 v[12:13], 3, v[0:1]
	v_mov_b32_e32 v0, s19
	v_add_co_u32_e32 v12, vcc, s84, v12
	v_addc_co_u32_e32 v13, vcc, v0, v13, vcc
	v_add_u32_e32 v0, v6, v34
	v_lshlrev_b64 v[40:41], 3, v[0:1]
	v_mov_b32_e32 v0, s19
	v_add_co_u32_e32 v40, vcc, s84, v40
	v_addc_co_u32_e32 v41, vcc, v0, v41, vcc
	flat_load_dwordx2 v[42:43], v[12:13]
	flat_load_dwordx2 v[44:45], v[40:41]
	v_mov_b32_e32 v46, v8
	v_mov_b32_e32 v47, v8
	v_mov_b32_e32 v6, v7
	s_waitcnt vmcnt(0) lgkmcnt(0)
	v_pk_mul_f32 v[48:49], v[10:11], v[42:43]
	v_mul_f32_e32 v50, v9, v45
	v_mul_f32_e32 v0, v9, v44
	v_fmac_f32_e32 v50, v44, v8
	v_fma_f32 v51, v45, v8, -v0
	v_pk_fma_f32 v[46:47], v[42:43], v[46:47], v[48:49] op_sel:[0,0,1] op_sel_hi:[1,1,0] neg_lo:[1,0,0] neg_hi:[1,0,0]
	v_fmac_f32_e32 v50, v7, v42
	v_fmac_f32_e32 v51, v7, v43
	v_pk_fma_f32 v[44:45], v[6:7], v[44:45], v[46:47]
	flat_store_dwordx2 v[12:13], v[50:51]
	flat_store_dwordx2 v[40:41], v[44:45]
.LBB89_65:                              ;   in Loop: Header=BB89_61 Depth=5
	s_or_b64 exec, exec, s[52:53]
	v_mov_b32_e32 v6, v7
	v_pk_mov_b32 v[12:13], v[8:9], v[8:9] op_sel:[0,1]
	s_cbranch_execz .LBB89_67
	s_branch .LBB89_68
.LBB89_66:                              ;   in Loop: Header=BB89_61 Depth=5
                                        ; implicit-def: $vgpr12_vgpr13
.LBB89_67:                              ;   in Loop: Header=BB89_61 Depth=5
	v_mov_b32_e32 v11, v9
	v_mov_b32_e32 v6, v7
	v_pk_mov_b32 v[12:13], v[8:9], v[8:9] op_sel:[0,1]
.LBB89_68:                              ;   in Loop: Header=BB89_61 Depth=5
	v_mad_u64_u32 v[40:41], s[52:53], v39, s71, 0
	v_mov_b32_e32 v0, v41
	v_mad_u64_u32 v[42:43], s[52:53], v39, s70, v[0:1]
	v_mov_b32_e32 v41, v42
	v_lshlrev_b64 v[40:41], 3, v[40:41]
	v_mov_b32_e32 v13, s82
	v_add_co_u32_e32 v0, vcc, s21, v40
	v_addc_co_u32_e32 v39, vcc, v13, v41, vcc
	v_mad_u64_u32 v[40:41], s[52:53], v38, s71, 0
	v_mov_b32_e32 v42, v41
	v_mad_u64_u32 v[42:43], s[52:53], v38, s70, v[42:43]
	v_mov_b32_e32 v41, v42
	v_lshlrev_b64 v[40:41], 3, v[40:41]
	v_add_co_u32_e32 v38, vcc, s21, v40
	v_addc_co_u32_e32 v40, vcc, v13, v41, vcc
	v_add_co_u32_e32 v42, vcc, v38, v2
	v_addc_co_u32_e32 v43, vcc, v40, v3, vcc
	v_add_co_u32_e32 v46, vcc, v0, v2
	global_load_dwordx2 v[44:45], v[42:43], off
	v_addc_co_u32_e32 v47, vcc, v39, v3, vcc
	global_load_dwordx2 v[48:49], v[46:47], off
	v_mov_b32_e32 v13, v8
	s_waitcnt vmcnt(0)
	v_mul_f32_e32 v50, v9, v45
	v_mul_f32_e32 v41, v9, v44
	v_fmac_f32_e32 v50, v44, v8
	v_pk_mul_f32 v[52:53], v[10:11], v[48:49]
	v_fma_f32 v51, v45, v8, -v41
	v_pk_fma_f32 v[52:53], v[48:49], v[12:13], v[52:53] op_sel:[0,0,1] op_sel_hi:[1,1,0] neg_lo:[1,0,0] neg_hi:[1,0,0]
	v_fmac_f32_e32 v50, v7, v48
	v_fmac_f32_e32 v51, v7, v49
	v_pk_fma_f32 v[44:45], v[6:7], v[44:45], v[52:53]
	global_store_dwordx2 v[46:47], v[50:51], off
	global_store_dwordx2 v[42:43], v[44:45], off
	s_and_b64 exec, exec, s[8:9]
	s_cbranch_execz .LBB89_60
; %bb.69:                               ;   in Loop: Header=BB89_61 Depth=5
	v_add_co_u32_e32 v42, vcc, v38, v4
	v_addc_co_u32_e32 v43, vcc, v40, v5, vcc
	v_add_co_u32_e32 v38, vcc, v0, v4
	global_load_dwordx2 v[40:41], v[42:43], off
	v_addc_co_u32_e32 v39, vcc, v39, v5, vcc
	global_load_dwordx2 v[44:45], v[38:39], off
	s_waitcnt vmcnt(0)
	v_mul_f32_e32 v46, v9, v41
	v_mul_f32_e32 v0, v9, v40
	v_fmac_f32_e32 v46, v40, v8
	v_pk_mul_f32 v[10:11], v[10:11], v[44:45]
	v_fma_f32 v47, v41, v8, -v0
	v_pk_fma_f32 v[8:9], v[44:45], v[12:13], v[10:11] op_sel:[0,0,1] op_sel_hi:[1,1,0] neg_lo:[1,0,0] neg_hi:[1,0,0]
	v_fmac_f32_e32 v46, v7, v44
	v_fmac_f32_e32 v47, v7, v45
	v_pk_fma_f32 v[6:7], v[6:7], v[40:41], v[8:9]
	global_store_dwordx2 v[38:39], v[46:47], off
	global_store_dwordx2 v[42:43], v[6:7], off
	s_branch .LBB89_60
.LBB89_70:                              ;   in Loop: Header=BB89_23 Depth=3
	s_or_b64 exec, exec, s[10:11]
	s_waitcnt lgkmcnt(0)
	s_barrier
	s_and_saveexec_b64 s[10:11], s[2:3]
	s_cbranch_execz .LBB89_79
; %bb.71:                               ;   in Loop: Header=BB89_23 Depth=3
	s_mov_b64 s[44:45], 0
	v_mov_b32_e32 v10, v15
	s_branch .LBB89_73
.LBB89_72:                              ;   in Loop: Header=BB89_73 Depth=4
	s_or_b64 exec, exec, s[46:47]
	v_add_u32_e32 v10, s64, v10
	v_cmp_le_u32_e32 vcc, s22, v10
	s_or_b64 s[44:45], vcc, s[44:45]
	s_andn2_b64 exec, exec, s[44:45]
	s_cbranch_execz .LBB89_79
.LBB89_73:                              ;   Parent Loop BB89_3 Depth=1
                                        ;     Parent Loop BB89_8 Depth=2
                                        ;       Parent Loop BB89_23 Depth=3
                                        ; =>      This Loop Header: Depth=4
                                        ;           Child Loop BB89_76 Depth 5
	s_and_saveexec_b64 s[46:47], s[4:5]
	s_cbranch_execz .LBB89_72
; %bb.74:                               ;   in Loop: Header=BB89_73 Depth=4
	v_add_u32_e32 v4, v10, v27
	v_mad_u64_u32 v[2:3], s[8:9], v4, s71, 0
	v_mov_b32_e32 v0, v3
	v_mad_u64_u32 v[4:5], s[8:9], v4, s70, v[0:1]
	v_mov_b32_e32 v3, v4
	v_lshlrev_b64 v[2:3], 3, v[2:3]
	v_add_u32_e32 v6, s85, v10
	v_mov_b32_e32 v0, s82
	v_add_co_u32_e32 v11, vcc, s21, v2
	v_addc_co_u32_e32 v12, vcc, v0, v3, vcc
	v_mad_u64_u32 v[2:3], s[8:9], v6, s71, 0
	v_mov_b32_e32 v0, v3
	v_mad_u64_u32 v[4:5], s[8:9], v6, s70, v[0:1]
	v_mov_b32_e32 v3, v4
	v_lshlrev_b64 v[2:3], 3, v[2:3]
	v_mov_b32_e32 v0, s82
	v_add_co_u32_e64 v13, s[8:9], s21, v2
	v_cmp_gt_u32_e32 vcc, s23, v6
	v_addc_co_u32_e64 v30, s[8:9], v0, v3, s[8:9]
	s_mov_b64 s[48:49], 0
	v_mov_b32_e32 v31, v20
	v_mov_b32_e32 v32, v19
	;; [unrolled: 1-line block ×4, first 2 shown]
	s_branch .LBB89_76
.LBB89_75:                              ;   in Loop: Header=BB89_76 Depth=5
	s_or_b64 exec, exec, s[50:51]
	v_add_u32_e32 v34, s29, v34
	v_cmp_le_u32_e64 s[8:9], s22, v34
	v_add_u32_e32 v33, s29, v33
	v_add_u32_e32 v32, s78, v32
	s_or_b64 s[48:49], s[8:9], s[48:49]
	v_add_u32_e32 v31, s79, v31
	s_andn2_b64 exec, exec, s[48:49]
	s_cbranch_execz .LBB89_72
.LBB89_76:                              ;   Parent Loop BB89_3 Depth=1
                                        ;     Parent Loop BB89_8 Depth=2
                                        ;       Parent Loop BB89_23 Depth=3
                                        ;         Parent Loop BB89_73 Depth=4
                                        ; =>        This Inner Loop Header: Depth=5
	v_mul_hi_u32 v3, v17, v33
	v_not_b32_e32 v6, v3
	v_add_u32_e32 v2, s86, v34
	v_mad_u64_u32 v[4:5], s[8:9], s76, v3, v[2:3]
	v_mad_u64_u32 v[2:3], s[8:9], s22, v6, v[2:3]
	v_cmp_le_u32_e64 s[8:9], s22, v4
	v_cndmask_b32_e64 v2, v4, v2, s[8:9]
	v_subrev_u32_e32 v3, s22, v2
	v_cmp_le_u32_e64 s[8:9], s22, v2
	v_cndmask_b32_e64 v2, v2, v3, s[8:9]
	v_add_u32_e32 v0, v27, v34
	v_add_u32_e32 v2, s85, v2
	v_max_u32_e32 v3, v0, v2
	v_cmp_gt_u32_e64 s[8:9], s23, v3
	s_and_saveexec_b64 s[50:51], s[8:9]
	s_cbranch_execz .LBB89_75
; %bb.77:                               ;   in Loop: Header=BB89_76 Depth=5
	v_lshlrev_b64 v[6:7], 3, v[0:1]
	v_add_co_u32_e64 v36, s[8:9], v11, v6
	v_mov_b32_e32 v3, v1
	v_addc_co_u32_e64 v37, s[8:9], v12, v7, s[8:9]
	v_lshlrev_b64 v[8:9], 3, v[2:3]
	v_add_co_u32_e64 v38, s[8:9], v11, v8
	v_addc_co_u32_e64 v39, s[8:9], v12, v9, s[8:9]
	global_load_dwordx2 v[40:41], v[36:37], off
	global_load_dwordx2 v[42:43], v[38:39], off
	ds_read2_b32 v[4:5], v31 offset1:1
	ds_read_b32 v2, v32
	s_waitcnt vmcnt(0) lgkmcnt(0)
	v_pk_mul_f32 v[44:45], v[40:41], v[4:5] op_sel:[1,0]
	v_pk_mul_f32 v[46:47], v[42:43], v[4:5]
	v_mul_f32_e32 v49, v42, v5
	v_sub_f32_e32 v48, v46, v47
	v_fmac_f32_e32 v49, v43, v4
	v_pk_fma_f32 v[44:45], v[40:41], v[4:5], v[44:45] op_sel:[0,0,1] op_sel_hi:[0,1,0] neg_lo:[0,1,1] neg_hi:[0,0,1]
	v_fmac_f32_e32 v48, v2, v40
	v_fmac_f32_e32 v49, v2, v41
	v_pk_fma_f32 v[42:43], v[2:3], v[42:43], v[44:45] op_sel_hi:[0,1,1]
	global_store_dwordx2 v[36:37], v[48:49], off
	global_store_dwordx2 v[38:39], v[42:43], off
	s_and_b64 exec, exec, vcc
	s_cbranch_execz .LBB89_75
; %bb.78:                               ;   in Loop: Header=BB89_76 Depth=5
	v_add_co_u32_e64 v8, s[8:9], v13, v8
	v_addc_co_u32_e64 v9, s[8:9], v30, v9, s[8:9]
	v_add_co_u32_e64 v6, s[8:9], v13, v6
	global_load_dwordx2 v[36:37], v[8:9], off
	v_addc_co_u32_e64 v7, s[8:9], v30, v7, s[8:9]
	global_load_dwordx2 v[38:39], v[6:7], off
	v_mov_b32_e32 v0, v5
	v_xor_b32_e32 v40, 0x80000000, v4
	v_mov_b32_e32 v41, v5
	v_mov_b32_e32 v3, v2
	s_waitcnt vmcnt(1)
	v_pk_mul_f32 v[42:43], v[36:37], v[4:5]
	v_mul_f32_e32 v45, v36, v0
	v_sub_f32_e32 v44, v42, v43
	s_waitcnt vmcnt(0)
	v_pk_mul_f32 v[46:47], v[38:39], v[4:5] op_sel:[1,0]
	v_fmac_f32_e32 v45, v37, v4
	v_pk_fma_f32 v[4:5], v[38:39], v[40:41], v[46:47] op_sel:[0,0,1] op_sel_hi:[0,1,0] neg_lo:[0,0,1] neg_hi:[0,0,1]
	v_fmac_f32_e32 v44, v2, v38
	v_fmac_f32_e32 v45, v2, v39
	v_pk_fma_f32 v[2:3], v[2:3], v[36:37], v[4:5]
	global_store_dwordx2 v[6:7], v[44:45], off
	global_store_dwordx2 v[8:9], v[2:3], off
	s_branch .LBB89_75
.LBB89_79:                              ;   in Loop: Header=BB89_23 Depth=3
	s_or_b64 exec, exec, s[10:11]
	s_barrier
	s_and_saveexec_b64 s[10:11], s[2:3]
	s_cbranch_execz .LBB89_22
; %bb.80:                               ;   in Loop: Header=BB89_23 Depth=3
	s_mov_b64 s[44:45], 0
	v_mov_b32_e32 v4, v15
	s_branch .LBB89_82
.LBB89_81:                              ;   in Loop: Header=BB89_82 Depth=4
	s_or_b64 exec, exec, s[46:47]
	v_add_u32_e32 v4, s64, v4
	v_cmp_le_u32_e32 vcc, s22, v4
	s_or_b64 s[44:45], vcc, s[44:45]
	s_andn2_b64 exec, exec, s[44:45]
	s_cbranch_execz .LBB89_22
.LBB89_82:                              ;   Parent Loop BB89_3 Depth=1
                                        ;     Parent Loop BB89_8 Depth=2
                                        ;       Parent Loop BB89_23 Depth=3
                                        ; =>      This Loop Header: Depth=4
                                        ;           Child Loop BB89_85 Depth 5
	s_and_saveexec_b64 s[46:47], s[4:5]
	s_cbranch_execz .LBB89_81
; %bb.83:                               ;   in Loop: Header=BB89_82 Depth=4
	v_cmp_eq_u32_e32 vcc, 0, v4
	s_mov_b64 s[48:49], 0
	v_mov_b32_e32 v5, v29
	v_mov_b32_e32 v6, v14
	s_branch .LBB89_85
.LBB89_84:                              ;   in Loop: Header=BB89_85 Depth=5
	s_or_b64 exec, exec, s[50:51]
	v_add_u32_e32 v6, s29, v6
	v_cmp_le_u32_e64 s[8:9], s22, v6
	s_or_b64 s[48:49], s[8:9], s[48:49]
	v_add_u32_e32 v5, s29, v5
	s_andn2_b64 exec, exec, s[48:49]
	s_cbranch_execz .LBB89_81
.LBB89_85:                              ;   Parent Loop BB89_3 Depth=1
                                        ;     Parent Loop BB89_8 Depth=2
                                        ;       Parent Loop BB89_23 Depth=3
                                        ;         Parent Loop BB89_82 Depth=4
                                        ; =>        This Inner Loop Header: Depth=5
	v_mul_hi_u32 v2, v17, v5
	v_not_b32_e32 v7, v2
	v_add_u32_e32 v0, s86, v6
	v_mad_u64_u32 v[2:3], s[8:9], s76, v2, v[0:1]
	v_mad_u64_u32 v[8:9], s[8:9], s22, v7, v[0:1]
	v_cmp_le_u32_e64 s[8:9], s22, v2
	v_cndmask_b32_e64 v0, v2, v8, s[8:9]
	v_subrev_u32_e32 v2, s22, v0
	v_cmp_le_u32_e64 s[8:9], s22, v0
	v_cndmask_b32_e64 v0, v0, v2, s[8:9]
	v_add_u32_e32 v2, s85, v0
	v_cmp_gt_u32_e64 s[8:9], s23, v2
	s_and_b64 s[8:9], vcc, s[8:9]
	s_and_saveexec_b64 s[50:51], s[8:9]
	s_cbranch_execz .LBB89_84
; %bb.86:                               ;   in Loop: Header=BB89_85 Depth=5
	v_mad_u64_u32 v[8:9], s[8:9], v2, s71, 0
	v_mov_b32_e32 v10, v9
	v_mad_u64_u32 v[10:11], s[8:9], v2, s70, v[10:11]
	v_mov_b32_e32 v9, v10
	v_lshlrev_b64 v[8:9], 3, v[8:9]
	v_add_u32_e32 v0, v27, v6
	v_mov_b32_e32 v7, s82
	v_add_co_u32_e64 v10, s[8:9], s21, v8
	v_addc_co_u32_e64 v7, s[8:9], v7, v9, s[8:9]
	v_lshlrev_b64 v[8:9], 3, v[0:1]
	v_add_co_u32_e64 v8, s[8:9], v10, v8
	s_mov_b32 s25, s24
	v_addc_co_u32_e64 v9, s[8:9], v7, v9, s[8:9]
	v_pk_mov_b32 v[10:11], s[24:25], s[24:25] op_sel:[0,1]
	global_store_dwordx2 v[8:9], v[10:11], off
	v_mad_u64_u32 v[8:9], s[8:9], v0, s71, 0
	v_mov_b32_e32 v12, v9
	v_mad_u64_u32 v[12:13], s[8:9], v0, s70, v[12:13]
	v_mov_b32_e32 v9, v12
	v_lshlrev_b64 v[8:9], 3, v[8:9]
	v_mov_b32_e32 v3, v1
	v_mov_b32_e32 v0, s82
	v_add_co_u32_e64 v7, s[8:9], s21, v8
	v_addc_co_u32_e64 v0, s[8:9], v0, v9, s[8:9]
	v_lshlrev_b64 v[2:3], 3, v[2:3]
	v_add_co_u32_e64 v2, s[8:9], v7, v2
	v_addc_co_u32_e64 v3, s[8:9], v0, v3, s[8:9]
	global_store_dwordx2 v[2:3], v[10:11], off
	s_branch .LBB89_84
.LBB89_87:                              ;   in Loop: Header=BB89_8 Depth=2
	s_or_b64 s[8:9], s[40:41], s[0:1]
	s_andn2_b64 vcc, exec, s[8:9]
	s_cbranch_vccz .LBB89_7
; %bb.88:                               ;   in Loop: Header=BB89_8 Depth=2
	v_cmp_lt_u32_e32 vcc, v15, v26
	s_barrier
	s_and_saveexec_b64 s[40:41], vcc
	s_cbranch_execz .LBB89_6
; %bb.89:                               ;   in Loop: Header=BB89_8 Depth=2
	v_cmp_lt_u32_e32 vcc, v14, v26
	s_mov_b64 s[42:43], 0
	v_mov_b32_e32 v2, v18
	v_mov_b32_e32 v3, v15
	s_branch .LBB89_91
.LBB89_90:                              ;   in Loop: Header=BB89_91 Depth=3
	s_or_b64 exec, exec, s[44:45]
	v_add_u32_e32 v3, s64, v3
	v_cmp_ge_u32_e64 s[8:9], v3, v26
	s_or_b64 s[42:43], s[8:9], s[42:43]
	v_add_u32_e32 v2, s77, v2
	s_andn2_b64 exec, exec, s[42:43]
	s_cbranch_execz .LBB89_6
.LBB89_91:                              ;   Parent Loop BB89_3 Depth=1
                                        ;     Parent Loop BB89_8 Depth=2
                                        ; =>    This Loop Header: Depth=3
                                        ;         Child Loop BB89_93 Depth 4
	s_and_saveexec_b64 s[44:45], vcc
	s_cbranch_execz .LBB89_90
; %bb.92:                               ;   in Loop: Header=BB89_91 Depth=3
	s_mov_b64 s[46:47], 0
	v_mov_b32_e32 v4, v14
.LBB89_93:                              ;   Parent Loop BB89_3 Depth=1
                                        ;     Parent Loop BB89_8 Depth=2
                                        ;       Parent Loop BB89_91 Depth=3
                                        ; =>      This Inner Loop Header: Depth=4
	v_add_u32_e32 v0, v2, v4
	v_lshlrev_b64 v[6:7], 3, v[0:1]
	v_mov_b32_e32 v5, s19
	v_add_co_u32_e64 v8, s[8:9], s84, v6
	v_addc_co_u32_e64 v9, s[8:9], v5, v7, s[8:9]
	flat_load_dwordx2 v[8:9], v[8:9]
	v_add_u32_e32 v4, s29, v4
	v_mov_b32_e32 v0, s39
	v_cmp_ge_u32_e64 s[8:9], v4, v26
	v_add_co_u32_e64 v6, s[10:11], s38, v6
	v_addc_co_u32_e64 v7, s[10:11], v0, v7, s[10:11]
	s_or_b64 s[46:47], s[8:9], s[46:47]
	s_waitcnt vmcnt(0) lgkmcnt(0)
	flat_store_dwordx2 v[6:7], v[8:9]
	s_andn2_b64 exec, exec, s[46:47]
	s_cbranch_execnz .LBB89_93
	s_branch .LBB89_90
.LBB89_94:
	s_endpgm
	.section	.rodata,"a",@progbits
	.p2align	6, 0x0
	.amdhsa_kernel _ZN9rocsolver6v33100L17syevj_offd_kernelI19rocblas_complex_numIfEfPS3_EEviiT1_iilT0_PT_PiS9_S9_i
		.amdhsa_group_segment_fixed_size 0
		.amdhsa_private_segment_fixed_size 0
		.amdhsa_kernarg_size 336
		.amdhsa_user_sgpr_count 6
		.amdhsa_user_sgpr_private_segment_buffer 1
		.amdhsa_user_sgpr_dispatch_ptr 0
		.amdhsa_user_sgpr_queue_ptr 0
		.amdhsa_user_sgpr_kernarg_segment_ptr 1
		.amdhsa_user_sgpr_dispatch_id 0
		.amdhsa_user_sgpr_flat_scratch_init 0
		.amdhsa_user_sgpr_kernarg_preload_length 0
		.amdhsa_user_sgpr_kernarg_preload_offset 0
		.amdhsa_user_sgpr_private_segment_size 0
		.amdhsa_uses_dynamic_stack 0
		.amdhsa_system_sgpr_private_segment_wavefront_offset 0
		.amdhsa_system_sgpr_workgroup_id_x 1
		.amdhsa_system_sgpr_workgroup_id_y 0
		.amdhsa_system_sgpr_workgroup_id_z 1
		.amdhsa_system_sgpr_workgroup_info 0
		.amdhsa_system_vgpr_workitem_id 1
		.amdhsa_next_free_vgpr 54
		.amdhsa_next_free_sgpr 87
		.amdhsa_accum_offset 56
		.amdhsa_reserve_vcc 1
		.amdhsa_reserve_flat_scratch 0
		.amdhsa_float_round_mode_32 0
		.amdhsa_float_round_mode_16_64 0
		.amdhsa_float_denorm_mode_32 3
		.amdhsa_float_denorm_mode_16_64 3
		.amdhsa_dx10_clamp 1
		.amdhsa_ieee_mode 1
		.amdhsa_fp16_overflow 0
		.amdhsa_tg_split 0
		.amdhsa_exception_fp_ieee_invalid_op 0
		.amdhsa_exception_fp_denorm_src 0
		.amdhsa_exception_fp_ieee_div_zero 0
		.amdhsa_exception_fp_ieee_overflow 0
		.amdhsa_exception_fp_ieee_underflow 0
		.amdhsa_exception_fp_ieee_inexact 0
		.amdhsa_exception_int_div_zero 0
	.end_amdhsa_kernel
	.section	.text._ZN9rocsolver6v33100L17syevj_offd_kernelI19rocblas_complex_numIfEfPS3_EEviiT1_iilT0_PT_PiS9_S9_i,"axG",@progbits,_ZN9rocsolver6v33100L17syevj_offd_kernelI19rocblas_complex_numIfEfPS3_EEviiT1_iilT0_PT_PiS9_S9_i,comdat
.Lfunc_end89:
	.size	_ZN9rocsolver6v33100L17syevj_offd_kernelI19rocblas_complex_numIfEfPS3_EEviiT1_iilT0_PT_PiS9_S9_i, .Lfunc_end89-_ZN9rocsolver6v33100L17syevj_offd_kernelI19rocblas_complex_numIfEfPS3_EEviiT1_iilT0_PT_PiS9_S9_i
                                        ; -- End function
	.section	.AMDGPU.csdata,"",@progbits
; Kernel info:
; codeLenInByte = 5408
; NumSgprs: 91
; NumVgprs: 54
; NumAgprs: 0
; TotalNumVgprs: 54
; ScratchSize: 0
; MemoryBound: 0
; FloatMode: 240
; IeeeMode: 1
; LDSByteSize: 0 bytes/workgroup (compile time only)
; SGPRBlocks: 11
; VGPRBlocks: 6
; NumSGPRsForWavesPerEU: 91
; NumVGPRsForWavesPerEU: 54
; AccumOffset: 56
; Occupancy: 8
; WaveLimiterHint : 1
; COMPUTE_PGM_RSRC2:SCRATCH_EN: 0
; COMPUTE_PGM_RSRC2:USER_SGPR: 6
; COMPUTE_PGM_RSRC2:TRAP_HANDLER: 0
; COMPUTE_PGM_RSRC2:TGID_X_EN: 1
; COMPUTE_PGM_RSRC2:TGID_Y_EN: 0
; COMPUTE_PGM_RSRC2:TGID_Z_EN: 1
; COMPUTE_PGM_RSRC2:TIDIG_COMP_CNT: 1
; COMPUTE_PGM_RSRC3_GFX90A:ACCUM_OFFSET: 13
; COMPUTE_PGM_RSRC3_GFX90A:TG_SPLIT: 0
	.section	.text._ZN9rocsolver6v33100L21syevj_offd_rotate_orgILb0E19rocblas_complex_numIfEfPS3_EEvbiiT2_iilPT0_PiS8_S8_,"axG",@progbits,_ZN9rocsolver6v33100L21syevj_offd_rotate_orgILb0E19rocblas_complex_numIfEfPS3_EEvbiiT2_iilPT0_PiS8_S8_,comdat
	.globl	_ZN9rocsolver6v33100L21syevj_offd_rotate_orgILb0E19rocblas_complex_numIfEfPS3_EEvbiiT2_iilPT0_PiS8_S8_ ; -- Begin function _ZN9rocsolver6v33100L21syevj_offd_rotate_orgILb0E19rocblas_complex_numIfEfPS3_EEvbiiT2_iilPT0_PiS8_S8_
	.p2align	8
	.type	_ZN9rocsolver6v33100L21syevj_offd_rotate_orgILb0E19rocblas_complex_numIfEfPS3_EEvbiiT2_iilPT0_PiS8_S8_,@function
_ZN9rocsolver6v33100L21syevj_offd_rotate_orgILb0E19rocblas_complex_numIfEfPS3_EEvbiiT2_iilPT0_PiS8_S8_: ; @_ZN9rocsolver6v33100L21syevj_offd_rotate_orgILb0E19rocblas_complex_numIfEfPS3_EEvbiiT2_iilPT0_PiS8_S8_
; %bb.0:
	s_load_dwordx2 s[0:1], s[4:5], 0x40
	s_ashr_i32 s9, s8, 31
	s_lshl_b64 s[2:3], s[8:9], 2
	s_waitcnt lgkmcnt(0)
	s_add_u32 s0, s0, s2
	s_addc_u32 s1, s1, s3
	s_load_dword s0, s[0:1], 0x4
	s_waitcnt lgkmcnt(0)
	s_cmp_lg_u32 s0, 0
	s_cbranch_scc0 .LBB90_2
.LBB90_1:
	s_endpgm
.LBB90_2:
	s_load_dwordx8 s[12:19], s[4:5], 0x20
	s_mov_b32 s10, s7
	s_ashr_i32 s7, s6, 31
	s_lshl_b64 s[0:1], s[6:7], 2
	s_waitcnt lgkmcnt(0)
	s_add_u32 s2, s16, s0
	s_addc_u32 s3, s17, s1
	s_add_u32 s0, s18, s0
	s_load_dword s11, s[2:3], 0x0
	s_addc_u32 s1, s19, s1
	s_load_dword s20, s[0:1], 0x0
	s_load_dwordx4 s[16:19], s[4:5], 0x0
	s_waitcnt lgkmcnt(0)
	s_max_i32 s7, s11, s20
	s_cmp_ge_i32 s7, s17
	s_cbranch_scc1 .LBB90_1
; %bb.3:
	s_add_u32 s0, s4, 0x48
	s_addc_u32 s1, s5, 0
	s_bitcmp1_b32 s16, 0
	s_cselect_b64 s[2:3], -1, 0
	s_xor_b64 s[2:3], s[2:3], -1
	s_min_i32 s17, s11, s20
	s_and_b64 vcc, exec, s[2:3]
	s_mov_b32 s16, s10
	s_cbranch_vccnz .LBB90_5
; %bb.4:
	s_lshr_b32 s2, s16, 31
	s_add_i32 s2, s16, s2
	s_ashr_i32 s10, s2, 1
	s_cmp_lg_u32 s10, s17
	s_cselect_b64 s[2:3], -1, 0
	s_cmp_lg_u32 s10, s7
	s_cselect_b64 s[10:11], -1, 0
	s_and_b64 s[2:3], s[2:3], s[10:11]
.LBB90_5:
	s_andn2_b64 vcc, exec, s[2:3]
	s_cbranch_vccnz .LBB90_1
; %bb.6:
	s_load_dword s19, s[0:1], 0xc
	v_and_b32_e32 v8, 0x3ff, v0
	v_bfe_u32 v9, v0, 10, 10
	s_waitcnt lgkmcnt(0)
	s_bfe_u32 s10, s19, 0xf0001
	s_mul_i32 s11, s7, s10
	s_mul_i32 s1, s17, s10
	s_sub_i32 s2, s11, s10
	s_lshr_b32 s0, s19, 16
	v_mov_b32_e32 v0, s2
	v_mov_b32_e32 v1, s1
	v_cmp_gt_u32_e32 vcc, s10, v8
	v_cndmask_b32_e32 v0, v0, v1, vcc
	s_mul_i32 s16, s16, s0
	v_add_u32_e32 v1, v0, v8
	v_add_u32_e32 v0, s16, v9
	v_max_i32_e32 v2, v1, v0
	v_cmp_gt_i32_e32 vcc, s18, v2
	s_and_saveexec_b64 s[0:1], vcc
	s_cbranch_execz .LBB90_1
; %bb.7:
	s_load_dword s20, s[4:5], 0x48
	s_load_dwordx4 s[0:3], s[4:5], 0x10
	s_and_b32 s19, s19, 0xffff
	s_lshl_b32 s4, s10, 1
	s_waitcnt lgkmcnt(0)
	s_mul_i32 s5, s20, s8
	s_ashr_i32 s21, s2, 31
	s_add_i32 s5, s5, s6
	s_mov_b32 s20, s2
	s_mul_i32 s2, s8, s13
	s_mul_hi_u32 s6, s8, s12
	s_add_i32 s2, s6, s2
	s_mul_i32 s6, s9, s12
	s_add_i32 s9, s2, s6
	s_mul_i32 s8, s8, s12
	s_lshl_b64 s[8:9], s[8:9], 3
	s_add_u32 s2, s0, s8
	s_addc_u32 s6, s1, s9
	s_lshl_b64 s[0:1], s[20:21], 3
	s_add_u32 s0, s2, s0
	s_mul_i32 s2, s5, s10
	s_mul_i32 s2, s2, s10
	s_addc_u32 s1, s6, s1
	s_lshl_b32 s8, s2, 2
	s_ashr_i32 s9, s8, 31
	s_lshl_b64 s[8:9], s[8:9], 3
	s_add_u32 s2, s14, s8
	s_mov_b32 s8, 0
	s_addc_u32 s5, s15, s9
	s_mov_b32 s9, s8
	s_cmp_lt_u32 s19, 2
	v_pk_mov_b32 v[2:3], s[8:9], s[8:9] op_sel:[0,1]
	s_cbranch_scc1 .LBB90_10
; %bb.8:
	s_mul_i32 s6, s3, s17
	s_mul_i32 s6, s6, s10
	s_add_i32 s6, s16, s6
	v_mov_b32_e32 v2, 0
	v_add_u32_e32 v4, s6, v9
	v_mov_b32_e32 v7, 0
	v_mov_b32_e32 v10, s5
	;; [unrolled: 1-line block ×4, first 2 shown]
	s_mov_b32 s6, s10
	v_mov_b32_e32 v3, v2
.LBB90_9:                               ; =>This Inner Loop Header: Depth=1
	v_lshlrev_b64 v[12:13], 3, v[6:7]
	v_ashrrev_i32_e32 v5, 31, v4
	v_add_co_u32_e32 v12, vcc, s2, v12
	v_addc_co_u32_e32 v13, vcc, v10, v13, vcc
	v_lshlrev_b64 v[14:15], 3, v[4:5]
	v_add_co_u32_e32 v14, vcc, s0, v14
	v_addc_co_u32_e32 v15, vcc, v11, v15, vcc
	global_load_dwordx2 v[16:17], v[12:13], off
	global_load_dwordx2 v[18:19], v[14:15], off
	s_add_i32 s6, s6, -1
	v_add_u32_e32 v6, s4, v6
	v_add_u32_e32 v4, s3, v4
	s_cmp_eq_u32 s6, 0
	s_waitcnt vmcnt(0)
	v_pk_mul_f32 v[12:13], v[18:19], v[16:17] op_sel:[0,1]
	v_pk_fma_f32 v[14:15], v[18:19], v[16:17], v[12:13] op_sel:[0,0,1] op_sel_hi:[1,1,0] neg_lo:[0,0,1] neg_hi:[0,0,1]
	v_pk_fma_f32 v[12:13], v[18:19], v[16:17], v[12:13] op_sel:[0,0,1] op_sel_hi:[1,0,0]
	v_mov_b32_e32 v15, v13
	v_pk_add_f32 v[2:3], v[2:3], v[14:15]
	s_cbranch_scc0 .LBB90_9
.LBB90_10:
	s_sub_i32 s6, s18, s11
	s_min_i32 s6, s6, s10
	s_cmp_lt_i32 s6, 1
	s_cbranch_scc1 .LBB90_13
; %bb.11:
	s_mul_i32 s7, s3, s7
	s_mul_i32 s7, s7, s10
	s_add_i32 s16, s16, s7
	s_mul_i32 s10, s10, s10
	v_add_u32_e32 v4, s16, v9
	v_lshl_add_u32 v6, s10, 1, v8
	v_mov_b32_e32 v7, 0
	v_mov_b32_e32 v8, s5
	v_mov_b32_e32 v9, s1
.LBB90_12:                              ; =>This Inner Loop Header: Depth=1
	v_lshlrev_b64 v[10:11], 3, v[6:7]
	v_ashrrev_i32_e32 v5, 31, v4
	v_add_co_u32_e32 v10, vcc, s2, v10
	v_addc_co_u32_e32 v11, vcc, v8, v11, vcc
	v_lshlrev_b64 v[12:13], 3, v[4:5]
	v_add_co_u32_e32 v12, vcc, s0, v12
	v_addc_co_u32_e32 v13, vcc, v9, v13, vcc
	global_load_dwordx2 v[14:15], v[10:11], off
	global_load_dwordx2 v[16:17], v[12:13], off
	s_add_i32 s6, s6, -1
	v_add_u32_e32 v6, s4, v6
	v_add_u32_e32 v4, s3, v4
	s_cmp_lg_u32 s6, 0
	s_waitcnt vmcnt(0)
	v_pk_mul_f32 v[10:11], v[16:17], v[14:15] op_sel:[0,1]
	v_pk_fma_f32 v[12:13], v[16:17], v[14:15], v[10:11] op_sel:[0,0,1] op_sel_hi:[1,1,0] neg_lo:[0,0,1] neg_hi:[0,0,1]
	v_pk_fma_f32 v[10:11], v[16:17], v[14:15], v[10:11] op_sel:[0,0,1] op_sel_hi:[1,0,0]
	v_mov_b32_e32 v13, v11
	v_pk_add_f32 v[2:3], v[2:3], v[12:13]
	s_cbranch_scc1 .LBB90_12
.LBB90_13:
	v_mad_u64_u32 v[0:1], s[2:3], v1, s3, v[0:1]
	v_ashrrev_i32_e32 v1, 31, v0
	v_lshlrev_b64 v[0:1], 3, v[0:1]
	v_mov_b32_e32 v4, s1
	v_add_co_u32_e32 v0, vcc, s0, v0
	v_addc_co_u32_e32 v1, vcc, v4, v1, vcc
	s_barrier
	global_store_dwordx2 v[0:1], v[2:3], off
	s_endpgm
	.section	.rodata,"a",@progbits
	.p2align	6, 0x0
	.amdhsa_kernel _ZN9rocsolver6v33100L21syevj_offd_rotate_orgILb0E19rocblas_complex_numIfEfPS3_EEvbiiT2_iilPT0_PiS8_S8_
		.amdhsa_group_segment_fixed_size 0
		.amdhsa_private_segment_fixed_size 0
		.amdhsa_kernarg_size 328
		.amdhsa_user_sgpr_count 6
		.amdhsa_user_sgpr_private_segment_buffer 1
		.amdhsa_user_sgpr_dispatch_ptr 0
		.amdhsa_user_sgpr_queue_ptr 0
		.amdhsa_user_sgpr_kernarg_segment_ptr 1
		.amdhsa_user_sgpr_dispatch_id 0
		.amdhsa_user_sgpr_flat_scratch_init 0
		.amdhsa_user_sgpr_kernarg_preload_length 0
		.amdhsa_user_sgpr_kernarg_preload_offset 0
		.amdhsa_user_sgpr_private_segment_size 0
		.amdhsa_uses_dynamic_stack 0
		.amdhsa_system_sgpr_private_segment_wavefront_offset 0
		.amdhsa_system_sgpr_workgroup_id_x 1
		.amdhsa_system_sgpr_workgroup_id_y 1
		.amdhsa_system_sgpr_workgroup_id_z 1
		.amdhsa_system_sgpr_workgroup_info 0
		.amdhsa_system_vgpr_workitem_id 1
		.amdhsa_next_free_vgpr 20
		.amdhsa_next_free_sgpr 22
		.amdhsa_accum_offset 20
		.amdhsa_reserve_vcc 1
		.amdhsa_reserve_flat_scratch 0
		.amdhsa_float_round_mode_32 0
		.amdhsa_float_round_mode_16_64 0
		.amdhsa_float_denorm_mode_32 3
		.amdhsa_float_denorm_mode_16_64 3
		.amdhsa_dx10_clamp 1
		.amdhsa_ieee_mode 1
		.amdhsa_fp16_overflow 0
		.amdhsa_tg_split 0
		.amdhsa_exception_fp_ieee_invalid_op 0
		.amdhsa_exception_fp_denorm_src 0
		.amdhsa_exception_fp_ieee_div_zero 0
		.amdhsa_exception_fp_ieee_overflow 0
		.amdhsa_exception_fp_ieee_underflow 0
		.amdhsa_exception_fp_ieee_inexact 0
		.amdhsa_exception_int_div_zero 0
	.end_amdhsa_kernel
	.section	.text._ZN9rocsolver6v33100L21syevj_offd_rotate_orgILb0E19rocblas_complex_numIfEfPS3_EEvbiiT2_iilPT0_PiS8_S8_,"axG",@progbits,_ZN9rocsolver6v33100L21syevj_offd_rotate_orgILb0E19rocblas_complex_numIfEfPS3_EEvbiiT2_iilPT0_PiS8_S8_,comdat
.Lfunc_end90:
	.size	_ZN9rocsolver6v33100L21syevj_offd_rotate_orgILb0E19rocblas_complex_numIfEfPS3_EEvbiiT2_iilPT0_PiS8_S8_, .Lfunc_end90-_ZN9rocsolver6v33100L21syevj_offd_rotate_orgILb0E19rocblas_complex_numIfEfPS3_EEvbiiT2_iilPT0_PiS8_S8_
                                        ; -- End function
	.section	.AMDGPU.csdata,"",@progbits
; Kernel info:
; codeLenInByte = 828
; NumSgprs: 26
; NumVgprs: 20
; NumAgprs: 0
; TotalNumVgprs: 20
; ScratchSize: 0
; MemoryBound: 0
; FloatMode: 240
; IeeeMode: 1
; LDSByteSize: 0 bytes/workgroup (compile time only)
; SGPRBlocks: 3
; VGPRBlocks: 2
; NumSGPRsForWavesPerEU: 26
; NumVGPRsForWavesPerEU: 20
; AccumOffset: 20
; Occupancy: 8
; WaveLimiterHint : 0
; COMPUTE_PGM_RSRC2:SCRATCH_EN: 0
; COMPUTE_PGM_RSRC2:USER_SGPR: 6
; COMPUTE_PGM_RSRC2:TRAP_HANDLER: 0
; COMPUTE_PGM_RSRC2:TGID_X_EN: 1
; COMPUTE_PGM_RSRC2:TGID_Y_EN: 1
; COMPUTE_PGM_RSRC2:TGID_Z_EN: 1
; COMPUTE_PGM_RSRC2:TIDIG_COMP_CNT: 1
; COMPUTE_PGM_RSRC3_GFX90A:ACCUM_OFFSET: 4
; COMPUTE_PGM_RSRC3_GFX90A:TG_SPLIT: 0
	.section	.text._ZN9rocsolver6v33100L17syevj_offd_rotateILb0E19rocblas_complex_numIfEfPS3_EEvbiiT2_iilPT0_PiS8_S8_i,"axG",@progbits,_ZN9rocsolver6v33100L17syevj_offd_rotateILb0E19rocblas_complex_numIfEfPS3_EEvbiiT2_iilPT0_PiS8_S8_i,comdat
	.globl	_ZN9rocsolver6v33100L17syevj_offd_rotateILb0E19rocblas_complex_numIfEfPS3_EEvbiiT2_iilPT0_PiS8_S8_i ; -- Begin function _ZN9rocsolver6v33100L17syevj_offd_rotateILb0E19rocblas_complex_numIfEfPS3_EEvbiiT2_iilPT0_PiS8_S8_i
	.p2align	8
	.type	_ZN9rocsolver6v33100L17syevj_offd_rotateILb0E19rocblas_complex_numIfEfPS3_EEvbiiT2_iilPT0_PiS8_S8_i,@function
_ZN9rocsolver6v33100L17syevj_offd_rotateILb0E19rocblas_complex_numIfEfPS3_EEvbiiT2_iilPT0_PiS8_S8_i: ; @_ZN9rocsolver6v33100L17syevj_offd_rotateILb0E19rocblas_complex_numIfEfPS3_EEvbiiT2_iilPT0_PiS8_S8_i
; %bb.0:
	s_load_dwordx4 s[20:23], s[4:5], 0x0
	s_load_dword s33, s[4:5], 0x48
	s_waitcnt lgkmcnt(0)
	s_abs_i32 s2, s21
	v_cvt_f32_u32_e32 v1, s2
	s_cmp_ge_u32 s8, s33
	v_rcp_iflag_f32_e32 v1, v1
	v_mul_f32_e32 v1, 0x4f7ffffe, v1
	v_cvt_u32_f32_e32 v1, v1
	v_readfirstlane_b32 s0, v1
	s_cbranch_scc1 .LBB91_35
; %bb.1:
	s_add_i32 s1, s22, -1
	s_ashr_i32 s3, s1, 31
	s_abs_i32 s10, s1
	s_sub_i32 s1, 0, s2
	s_mul_i32 s1, s1, s0
	s_mul_hi_u32 s1, s0, s1
	s_ashr_i32 s9, s21, 31
	s_add_i32 s0, s0, s1
	s_bitcmp1_b32 s20, 0
	s_mul_hi_u32 s23, s10, s0
	s_cselect_b64 s[0:1], -1, 0
	v_cndmask_b32_e64 v3, 0, 1, s[0:1]
	s_xor_b64 s[34:35], s[0:1], -1
	s_mul_i32 s1, s23, s2
	s_sub_i32 s1, s10, s1
	s_xor_b32 s0, s3, s9
	s_add_i32 s3, s23, 1
	s_sub_i32 s9, s1, s2
	s_cmp_ge_u32 s1, s2
	s_cselect_b32 s3, s3, s23
	s_cselect_b32 s1, s9, s1
	s_add_i32 s9, s3, 1
	s_cmp_ge_u32 s1, s2
	s_cselect_b32 s1, s9, s3
	s_xor_b32 s1, s1, s0
	s_sub_i32 s20, s1, s0
	s_add_i32 s46, s20, 1
	s_lshr_b32 s0, s46, 31
	s_add_i32 s0, s46, s0
	s_and_b32 s0, s0, -2
	s_load_dwordx4 s[28:31], s[4:5], 0x10
	s_load_dwordx8 s[12:19], s[4:5], 0x20
	s_sub_i32 s0, s46, s0
	s_load_dwordx2 s[2:3], s[4:5], 0x40
	s_load_dwordx4 s[24:27], s[4:5], 0x50
	s_add_i32 s0, s0, s46
	s_lshr_b32 s1, s0, 31
	s_lshl_b32 s49, s21, 1
	s_add_i32 s0, s0, s1
	s_mul_i32 s4, s49, s21
	s_ashr_i32 s47, s0, 1
	s_lshl_b32 s0, s4, 3
	s_waitcnt lgkmcnt(0)
	s_lshr_b32 s48, s27, 16
	s_and_b32 s27, s27, 0xffff
	s_add_i32 s50, s0, 0
	s_mul_i32 s4, s4, 3
	s_cmpk_lt_u32 s4, 0x2001
	s_mul_i32 s9, s21, s21
	s_mov_b64 s[0:1], src_shared_base
	s_cselect_b64 s[36:37], -1, 0
	s_ashr_i32 s5, s30, 31
	s_lshl_b32 s52, s9, 2
	s_cmp_lt_u32 s6, s47
	s_mul_i32 s0, s20, s21
	s_cselect_b64 s[38:39], -1, 0
	s_sub_i32 s53, s22, s0
	s_cmp_lt_u32 s7, s46
	s_cselect_b64 s[22:23], -1, 0
	s_ashr_i32 s55, s31, 31
	s_mov_b32 s4, s30
	s_add_u32 s57, s2, 4
	s_addc_u32 s58, s3, 0
	s_lshl_b64 s[2:3], s[4:5], 3
	s_add_u32 s59, s28, s2
	v_and_b32_e32 v2, 0x3ff, v0
	v_bfe_u32 v6, v0, 10, 10
	s_addc_u32 s60, s29, s3
	s_lshl_b32 s2, s9, 4
	v_mad_u32_u24 v7, v6, s27, v2
	s_mul_i32 s54, s48, s27
	s_add_i32 s2, s2, 0
	s_mov_b32 s11, 0
	s_mov_b32 s51, s1
	v_cmp_gt_u32_e64 s[0:1], s52, v7
	s_mov_b32 s56, s31
	v_lshl_add_u32 v8, v7, 3, s2
	s_lshl_b32 s61, s54, 3
	s_mul_i32 s62, s7, s21
	s_mul_i32 s63, s25, s21
	s_lshl_b32 s64, s48, 3
	s_lshl_b32 s65, s27, 3
	v_lshl_add_u32 v9, v2, 3, 0
	v_mov_b32_e32 v1, 0
	s_branch .LBB91_3
.LBB91_2:                               ;   in Loop: Header=BB91_3 Depth=1
	s_add_i32 s8, s8, s26
	s_cmp_ge_u32 s8, s33
	s_cbranch_scc1 .LBB91_35
.LBB91_3:                               ; =>This Loop Header: Depth=1
                                        ;     Child Loop BB91_7 Depth 2
                                        ;       Child Loop BB91_11 Depth 3
                                        ;       Child Loop BB91_17 Depth 3
                                        ;         Child Loop BB91_23 Depth 4
                                        ;           Child Loop BB91_25 Depth 5
                                        ;         Child Loop BB91_29 Depth 4
                                        ;           Child Loop BB91_32 Depth 5
                                        ;             Child Loop BB91_34 Depth 6
	s_mov_b32 s9, s11
	s_lshl_b64 s[2:3], s[8:9], 2
	s_add_u32 s2, s57, s2
	s_addc_u32 s3, s58, s3
	s_load_dword s2, s[2:3], 0x0
	s_waitcnt lgkmcnt(0)
	s_cmp_lg_u32 s2, 0
	s_cbranch_scc1 .LBB91_2
; %bb.4:                                ;   in Loop: Header=BB91_3 Depth=1
	s_andn2_b64 vcc, exec, s[38:39]
	s_cbranch_vccnz .LBB91_2
; %bb.5:                                ;   in Loop: Header=BB91_3 Depth=1
	s_mul_i32 s2, s8, s13
	s_mul_hi_u32 s3, s8, s12
	s_add_i32 s3, s3, s2
	s_mul_i32 s2, s8, s12
	s_lshl_b64 s[2:3], s[2:3], 3
	s_add_u32 s9, s59, s2
	s_addc_u32 s66, s60, s3
	s_mul_i32 s67, s8, s47
	s_mov_b32 s10, s6
	s_branch .LBB91_7
.LBB91_6:                               ;   in Loop: Header=BB91_7 Depth=2
	s_add_i32 s10, s10, s24
	s_cmp_lt_u32 s10, s47
	s_cbranch_scc0 .LBB91_2
.LBB91_7:                               ;   Parent Loop BB91_3 Depth=1
                                        ; =>  This Loop Header: Depth=2
                                        ;       Child Loop BB91_11 Depth 3
                                        ;       Child Loop BB91_17 Depth 3
                                        ;         Child Loop BB91_23 Depth 4
                                        ;           Child Loop BB91_25 Depth 5
                                        ;         Child Loop BB91_29 Depth 4
                                        ;           Child Loop BB91_32 Depth 5
                                        ;             Child Loop BB91_34 Depth 6
	s_lshl_b64 s[2:3], s[10:11], 2
	s_add_u32 s4, s16, s2
	s_addc_u32 s5, s17, s3
	s_add_u32 s2, s18, s2
	s_addc_u32 s3, s19, s3
	global_load_dword v0, v1, s[2:3]
	global_load_dword v4, v1, s[4:5]
	s_waitcnt vmcnt(1)
	v_readfirstlane_b32 s28, v0
	s_waitcnt vmcnt(0)
	v_readfirstlane_b32 s29, v4
	s_max_i32 s68, s29, s28
	s_cmp_gt_i32 s68, s20
	s_cbranch_scc1 .LBB91_6
; %bb.8:                                ;   in Loop: Header=BB91_7 Depth=2
	s_add_i32 s2, s10, s67
	s_mul_i32 s2, s52, s2
	s_mov_b32 s3, s11
	s_lshl_b64 s[2:3], s[2:3], 3
	s_add_u32 s30, s14, s2
	s_addc_u32 s31, s15, s3
	s_andn2_b64 vcc, exec, s[36:37]
	s_cbranch_vccnz .LBB91_13
; %bb.9:                                ;   in Loop: Header=BB91_7 Depth=2
	s_barrier
	s_and_saveexec_b64 s[2:3], s[0:1]
	s_cbranch_execz .LBB91_12
; %bb.10:                               ;   in Loop: Header=BB91_7 Depth=2
	s_mov_b64 s[4:5], 0
	v_mov_b32_e32 v4, s31
	v_mov_b32_e32 v5, v8
	v_mov_b32_e32 v0, v7
.LBB91_11:                              ;   Parent Loop BB91_3 Depth=1
                                        ;     Parent Loop BB91_7 Depth=2
                                        ; =>    This Inner Loop Header: Depth=3
	v_lshlrev_b64 v[10:11], 3, v[0:1]
	v_add_co_u32_e32 v10, vcc, s30, v10
	v_addc_co_u32_e32 v11, vcc, v4, v11, vcc
	global_load_dwordx2 v[10:11], v[10:11], off
	v_add_u32_e32 v0, s54, v0
	v_cmp_le_u32_e32 vcc, s52, v0
	s_or_b64 s[4:5], vcc, s[4:5]
	s_waitcnt vmcnt(0)
	ds_write_b64 v5, v[10:11]
	v_add_u32_e32 v5, s61, v5
	s_andn2_b64 exec, exec, s[4:5]
	s_cbranch_execnz .LBB91_11
.LBB91_12:                              ;   in Loop: Header=BB91_7 Depth=2
	s_or_b64 exec, exec, s[2:3]
	s_waitcnt lgkmcnt(0)
	s_barrier
.LBB91_13:                              ;   in Loop: Header=BB91_7 Depth=2
	s_andn2_b64 vcc, exec, s[22:23]
	s_cbranch_vccnz .LBB91_6
; %bb.14:                               ;   in Loop: Header=BB91_7 Depth=2
	s_min_i32 s69, s28, s29
	s_cmp_eq_u32 s20, s69
	s_cselect_b32 s71, s53, s21
	s_cmp_eq_u32 s20, s68
	s_cselect_b32 s2, s53, s21
	s_add_i32 s72, s71, s2
	s_mul_i32 s4, s68, s21
	s_and_b64 s[2:3], s[36:37], exec
	s_cselect_b32 s5, s51, s31
	s_cselect_b32 s73, s50, s30
	s_sub_i32 s74, s4, s71
	s_cmp_gt_i32 s72, 0
	s_mul_i32 s70, s69, s21
	v_cmp_gt_u32_e64 s[2:3], s72, v6
	s_cselect_b64 s[28:29], -1, 0
	v_mov_b32_e32 v10, s5
	s_mov_b32 s75, s62
	s_mov_b32 s76, s7
	s_branch .LBB91_17
.LBB91_15:                              ;   in Loop: Header=BB91_17 Depth=3
	s_or_b64 exec, exec, s[30:31]
	s_barrier
.LBB91_16:                              ;   in Loop: Header=BB91_17 Depth=3
	s_add_i32 s76, s76, s25
	s_add_i32 s75, s75, s63
	s_cmp_lt_u32 s76, s46
	s_cbranch_scc0 .LBB91_6
.LBB91_17:                              ;   Parent Loop BB91_3 Depth=1
                                        ;     Parent Loop BB91_7 Depth=2
                                        ; =>    This Loop Header: Depth=3
                                        ;         Child Loop BB91_23 Depth 4
                                        ;           Child Loop BB91_25 Depth 5
                                        ;         Child Loop BB91_29 Depth 4
                                        ;           Child Loop BB91_32 Depth 5
                                        ;             Child Loop BB91_34 Depth 6
	v_cmp_ne_u32_e32 vcc, 1, v3
	s_mov_b64 s[4:5], s[34:35]
	s_cbranch_vccz .LBB91_19
; %bb.18:                               ;   in Loop: Header=BB91_17 Depth=3
	s_andn2_b64 vcc, exec, s[4:5]
	s_cbranch_vccnz .LBB91_16
	s_branch .LBB91_20
.LBB91_19:                              ;   in Loop: Header=BB91_17 Depth=3
	s_cmp_lg_u32 s76, s69
	s_cselect_b64 s[4:5], -1, 0
	s_cmp_lg_u32 s76, s68
	s_cselect_b64 s[30:31], -1, 0
	s_and_b64 s[4:5], s[4:5], s[30:31]
	s_andn2_b64 vcc, exec, s[4:5]
	s_cbranch_vccnz .LBB91_16
.LBB91_20:                              ;   in Loop: Header=BB91_17 Depth=3
	s_cmp_eq_u32 s20, s76
	s_cselect_b32 s77, s53, s21
	s_barrier
	s_and_saveexec_b64 s[30:31], s[2:3]
	s_cbranch_execz .LBB91_26
; %bb.21:                               ;   in Loop: Header=BB91_17 Depth=3
	v_mad_u64_u32 v[4:5], s[4:5], v6, s77, v[2:3]
	v_cmp_gt_u32_e32 vcc, s77, v2
	v_lshl_add_u32 v4, v4, 3, 0
	s_mul_i32 s78, s64, s77
	s_mov_b64 s[40:41], 0
	v_mov_b32_e32 v5, v6
	s_branch .LBB91_23
.LBB91_22:                              ;   in Loop: Header=BB91_23 Depth=4
	s_or_b64 exec, exec, s[42:43]
	v_add_u32_e32 v5, s48, v5
	v_cmp_le_u32_e64 s[4:5], s72, v5
	s_or_b64 s[40:41], s[4:5], s[40:41]
	v_add_u32_e32 v4, s78, v4
	s_andn2_b64 exec, exec, s[40:41]
	s_cbranch_execz .LBB91_26
.LBB91_23:                              ;   Parent Loop BB91_3 Depth=1
                                        ;     Parent Loop BB91_7 Depth=2
                                        ;       Parent Loop BB91_17 Depth=3
                                        ; =>      This Loop Header: Depth=4
                                        ;           Child Loop BB91_25 Depth 5
	s_and_saveexec_b64 s[42:43], vcc
	s_cbranch_execz .LBB91_22
; %bb.24:                               ;   in Loop: Header=BB91_23 Depth=4
	v_mov_b32_e32 v0, s74
	v_mov_b32_e32 v11, s70
	v_cmp_gt_u32_e64 s[4:5], s71, v5
	v_cndmask_b32_e64 v0, v0, v11, s[4:5]
	v_add_u32_e32 v11, v5, v0
	v_mad_u64_u32 v[12:13], s[4:5], v11, s56, 0
	v_mov_b32_e32 v0, v13
	v_mad_u64_u32 v[14:15], s[4:5], v11, s55, v[0:1]
	v_mov_b32_e32 v13, v14
	v_lshlrev_b64 v[12:13], 3, v[12:13]
	v_mov_b32_e32 v0, s66
	v_add_co_u32_e64 v11, s[4:5], s9, v12
	v_addc_co_u32_e64 v12, s[4:5], v0, v13, s[4:5]
	s_mov_b64 s[44:45], 0
	v_mov_b32_e32 v13, v4
	v_mov_b32_e32 v14, v2
.LBB91_25:                              ;   Parent Loop BB91_3 Depth=1
                                        ;     Parent Loop BB91_7 Depth=2
                                        ;       Parent Loop BB91_17 Depth=3
                                        ;         Parent Loop BB91_23 Depth=4
                                        ; =>        This Inner Loop Header: Depth=5
	v_add_u32_e32 v0, s75, v14
	v_lshlrev_b64 v[16:17], 3, v[0:1]
	v_add_co_u32_e64 v16, s[4:5], v11, v16
	v_addc_co_u32_e64 v17, s[4:5], v12, v17, s[4:5]
	global_load_dwordx2 v[16:17], v[16:17], off
	v_add_u32_e32 v14, s27, v14
	v_cmp_le_u32_e64 s[4:5], s77, v14
	s_or_b64 s[44:45], s[4:5], s[44:45]
	s_waitcnt vmcnt(0)
	ds_write2_b32 v13, v16, v17 offset1:1
	v_add_u32_e32 v13, s65, v13
	s_andn2_b64 exec, exec, s[44:45]
	s_cbranch_execnz .LBB91_25
	s_branch .LBB91_22
.LBB91_26:                              ;   in Loop: Header=BB91_17 Depth=3
	s_or_b64 exec, exec, s[30:31]
	s_waitcnt lgkmcnt(0)
	s_barrier
	s_and_saveexec_b64 s[30:31], s[2:3]
	s_cbranch_execz .LBB91_15
; %bb.27:                               ;   in Loop: Header=BB91_17 Depth=3
	s_mul_i32 s78, s76, s21
	v_cmp_gt_u32_e64 s[4:5], s77, v2
	s_lshl_b32 s79, s77, 3
	s_mov_b64 s[40:41], 0
	v_mov_b32_e32 v11, v6
	s_branch .LBB91_29
.LBB91_28:                              ;   in Loop: Header=BB91_29 Depth=4
	s_or_b64 exec, exec, s[42:43]
	v_add_u32_e32 v11, s48, v11
	v_cmp_le_u32_e32 vcc, s72, v11
	s_or_b64 s[40:41], vcc, s[40:41]
	s_andn2_b64 exec, exec, s[40:41]
	s_cbranch_execz .LBB91_15
.LBB91_29:                              ;   Parent Loop BB91_3 Depth=1
                                        ;     Parent Loop BB91_7 Depth=2
                                        ;       Parent Loop BB91_17 Depth=3
                                        ; =>      This Loop Header: Depth=4
                                        ;           Child Loop BB91_32 Depth 5
                                        ;             Child Loop BB91_34 Depth 6
	s_and_saveexec_b64 s[42:43], s[4:5]
	s_cbranch_execz .LBB91_28
; %bb.30:                               ;   in Loop: Header=BB91_29 Depth=4
	v_mov_b32_e32 v0, s74
	v_mov_b32_e32 v4, s70
	v_cmp_gt_u32_e32 vcc, s71, v11
	v_cndmask_b32_e32 v0, v0, v4, vcc
	v_add_u32_e32 v12, v11, v0
	v_mad_u64_u32 v[4:5], s[44:45], v12, s56, 0
	v_mov_b32_e32 v0, v5
	v_mad_u64_u32 v[12:13], s[44:45], v12, s55, v[0:1]
	v_mov_b32_e32 v5, v12
	v_lshlrev_b64 v[4:5], 3, v[4:5]
	v_mov_b32_e32 v0, s66
	v_add_co_u32_e32 v12, vcc, s9, v4
	v_addc_co_u32_e32 v13, vcc, v0, v5, vcc
	s_mov_b64 s[44:45], 0
	v_mov_b32_e32 v14, v9
	v_mov_b32_e32 v15, v2
	s_branch .LBB91_32
.LBB91_31:                              ;   in Loop: Header=BB91_32 Depth=5
	v_add_u32_e32 v0, s78, v15
	v_lshlrev_b64 v[16:17], 3, v[0:1]
	v_add_co_u32_e32 v16, vcc, v12, v16
	v_addc_co_u32_e32 v17, vcc, v13, v17, vcc
	v_add_u32_e32 v15, s27, v15
	v_cmp_le_u32_e32 vcc, s77, v15
	s_or_b64 s[44:45], vcc, s[44:45]
	v_add_u32_e32 v14, s65, v14
	global_store_dwordx2 v[16:17], v[4:5], off
	s_andn2_b64 exec, exec, s[44:45]
	s_cbranch_execz .LBB91_28
.LBB91_32:                              ;   Parent Loop BB91_3 Depth=1
                                        ;     Parent Loop BB91_7 Depth=2
                                        ;       Parent Loop BB91_17 Depth=3
                                        ;         Parent Loop BB91_29 Depth=4
                                        ; =>        This Loop Header: Depth=5
                                        ;             Child Loop BB91_34 Depth 6
	v_mov_b32_e32 v5, 0
	s_andn2_b64 vcc, exec, s[28:29]
	v_mov_b32_e32 v4, v5
	s_cbranch_vccnz .LBB91_31
; %bb.33:                               ;   in Loop: Header=BB91_32 Depth=5
	v_mov_b32_e32 v4, 0
	v_mov_b32_e32 v0, v11
	;; [unrolled: 1-line block ×3, first 2 shown]
	s_mov_b32 s80, s72
	v_mov_b32_e32 v5, v4
.LBB91_34:                              ;   Parent Loop BB91_3 Depth=1
                                        ;     Parent Loop BB91_7 Depth=2
                                        ;       Parent Loop BB91_17 Depth=3
                                        ;         Parent Loop BB91_29 Depth=4
                                        ;           Parent Loop BB91_32 Depth=5
                                        ; =>          This Inner Loop Header: Depth=6
	v_lshlrev_b64 v[18:19], 3, v[0:1]
	v_add_co_u32_e32 v18, vcc, s73, v18
	v_addc_co_u32_e32 v19, vcc, v10, v19, vcc
	flat_load_dwordx2 v[18:19], v[18:19]
	ds_read2_b32 v[20:21], v16 offset1:1
	s_add_i32 s80, s80, -1
	v_add_u32_e32 v16, s79, v16
	v_add_u32_e32 v0, s49, v0
	s_cmp_eq_u32 s80, 0
	s_waitcnt vmcnt(0) lgkmcnt(0)
	v_pk_mul_f32 v[22:23], v[18:19], v[20:21] op_sel:[0,1]
	v_pk_fma_f32 v[24:25], v[18:19], v[20:21], v[22:23] op_sel:[0,0,1] op_sel_hi:[1,1,0] neg_lo:[0,0,1] neg_hi:[0,0,1]
	v_pk_fma_f32 v[18:19], v[18:19], v[20:21], v[22:23] op_sel:[0,0,1] op_sel_hi:[1,0,0]
	v_mov_b32_e32 v25, v19
	v_pk_add_f32 v[4:5], v[4:5], v[24:25]
	s_cbranch_scc0 .LBB91_34
	s_branch .LBB91_31
.LBB91_35:
	s_endpgm
	.section	.rodata,"a",@progbits
	.p2align	6, 0x0
	.amdhsa_kernel _ZN9rocsolver6v33100L17syevj_offd_rotateILb0E19rocblas_complex_numIfEfPS3_EEvbiiT2_iilPT0_PiS8_S8_i
		.amdhsa_group_segment_fixed_size 0
		.amdhsa_private_segment_fixed_size 0
		.amdhsa_kernarg_size 336
		.amdhsa_user_sgpr_count 6
		.amdhsa_user_sgpr_private_segment_buffer 1
		.amdhsa_user_sgpr_dispatch_ptr 0
		.amdhsa_user_sgpr_queue_ptr 0
		.amdhsa_user_sgpr_kernarg_segment_ptr 1
		.amdhsa_user_sgpr_dispatch_id 0
		.amdhsa_user_sgpr_flat_scratch_init 0
		.amdhsa_user_sgpr_kernarg_preload_length 0
		.amdhsa_user_sgpr_kernarg_preload_offset 0
		.amdhsa_user_sgpr_private_segment_size 0
		.amdhsa_uses_dynamic_stack 0
		.amdhsa_system_sgpr_private_segment_wavefront_offset 0
		.amdhsa_system_sgpr_workgroup_id_x 1
		.amdhsa_system_sgpr_workgroup_id_y 1
		.amdhsa_system_sgpr_workgroup_id_z 1
		.amdhsa_system_sgpr_workgroup_info 0
		.amdhsa_system_vgpr_workitem_id 1
		.amdhsa_next_free_vgpr 26
		.amdhsa_next_free_sgpr 81
		.amdhsa_accum_offset 28
		.amdhsa_reserve_vcc 1
		.amdhsa_reserve_flat_scratch 0
		.amdhsa_float_round_mode_32 0
		.amdhsa_float_round_mode_16_64 0
		.amdhsa_float_denorm_mode_32 3
		.amdhsa_float_denorm_mode_16_64 3
		.amdhsa_dx10_clamp 1
		.amdhsa_ieee_mode 1
		.amdhsa_fp16_overflow 0
		.amdhsa_tg_split 0
		.amdhsa_exception_fp_ieee_invalid_op 0
		.amdhsa_exception_fp_denorm_src 0
		.amdhsa_exception_fp_ieee_div_zero 0
		.amdhsa_exception_fp_ieee_overflow 0
		.amdhsa_exception_fp_ieee_underflow 0
		.amdhsa_exception_fp_ieee_inexact 0
		.amdhsa_exception_int_div_zero 0
	.end_amdhsa_kernel
	.section	.text._ZN9rocsolver6v33100L17syevj_offd_rotateILb0E19rocblas_complex_numIfEfPS3_EEvbiiT2_iilPT0_PiS8_S8_i,"axG",@progbits,_ZN9rocsolver6v33100L17syevj_offd_rotateILb0E19rocblas_complex_numIfEfPS3_EEvbiiT2_iilPT0_PiS8_S8_i,comdat
.Lfunc_end91:
	.size	_ZN9rocsolver6v33100L17syevj_offd_rotateILb0E19rocblas_complex_numIfEfPS3_EEvbiiT2_iilPT0_PiS8_S8_i, .Lfunc_end91-_ZN9rocsolver6v33100L17syevj_offd_rotateILb0E19rocblas_complex_numIfEfPS3_EEvbiiT2_iilPT0_PiS8_S8_i
                                        ; -- End function
	.section	.AMDGPU.csdata,"",@progbits
; Kernel info:
; codeLenInByte = 1528
; NumSgprs: 85
; NumVgprs: 26
; NumAgprs: 0
; TotalNumVgprs: 26
; ScratchSize: 0
; MemoryBound: 0
; FloatMode: 240
; IeeeMode: 1
; LDSByteSize: 0 bytes/workgroup (compile time only)
; SGPRBlocks: 10
; VGPRBlocks: 3
; NumSGPRsForWavesPerEU: 85
; NumVGPRsForWavesPerEU: 26
; AccumOffset: 28
; Occupancy: 8
; WaveLimiterHint : 1
; COMPUTE_PGM_RSRC2:SCRATCH_EN: 0
; COMPUTE_PGM_RSRC2:USER_SGPR: 6
; COMPUTE_PGM_RSRC2:TRAP_HANDLER: 0
; COMPUTE_PGM_RSRC2:TGID_X_EN: 1
; COMPUTE_PGM_RSRC2:TGID_Y_EN: 1
; COMPUTE_PGM_RSRC2:TGID_Z_EN: 1
; COMPUTE_PGM_RSRC2:TIDIG_COMP_CNT: 1
; COMPUTE_PGM_RSRC3_GFX90A:ACCUM_OFFSET: 6
; COMPUTE_PGM_RSRC3_GFX90A:TG_SPLIT: 0
	.section	.text._ZN9rocsolver6v33100L21syevj_offd_rotate_orgILb1E19rocblas_complex_numIfEfPS3_EEvbiiT2_iilPT0_PiS8_S8_,"axG",@progbits,_ZN9rocsolver6v33100L21syevj_offd_rotate_orgILb1E19rocblas_complex_numIfEfPS3_EEvbiiT2_iilPT0_PiS8_S8_,comdat
	.globl	_ZN9rocsolver6v33100L21syevj_offd_rotate_orgILb1E19rocblas_complex_numIfEfPS3_EEvbiiT2_iilPT0_PiS8_S8_ ; -- Begin function _ZN9rocsolver6v33100L21syevj_offd_rotate_orgILb1E19rocblas_complex_numIfEfPS3_EEvbiiT2_iilPT0_PiS8_S8_
	.p2align	8
	.type	_ZN9rocsolver6v33100L21syevj_offd_rotate_orgILb1E19rocblas_complex_numIfEfPS3_EEvbiiT2_iilPT0_PiS8_S8_,@function
_ZN9rocsolver6v33100L21syevj_offd_rotate_orgILb1E19rocblas_complex_numIfEfPS3_EEvbiiT2_iilPT0_PiS8_S8_: ; @_ZN9rocsolver6v33100L21syevj_offd_rotate_orgILb1E19rocblas_complex_numIfEfPS3_EEvbiiT2_iilPT0_PiS8_S8_
; %bb.0:
	s_load_dwordx2 s[0:1], s[4:5], 0x40
	s_ashr_i32 s9, s8, 31
	s_lshl_b64 s[2:3], s[8:9], 2
	s_waitcnt lgkmcnt(0)
	s_add_u32 s0, s0, s2
	s_addc_u32 s1, s1, s3
	s_load_dword s0, s[0:1], 0x4
	s_waitcnt lgkmcnt(0)
	s_cmp_lg_u32 s0, 0
	s_cbranch_scc0 .LBB92_2
.LBB92_1:
	s_endpgm
.LBB92_2:
	s_load_dwordx8 s[12:19], s[4:5], 0x20
	s_mov_b32 s20, s7
	s_ashr_i32 s7, s6, 31
	s_lshl_b64 s[0:1], s[6:7], 2
	s_waitcnt lgkmcnt(0)
	s_add_u32 s2, s16, s0
	s_addc_u32 s3, s17, s1
	s_add_u32 s10, s18, s0
	s_load_dword s7, s[2:3], 0x0
	s_addc_u32 s11, s19, s1
	s_load_dword s16, s[10:11], 0x0
	s_load_dwordx4 s[0:3], s[4:5], 0x0
	s_waitcnt lgkmcnt(0)
	s_max_i32 s3, s7, s16
	s_cmp_ge_i32 s3, s1
	s_cbranch_scc1 .LBB92_1
; %bb.3:
	s_add_u32 s10, s4, 0x48
	s_addc_u32 s11, s5, 0
	s_bitcmp1_b32 s0, 0
	s_cselect_b64 s[0:1], -1, 0
	s_xor_b64 s[0:1], s[0:1], -1
	s_min_i32 s17, s7, s16
	s_and_b64 vcc, exec, s[0:1]
	s_mov_b32 s16, s20
	s_cbranch_vccnz .LBB92_5
; %bb.4:
	s_lshr_b32 s0, s16, 31
	s_add_i32 s0, s16, s0
	s_ashr_i32 s7, s0, 1
	s_cmp_lg_u32 s7, s17
	s_cselect_b64 s[0:1], -1, 0
	s_cmp_lg_u32 s7, s3
	s_cselect_b64 s[18:19], -1, 0
	s_and_b64 s[0:1], s[0:1], s[18:19]
.LBB92_5:
	s_andn2_b64 vcc, exec, s[0:1]
	s_cbranch_vccnz .LBB92_1
; %bb.6:
	s_load_dword s1, s[10:11], 0xc
	v_and_b32_e32 v7, 0x3ff, v0
	v_bfe_u32 v0, v0, 10, 10
	s_waitcnt lgkmcnt(0)
	s_bfe_u32 s7, s1, 0xf0001
	s_mul_i32 s10, s3, s7
	s_mul_i32 s0, s17, s7
	s_sub_i32 s3, s10, s7
	s_lshr_b32 s11, s1, 16
	v_mov_b32_e32 v1, s0
	v_mov_b32_e32 v2, s3
	v_cmp_gt_u32_e32 vcc, s7, v7
	v_cndmask_b32_e32 v1, v2, v1, vcc
	s_mul_i32 s3, s16, s11
	v_add_u32_e32 v6, v1, v7
	v_add_u32_e32 v0, s3, v0
	v_max_i32_e32 v1, v6, v0
	v_cmp_gt_i32_e32 vcc, s2, v1
	s_and_saveexec_b64 s[16:17], vcc
	s_cbranch_execz .LBB92_1
; %bb.7:
	s_load_dword s11, s[4:5], 0x48
	s_load_dwordx4 s[16:19], s[4:5], 0x10
	s_mul_i32 s9, s9, s12
	s_and_b32 s1, s1, 0xffff
	s_lshl_b32 s3, s7, 1
	s_waitcnt lgkmcnt(0)
	s_mul_i32 s4, s11, s8
	s_mul_i32 s11, s8, s13
	s_mul_hi_u32 s13, s8, s12
	s_add_i32 s11, s13, s11
	s_add_i32 s9, s11, s9
	s_mul_i32 s8, s8, s12
	s_ashr_i32 s5, s18, 31
	s_add_i32 s6, s4, s6
	s_lshl_b64 s[8:9], s[8:9], 3
	s_mov_b32 s4, s18
	s_add_u32 s8, s16, s8
	s_addc_u32 s9, s17, s9
	s_lshl_b64 s[4:5], s[4:5], 3
	s_mul_i32 s6, s6, s7
	s_add_u32 s4, s8, s4
	s_mul_i32 s6, s6, s7
	s_addc_u32 s5, s9, s5
	s_lshl_b32 s8, s6, 2
	s_ashr_i32 s9, s8, 31
	s_lshl_b64 s[8:9], s[8:9], 3
	s_add_u32 s6, s14, s8
	s_addc_u32 s8, s15, s9
	s_cmp_gt_u32 s1, 1
	v_mul_lo_u32 v9, v0, s19
	s_cbranch_scc0 .LBB92_11
; %bb.8:
	v_mul_lo_u32 v8, v0, s19
	v_mov_b32_e32 v0, 0
	v_add_u32_e32 v2, s0, v8
	v_mov_b32_e32 v5, 0
	v_mov_b32_e32 v10, s8
	;; [unrolled: 1-line block ×4, first 2 shown]
	s_mov_b32 s0, s7
	v_mov_b32_e32 v1, v0
.LBB92_9:                               ; =>This Inner Loop Header: Depth=1
	v_lshlrev_b64 v[12:13], 3, v[4:5]
	v_ashrrev_i32_e32 v3, 31, v2
	v_add_co_u32_e32 v12, vcc, s6, v12
	v_addc_co_u32_e32 v13, vcc, v10, v13, vcc
	v_lshlrev_b64 v[14:15], 3, v[2:3]
	v_add_co_u32_e32 v14, vcc, s4, v14
	v_addc_co_u32_e32 v15, vcc, v11, v15, vcc
	global_load_dwordx2 v[12:13], v[12:13], off
	s_add_i32 s0, s0, -1
	global_load_dwordx2 v[14:15], v[14:15], off
	v_add_u32_e32 v4, s3, v4
	v_add_u32_e32 v2, 1, v2
	s_cmp_eq_u32 s0, 0
	s_waitcnt vmcnt(0)
	v_pk_mul_f32 v[16:17], v[12:13], v[14:15] op_sel:[1,0]
	v_pk_fma_f32 v[18:19], v[12:13], v[14:15], v[16:17] op_sel:[0,0,1] op_sel_hi:[1,1,0]
	v_pk_fma_f32 v[12:13], v[12:13], v[14:15], v[16:17] op_sel:[0,0,1] op_sel_hi:[0,1,0] neg_lo:[0,0,1] neg_hi:[0,0,1]
	v_mov_b32_e32 v19, v13
	v_pk_add_f32 v[0:1], v[0:1], v[18:19]
	s_cbranch_scc0 .LBB92_9
; %bb.10:
	s_mov_b64 s[0:1], 0
	s_branch .LBB92_12
.LBB92_11:
	s_mov_b64 s[0:1], -1
                                        ; implicit-def: $vgpr0_vgpr1
                                        ; implicit-def: $vgpr8
.LBB92_12:
	s_and_b64 vcc, exec, s[0:1]
	s_cbranch_vccz .LBB92_14
; %bb.13:
	s_mov_b32 s0, 0
	s_mov_b32 s1, s0
	v_pk_mov_b32 v[0:1], s[0:1], s[0:1] op_sel:[0,1]
	v_mov_b32_e32 v8, v9
.LBB92_14:
	s_sub_i32 s0, s2, s10
	s_min_i32 s0, s0, s7
	s_cmp_lt_i32 s0, 1
	s_cbranch_scc1 .LBB92_17
; %bb.15:
	s_mul_i32 s7, s7, s7
	v_add_u32_e32 v2, s10, v8
	v_lshl_add_u32 v4, s7, 1, v7
	v_mov_b32_e32 v5, 0
	v_mov_b32_e32 v7, s8
	;; [unrolled: 1-line block ×3, first 2 shown]
.LBB92_16:                              ; =>This Inner Loop Header: Depth=1
	v_lshlrev_b64 v[10:11], 3, v[4:5]
	v_ashrrev_i32_e32 v3, 31, v2
	v_add_co_u32_e32 v10, vcc, s6, v10
	v_addc_co_u32_e32 v11, vcc, v7, v11, vcc
	v_lshlrev_b64 v[12:13], 3, v[2:3]
	v_add_co_u32_e32 v12, vcc, s4, v12
	v_addc_co_u32_e32 v13, vcc, v9, v13, vcc
	global_load_dwordx2 v[10:11], v[10:11], off
	s_add_i32 s0, s0, -1
	global_load_dwordx2 v[12:13], v[12:13], off
	v_add_u32_e32 v4, s3, v4
	v_add_u32_e32 v2, 1, v2
	s_cmp_lg_u32 s0, 0
	s_waitcnt vmcnt(0)
	v_pk_mul_f32 v[14:15], v[10:11], v[12:13] op_sel:[1,0]
	v_pk_fma_f32 v[16:17], v[10:11], v[12:13], v[14:15] op_sel:[0,0,1] op_sel_hi:[1,1,0]
	v_pk_fma_f32 v[10:11], v[10:11], v[12:13], v[14:15] op_sel:[0,0,1] op_sel_hi:[0,1,0] neg_lo:[0,0,1] neg_hi:[0,0,1]
	v_mov_b32_e32 v17, v11
	v_pk_add_f32 v[0:1], v[0:1], v[16:17]
	s_cbranch_scc1 .LBB92_16
.LBB92_17:
	v_add_u32_e32 v2, v6, v8
	v_ashrrev_i32_e32 v3, 31, v2
	v_lshlrev_b64 v[2:3], 3, v[2:3]
	v_mov_b32_e32 v4, s5
	v_add_co_u32_e32 v2, vcc, s4, v2
	v_addc_co_u32_e32 v3, vcc, v4, v3, vcc
	s_barrier
	global_store_dwordx2 v[2:3], v[0:1], off
	s_endpgm
	.section	.rodata,"a",@progbits
	.p2align	6, 0x0
	.amdhsa_kernel _ZN9rocsolver6v33100L21syevj_offd_rotate_orgILb1E19rocblas_complex_numIfEfPS3_EEvbiiT2_iilPT0_PiS8_S8_
		.amdhsa_group_segment_fixed_size 0
		.amdhsa_private_segment_fixed_size 0
		.amdhsa_kernarg_size 328
		.amdhsa_user_sgpr_count 6
		.amdhsa_user_sgpr_private_segment_buffer 1
		.amdhsa_user_sgpr_dispatch_ptr 0
		.amdhsa_user_sgpr_queue_ptr 0
		.amdhsa_user_sgpr_kernarg_segment_ptr 1
		.amdhsa_user_sgpr_dispatch_id 0
		.amdhsa_user_sgpr_flat_scratch_init 0
		.amdhsa_user_sgpr_kernarg_preload_length 0
		.amdhsa_user_sgpr_kernarg_preload_offset 0
		.amdhsa_user_sgpr_private_segment_size 0
		.amdhsa_uses_dynamic_stack 0
		.amdhsa_system_sgpr_private_segment_wavefront_offset 0
		.amdhsa_system_sgpr_workgroup_id_x 1
		.amdhsa_system_sgpr_workgroup_id_y 1
		.amdhsa_system_sgpr_workgroup_id_z 1
		.amdhsa_system_sgpr_workgroup_info 0
		.amdhsa_system_vgpr_workitem_id 1
		.amdhsa_next_free_vgpr 20
		.amdhsa_next_free_sgpr 21
		.amdhsa_accum_offset 20
		.amdhsa_reserve_vcc 1
		.amdhsa_reserve_flat_scratch 0
		.amdhsa_float_round_mode_32 0
		.amdhsa_float_round_mode_16_64 0
		.amdhsa_float_denorm_mode_32 3
		.amdhsa_float_denorm_mode_16_64 3
		.amdhsa_dx10_clamp 1
		.amdhsa_ieee_mode 1
		.amdhsa_fp16_overflow 0
		.amdhsa_tg_split 0
		.amdhsa_exception_fp_ieee_invalid_op 0
		.amdhsa_exception_fp_denorm_src 0
		.amdhsa_exception_fp_ieee_div_zero 0
		.amdhsa_exception_fp_ieee_overflow 0
		.amdhsa_exception_fp_ieee_underflow 0
		.amdhsa_exception_fp_ieee_inexact 0
		.amdhsa_exception_int_div_zero 0
	.end_amdhsa_kernel
	.section	.text._ZN9rocsolver6v33100L21syevj_offd_rotate_orgILb1E19rocblas_complex_numIfEfPS3_EEvbiiT2_iilPT0_PiS8_S8_,"axG",@progbits,_ZN9rocsolver6v33100L21syevj_offd_rotate_orgILb1E19rocblas_complex_numIfEfPS3_EEvbiiT2_iilPT0_PiS8_S8_,comdat
.Lfunc_end92:
	.size	_ZN9rocsolver6v33100L21syevj_offd_rotate_orgILb1E19rocblas_complex_numIfEfPS3_EEvbiiT2_iilPT0_PiS8_S8_, .Lfunc_end92-_ZN9rocsolver6v33100L21syevj_offd_rotate_orgILb1E19rocblas_complex_numIfEfPS3_EEvbiiT2_iilPT0_PiS8_S8_
                                        ; -- End function
	.section	.AMDGPU.csdata,"",@progbits
; Kernel info:
; codeLenInByte = 840
; NumSgprs: 25
; NumVgprs: 20
; NumAgprs: 0
; TotalNumVgprs: 20
; ScratchSize: 0
; MemoryBound: 0
; FloatMode: 240
; IeeeMode: 1
; LDSByteSize: 0 bytes/workgroup (compile time only)
; SGPRBlocks: 3
; VGPRBlocks: 2
; NumSGPRsForWavesPerEU: 25
; NumVGPRsForWavesPerEU: 20
; AccumOffset: 20
; Occupancy: 8
; WaveLimiterHint : 0
; COMPUTE_PGM_RSRC2:SCRATCH_EN: 0
; COMPUTE_PGM_RSRC2:USER_SGPR: 6
; COMPUTE_PGM_RSRC2:TRAP_HANDLER: 0
; COMPUTE_PGM_RSRC2:TGID_X_EN: 1
; COMPUTE_PGM_RSRC2:TGID_Y_EN: 1
; COMPUTE_PGM_RSRC2:TGID_Z_EN: 1
; COMPUTE_PGM_RSRC2:TIDIG_COMP_CNT: 1
; COMPUTE_PGM_RSRC3_GFX90A:ACCUM_OFFSET: 4
; COMPUTE_PGM_RSRC3_GFX90A:TG_SPLIT: 0
	.section	.text._ZN9rocsolver6v33100L17syevj_offd_rotateILb1E19rocblas_complex_numIfEfPS3_EEvbiiT2_iilPT0_PiS8_S8_i,"axG",@progbits,_ZN9rocsolver6v33100L17syevj_offd_rotateILb1E19rocblas_complex_numIfEfPS3_EEvbiiT2_iilPT0_PiS8_S8_i,comdat
	.globl	_ZN9rocsolver6v33100L17syevj_offd_rotateILb1E19rocblas_complex_numIfEfPS3_EEvbiiT2_iilPT0_PiS8_S8_i ; -- Begin function _ZN9rocsolver6v33100L17syevj_offd_rotateILb1E19rocblas_complex_numIfEfPS3_EEvbiiT2_iilPT0_PiS8_S8_i
	.p2align	8
	.type	_ZN9rocsolver6v33100L17syevj_offd_rotateILb1E19rocblas_complex_numIfEfPS3_EEvbiiT2_iilPT0_PiS8_S8_i,@function
_ZN9rocsolver6v33100L17syevj_offd_rotateILb1E19rocblas_complex_numIfEfPS3_EEvbiiT2_iilPT0_PiS8_S8_i: ; @_ZN9rocsolver6v33100L17syevj_offd_rotateILb1E19rocblas_complex_numIfEfPS3_EEvbiiT2_iilPT0_PiS8_S8_i
; %bb.0:
	s_load_dwordx4 s[20:23], s[4:5], 0x0
	s_load_dword s33, s[4:5], 0x48
	s_waitcnt lgkmcnt(0)
	s_abs_i32 s2, s21
	v_cvt_f32_u32_e32 v1, s2
	s_cmp_ge_u32 s8, s33
	v_rcp_iflag_f32_e32 v1, v1
	v_mul_f32_e32 v1, 0x4f7ffffe, v1
	v_cvt_u32_f32_e32 v1, v1
	v_readfirstlane_b32 s0, v1
	s_cbranch_scc1 .LBB93_35
; %bb.1:
	s_add_i32 s1, s22, -1
	s_ashr_i32 s3, s1, 31
	s_abs_i32 s10, s1
	s_sub_i32 s1, 0, s2
	s_mul_i32 s1, s1, s0
	s_mul_hi_u32 s1, s0, s1
	s_ashr_i32 s9, s21, 31
	s_add_i32 s0, s0, s1
	s_bitcmp1_b32 s20, 0
	s_mul_hi_u32 s23, s10, s0
	s_cselect_b64 s[0:1], -1, 0
	v_cndmask_b32_e64 v3, 0, 1, s[0:1]
	s_xor_b64 s[34:35], s[0:1], -1
	s_mul_i32 s1, s23, s2
	s_sub_i32 s1, s10, s1
	s_xor_b32 s0, s3, s9
	s_add_i32 s3, s23, 1
	s_sub_i32 s9, s1, s2
	s_cmp_ge_u32 s1, s2
	s_cselect_b32 s3, s3, s23
	s_cselect_b32 s1, s9, s1
	s_add_i32 s9, s3, 1
	s_cmp_ge_u32 s1, s2
	s_cselect_b32 s1, s9, s3
	s_xor_b32 s1, s1, s0
	s_sub_i32 s20, s1, s0
	s_add_i32 s46, s20, 1
	s_lshr_b32 s0, s46, 31
	s_add_i32 s0, s46, s0
	s_and_b32 s0, s0, -2
	s_load_dwordx4 s[28:31], s[4:5], 0x10
	s_load_dwordx8 s[12:19], s[4:5], 0x20
	s_sub_i32 s0, s46, s0
	s_load_dwordx2 s[2:3], s[4:5], 0x40
	s_load_dwordx4 s[24:27], s[4:5], 0x50
	s_add_i32 s0, s0, s46
	s_lshr_b32 s1, s0, 31
	s_lshl_b32 s49, s21, 1
	s_add_i32 s0, s0, s1
	s_mul_i32 s4, s49, s21
	s_ashr_i32 s47, s0, 1
	s_lshl_b32 s0, s4, 3
	s_waitcnt lgkmcnt(0)
	s_lshr_b32 s48, s27, 16
	s_and_b32 s27, s27, 0xffff
	s_add_i32 s50, s0, 0
	s_mul_i32 s4, s4, 3
	s_cmpk_lt_u32 s4, 0x2001
	s_mul_i32 s9, s21, s21
	s_mov_b64 s[0:1], src_shared_base
	s_cselect_b64 s[36:37], -1, 0
	s_ashr_i32 s5, s30, 31
	s_lshl_b32 s52, s9, 2
	s_cmp_lt_u32 s6, s47
	s_mul_i32 s0, s20, s21
	s_cselect_b64 s[38:39], -1, 0
	s_sub_i32 s53, s22, s0
	s_cmp_lt_u32 s7, s46
	s_cselect_b64 s[22:23], -1, 0
	s_ashr_i32 s55, s31, 31
	s_mov_b32 s4, s30
	s_add_u32 s57, s2, 4
	s_addc_u32 s58, s3, 0
	s_lshl_b64 s[2:3], s[4:5], 3
	s_add_u32 s59, s28, s2
	v_and_b32_e32 v2, 0x3ff, v0
	v_bfe_u32 v6, v0, 10, 10
	s_addc_u32 s60, s29, s3
	s_lshl_b32 s2, s9, 4
	v_mad_u32_u24 v7, v6, s27, v2
	s_mul_i32 s54, s48, s27
	s_add_i32 s2, s2, 0
	s_mov_b32 s11, 0
	s_mov_b32 s51, s1
	v_cmp_gt_u32_e64 s[0:1], s52, v7
	s_mov_b32 s56, s31
	v_lshl_add_u32 v8, v7, 3, s2
	s_lshl_b32 s61, s54, 3
	s_lshl_b32 s62, s48, 3
	;; [unrolled: 1-line block ×3, first 2 shown]
	v_lshlrev_b32_e32 v9, 3, v6
	v_mov_b32_e32 v1, 0
	s_branch .LBB93_3
.LBB93_2:                               ;   in Loop: Header=BB93_3 Depth=1
	s_add_i32 s8, s8, s26
	s_cmp_ge_u32 s8, s33
	s_cbranch_scc1 .LBB93_35
.LBB93_3:                               ; =>This Loop Header: Depth=1
                                        ;     Child Loop BB93_7 Depth 2
                                        ;       Child Loop BB93_11 Depth 3
                                        ;       Child Loop BB93_17 Depth 3
                                        ;         Child Loop BB93_23 Depth 4
                                        ;           Child Loop BB93_25 Depth 5
                                        ;         Child Loop BB93_29 Depth 4
                                        ;           Child Loop BB93_32 Depth 5
                                        ;             Child Loop BB93_34 Depth 6
	s_mov_b32 s9, s11
	s_lshl_b64 s[2:3], s[8:9], 2
	s_add_u32 s2, s57, s2
	s_addc_u32 s3, s58, s3
	s_load_dword s2, s[2:3], 0x0
	s_waitcnt lgkmcnt(0)
	s_cmp_lg_u32 s2, 0
	s_cbranch_scc1 .LBB93_2
; %bb.4:                                ;   in Loop: Header=BB93_3 Depth=1
	s_andn2_b64 vcc, exec, s[38:39]
	s_cbranch_vccnz .LBB93_2
; %bb.5:                                ;   in Loop: Header=BB93_3 Depth=1
	s_mul_i32 s2, s8, s13
	s_mul_hi_u32 s3, s8, s12
	s_add_i32 s3, s3, s2
	s_mul_i32 s2, s8, s12
	s_lshl_b64 s[2:3], s[2:3], 3
	s_add_u32 s9, s59, s2
	s_addc_u32 s64, s60, s3
	s_mul_i32 s65, s8, s47
	s_mov_b32 s10, s6
	s_branch .LBB93_7
.LBB93_6:                               ;   in Loop: Header=BB93_7 Depth=2
	s_add_i32 s10, s10, s24
	s_cmp_lt_u32 s10, s47
	s_cbranch_scc0 .LBB93_2
.LBB93_7:                               ;   Parent Loop BB93_3 Depth=1
                                        ; =>  This Loop Header: Depth=2
                                        ;       Child Loop BB93_11 Depth 3
                                        ;       Child Loop BB93_17 Depth 3
                                        ;         Child Loop BB93_23 Depth 4
                                        ;           Child Loop BB93_25 Depth 5
                                        ;         Child Loop BB93_29 Depth 4
                                        ;           Child Loop BB93_32 Depth 5
                                        ;             Child Loop BB93_34 Depth 6
	s_lshl_b64 s[2:3], s[10:11], 2
	s_add_u32 s4, s16, s2
	s_addc_u32 s5, s17, s3
	s_add_u32 s2, s18, s2
	s_addc_u32 s3, s19, s3
	global_load_dword v0, v1, s[2:3]
	global_load_dword v4, v1, s[4:5]
	s_waitcnt vmcnt(1)
	v_readfirstlane_b32 s28, v0
	s_waitcnt vmcnt(0)
	v_readfirstlane_b32 s29, v4
	s_max_i32 s66, s29, s28
	s_cmp_gt_i32 s66, s20
	s_cbranch_scc1 .LBB93_6
; %bb.8:                                ;   in Loop: Header=BB93_7 Depth=2
	s_add_i32 s2, s10, s65
	s_mul_i32 s2, s52, s2
	s_mov_b32 s3, s11
	s_lshl_b64 s[2:3], s[2:3], 3
	s_add_u32 s30, s14, s2
	s_addc_u32 s31, s15, s3
	s_andn2_b64 vcc, exec, s[36:37]
	s_cbranch_vccnz .LBB93_13
; %bb.9:                                ;   in Loop: Header=BB93_7 Depth=2
	s_barrier
	s_and_saveexec_b64 s[2:3], s[0:1]
	s_cbranch_execz .LBB93_12
; %bb.10:                               ;   in Loop: Header=BB93_7 Depth=2
	s_mov_b64 s[4:5], 0
	v_mov_b32_e32 v4, s31
	v_mov_b32_e32 v5, v8
	;; [unrolled: 1-line block ×3, first 2 shown]
.LBB93_11:                              ;   Parent Loop BB93_3 Depth=1
                                        ;     Parent Loop BB93_7 Depth=2
                                        ; =>    This Inner Loop Header: Depth=3
	v_lshlrev_b64 v[10:11], 3, v[0:1]
	v_add_co_u32_e32 v10, vcc, s30, v10
	v_addc_co_u32_e32 v11, vcc, v4, v11, vcc
	global_load_dwordx2 v[10:11], v[10:11], off
	v_add_u32_e32 v0, s54, v0
	v_cmp_le_u32_e32 vcc, s52, v0
	s_or_b64 s[4:5], vcc, s[4:5]
	s_waitcnt vmcnt(0)
	ds_write_b64 v5, v[10:11]
	v_add_u32_e32 v5, s61, v5
	s_andn2_b64 exec, exec, s[4:5]
	s_cbranch_execnz .LBB93_11
.LBB93_12:                              ;   in Loop: Header=BB93_7 Depth=2
	s_or_b64 exec, exec, s[2:3]
	s_waitcnt lgkmcnt(0)
	s_barrier
.LBB93_13:                              ;   in Loop: Header=BB93_7 Depth=2
	s_andn2_b64 vcc, exec, s[22:23]
	s_cbranch_vccnz .LBB93_6
; %bb.14:                               ;   in Loop: Header=BB93_7 Depth=2
	s_min_i32 s67, s28, s29
	s_cmp_eq_u32 s20, s67
	s_cselect_b32 s69, s53, s21
	s_cmp_eq_u32 s20, s66
	s_cselect_b32 s2, s53, s21
	s_add_i32 s70, s69, s2
	s_mul_i32 s4, s66, s21
	s_and_b64 s[2:3], s[36:37], exec
	s_cselect_b32 s71, s51, s31
	s_cselect_b32 s72, s50, s30
	s_sub_i32 s73, s4, s69
	s_cmp_gt_i32 s70, 0
	v_mad_u64_u32 v[4:5], s[4:5], v6, s70, v[2:3]
	v_mul_lo_u32 v0, v9, s70
	s_mul_i32 s68, s67, s21
	v_cmp_gt_u32_e64 s[2:3], s70, v2
	v_lshl_add_u32 v10, v4, 3, 0
	s_mul_i32 s74, s62, s70
	v_add_u32_e32 v11, 0, v0
	s_cselect_b64 s[28:29], -1, 0
	s_mov_b32 s75, s7
	s_branch .LBB93_17
.LBB93_15:                              ;   in Loop: Header=BB93_17 Depth=3
	s_or_b64 exec, exec, s[4:5]
	s_barrier
.LBB93_16:                              ;   in Loop: Header=BB93_17 Depth=3
	s_add_i32 s75, s75, s25
	s_cmp_lt_u32 s75, s46
	s_cbranch_scc0 .LBB93_6
.LBB93_17:                              ;   Parent Loop BB93_3 Depth=1
                                        ;     Parent Loop BB93_7 Depth=2
                                        ; =>    This Loop Header: Depth=3
                                        ;         Child Loop BB93_23 Depth 4
                                        ;           Child Loop BB93_25 Depth 5
                                        ;         Child Loop BB93_29 Depth 4
                                        ;           Child Loop BB93_32 Depth 5
                                        ;             Child Loop BB93_34 Depth 6
	v_cmp_ne_u32_e32 vcc, 1, v3
	s_mov_b64 s[4:5], s[34:35]
	s_cbranch_vccz .LBB93_19
; %bb.18:                               ;   in Loop: Header=BB93_17 Depth=3
	s_andn2_b64 vcc, exec, s[4:5]
	s_cbranch_vccnz .LBB93_16
	s_branch .LBB93_20
.LBB93_19:                              ;   in Loop: Header=BB93_17 Depth=3
	s_cmp_lg_u32 s75, s67
	s_cselect_b64 s[4:5], -1, 0
	s_cmp_lg_u32 s75, s66
	s_cselect_b64 s[30:31], -1, 0
	s_and_b64 s[4:5], s[4:5], s[30:31]
	s_andn2_b64 vcc, exec, s[4:5]
	s_cbranch_vccnz .LBB93_16
.LBB93_20:                              ;   in Loop: Header=BB93_17 Depth=3
	s_cmp_eq_u32 s20, s75
	s_cselect_b32 s77, s53, s21
	s_mul_i32 s76, s75, s21
	v_cmp_gt_u32_e32 vcc, s77, v6
	s_barrier
	s_and_saveexec_b64 s[30:31], vcc
	s_cbranch_execz .LBB93_26
; %bb.21:                               ;   in Loop: Header=BB93_17 Depth=3
	s_mov_b64 s[40:41], 0
	v_mov_b32_e32 v4, v10
	v_mov_b32_e32 v5, v6
	s_branch .LBB93_23
.LBB93_22:                              ;   in Loop: Header=BB93_23 Depth=4
	s_or_b64 exec, exec, s[42:43]
	v_add_u32_e32 v5, s48, v5
	v_cmp_le_u32_e64 s[4:5], s77, v5
	s_or_b64 s[40:41], s[4:5], s[40:41]
	v_add_u32_e32 v4, s74, v4
	s_andn2_b64 exec, exec, s[40:41]
	s_cbranch_execz .LBB93_26
.LBB93_23:                              ;   Parent Loop BB93_3 Depth=1
                                        ;     Parent Loop BB93_7 Depth=2
                                        ;       Parent Loop BB93_17 Depth=3
                                        ; =>      This Loop Header: Depth=4
                                        ;           Child Loop BB93_25 Depth 5
	s_and_saveexec_b64 s[42:43], s[2:3]
	s_cbranch_execz .LBB93_22
; %bb.24:                               ;   in Loop: Header=BB93_23 Depth=4
	v_add_u32_e32 v14, s76, v5
	v_mad_u64_u32 v[12:13], s[4:5], v14, s56, 0
	v_mov_b32_e32 v0, v13
	v_mad_u64_u32 v[14:15], s[4:5], v14, s55, v[0:1]
	v_mov_b32_e32 v13, v14
	v_lshlrev_b64 v[12:13], 3, v[12:13]
	v_mov_b32_e32 v0, s64
	v_add_co_u32_e64 v12, s[4:5], s9, v12
	v_addc_co_u32_e64 v13, s[4:5], v0, v13, s[4:5]
	s_mov_b64 s[44:45], 0
	v_mov_b32_e32 v14, v4
	v_mov_b32_e32 v15, v2
.LBB93_25:                              ;   Parent Loop BB93_3 Depth=1
                                        ;     Parent Loop BB93_7 Depth=2
                                        ;       Parent Loop BB93_17 Depth=3
                                        ;         Parent Loop BB93_23 Depth=4
                                        ; =>        This Inner Loop Header: Depth=5
	v_mov_b32_e32 v0, s73
	v_mov_b32_e32 v16, s68
	v_cmp_gt_u32_e64 s[4:5], s69, v15
	v_cndmask_b32_e64 v0, v0, v16, s[4:5]
	v_add_u32_e32 v0, v0, v15
	v_lshlrev_b64 v[16:17], 3, v[0:1]
	v_add_co_u32_e64 v16, s[4:5], v12, v16
	v_addc_co_u32_e64 v17, s[4:5], v13, v17, s[4:5]
	global_load_dwordx2 v[16:17], v[16:17], off
	v_add_u32_e32 v15, s27, v15
	v_cmp_le_u32_e64 s[4:5], s70, v15
	s_or_b64 s[44:45], s[4:5], s[44:45]
	s_waitcnt vmcnt(0)
	ds_write2_b32 v14, v16, v17 offset1:1
	v_add_u32_e32 v14, s63, v14
	s_andn2_b64 exec, exec, s[44:45]
	s_cbranch_execnz .LBB93_25
	s_branch .LBB93_22
.LBB93_26:                              ;   in Loop: Header=BB93_17 Depth=3
	s_or_b64 exec, exec, s[30:31]
	s_waitcnt lgkmcnt(0)
	s_barrier
	s_and_saveexec_b64 s[4:5], vcc
	s_cbranch_execz .LBB93_15
; %bb.27:                               ;   in Loop: Header=BB93_17 Depth=3
	s_mov_b64 s[30:31], 0
	v_mov_b32_e32 v12, v11
	v_mov_b32_e32 v13, v6
	s_branch .LBB93_29
.LBB93_28:                              ;   in Loop: Header=BB93_29 Depth=4
	s_or_b64 exec, exec, s[40:41]
	v_add_u32_e32 v13, s48, v13
	v_cmp_le_u32_e32 vcc, s77, v13
	s_or_b64 s[30:31], vcc, s[30:31]
	v_add_u32_e32 v12, s74, v12
	s_andn2_b64 exec, exec, s[30:31]
	s_cbranch_execz .LBB93_15
.LBB93_29:                              ;   Parent Loop BB93_3 Depth=1
                                        ;     Parent Loop BB93_7 Depth=2
                                        ;       Parent Loop BB93_17 Depth=3
                                        ; =>      This Loop Header: Depth=4
                                        ;           Child Loop BB93_32 Depth 5
                                        ;             Child Loop BB93_34 Depth 6
	s_and_saveexec_b64 s[40:41], s[2:3]
	s_cbranch_execz .LBB93_28
; %bb.30:                               ;   in Loop: Header=BB93_29 Depth=4
	v_add_u32_e32 v14, s76, v13
	v_mad_u64_u32 v[4:5], s[42:43], v14, s56, 0
	v_mov_b32_e32 v0, v5
	v_mad_u64_u32 v[14:15], s[42:43], v14, s55, v[0:1]
	v_mov_b32_e32 v5, v14
	v_lshlrev_b64 v[4:5], 3, v[4:5]
	v_mov_b32_e32 v0, s64
	v_add_co_u32_e32 v14, vcc, s9, v4
	v_addc_co_u32_e32 v15, vcc, v0, v5, vcc
	s_mov_b64 s[42:43], 0
	v_mov_b32_e32 v16, v2
	s_branch .LBB93_32
.LBB93_31:                              ;   in Loop: Header=BB93_32 Depth=5
	v_mov_b32_e32 v0, s73
	v_mov_b32_e32 v17, s68
	v_cmp_gt_u32_e32 vcc, s69, v16
	v_cndmask_b32_e32 v0, v0, v17, vcc
	v_add_u32_e32 v0, v16, v0
	v_lshlrev_b64 v[18:19], 3, v[0:1]
	v_add_co_u32_e32 v18, vcc, v14, v18
	v_addc_co_u32_e32 v19, vcc, v15, v19, vcc
	v_add_u32_e32 v16, s27, v16
	v_cmp_le_u32_e32 vcc, s70, v16
	s_or_b64 s[42:43], vcc, s[42:43]
	global_store_dwordx2 v[18:19], v[4:5], off
	s_andn2_b64 exec, exec, s[42:43]
	s_cbranch_execz .LBB93_28
.LBB93_32:                              ;   Parent Loop BB93_3 Depth=1
                                        ;     Parent Loop BB93_7 Depth=2
                                        ;       Parent Loop BB93_17 Depth=3
                                        ;         Parent Loop BB93_29 Depth=4
                                        ; =>        This Loop Header: Depth=5
                                        ;             Child Loop BB93_34 Depth 6
	v_mov_b32_e32 v5, 0
	s_andn2_b64 vcc, exec, s[28:29]
	v_mov_b32_e32 v4, v5
	s_cbranch_vccnz .LBB93_31
; %bb.33:                               ;   in Loop: Header=BB93_32 Depth=5
	v_mov_b32_e32 v4, 0
	v_mov_b32_e32 v17, v12
	;; [unrolled: 1-line block ×3, first 2 shown]
	s_mov_b32 s44, s70
	v_mov_b32_e32 v5, v4
.LBB93_34:                              ;   Parent Loop BB93_3 Depth=1
                                        ;     Parent Loop BB93_7 Depth=2
                                        ;       Parent Loop BB93_17 Depth=3
                                        ;         Parent Loop BB93_29 Depth=4
                                        ;           Parent Loop BB93_32 Depth=5
                                        ; =>          This Inner Loop Header: Depth=6
	v_lshlrev_b64 v[18:19], 3, v[0:1]
	v_mov_b32_e32 v20, s71
	v_add_co_u32_e32 v18, vcc, s72, v18
	v_addc_co_u32_e32 v19, vcc, v20, v19, vcc
	flat_load_dwordx2 v[18:19], v[18:19]
	ds_read2_b32 v[20:21], v17 offset1:1
	s_add_i32 s44, s44, -1
	v_add_u32_e32 v0, s49, v0
	v_add_u32_e32 v17, 8, v17
	s_cmp_eq_u32 s44, 0
	s_waitcnt vmcnt(0) lgkmcnt(0)
	v_pk_mul_f32 v[22:23], v[18:19], v[20:21] op_sel:[1,0]
	v_pk_fma_f32 v[24:25], v[18:19], v[20:21], v[22:23] op_sel:[0,0,1] op_sel_hi:[1,1,0]
	v_pk_fma_f32 v[18:19], v[18:19], v[20:21], v[22:23] op_sel:[0,0,1] op_sel_hi:[0,1,0] neg_lo:[0,0,1] neg_hi:[0,0,1]
	v_mov_b32_e32 v25, v19
	v_pk_add_f32 v[4:5], v[4:5], v[24:25]
	s_cbranch_scc0 .LBB93_34
	s_branch .LBB93_31
.LBB93_35:
	s_endpgm
	.section	.rodata,"a",@progbits
	.p2align	6, 0x0
	.amdhsa_kernel _ZN9rocsolver6v33100L17syevj_offd_rotateILb1E19rocblas_complex_numIfEfPS3_EEvbiiT2_iilPT0_PiS8_S8_i
		.amdhsa_group_segment_fixed_size 0
		.amdhsa_private_segment_fixed_size 0
		.amdhsa_kernarg_size 336
		.amdhsa_user_sgpr_count 6
		.amdhsa_user_sgpr_private_segment_buffer 1
		.amdhsa_user_sgpr_dispatch_ptr 0
		.amdhsa_user_sgpr_queue_ptr 0
		.amdhsa_user_sgpr_kernarg_segment_ptr 1
		.amdhsa_user_sgpr_dispatch_id 0
		.amdhsa_user_sgpr_flat_scratch_init 0
		.amdhsa_user_sgpr_kernarg_preload_length 0
		.amdhsa_user_sgpr_kernarg_preload_offset 0
		.amdhsa_user_sgpr_private_segment_size 0
		.amdhsa_uses_dynamic_stack 0
		.amdhsa_system_sgpr_private_segment_wavefront_offset 0
		.amdhsa_system_sgpr_workgroup_id_x 1
		.amdhsa_system_sgpr_workgroup_id_y 1
		.amdhsa_system_sgpr_workgroup_id_z 1
		.amdhsa_system_sgpr_workgroup_info 0
		.amdhsa_system_vgpr_workitem_id 1
		.amdhsa_next_free_vgpr 26
		.amdhsa_next_free_sgpr 78
		.amdhsa_accum_offset 28
		.amdhsa_reserve_vcc 1
		.amdhsa_reserve_flat_scratch 0
		.amdhsa_float_round_mode_32 0
		.amdhsa_float_round_mode_16_64 0
		.amdhsa_float_denorm_mode_32 3
		.amdhsa_float_denorm_mode_16_64 3
		.amdhsa_dx10_clamp 1
		.amdhsa_ieee_mode 1
		.amdhsa_fp16_overflow 0
		.amdhsa_tg_split 0
		.amdhsa_exception_fp_ieee_invalid_op 0
		.amdhsa_exception_fp_denorm_src 0
		.amdhsa_exception_fp_ieee_div_zero 0
		.amdhsa_exception_fp_ieee_overflow 0
		.amdhsa_exception_fp_ieee_underflow 0
		.amdhsa_exception_fp_ieee_inexact 0
		.amdhsa_exception_int_div_zero 0
	.end_amdhsa_kernel
	.section	.text._ZN9rocsolver6v33100L17syevj_offd_rotateILb1E19rocblas_complex_numIfEfPS3_EEvbiiT2_iilPT0_PiS8_S8_i,"axG",@progbits,_ZN9rocsolver6v33100L17syevj_offd_rotateILb1E19rocblas_complex_numIfEfPS3_EEvbiiT2_iilPT0_PiS8_S8_i,comdat
.Lfunc_end93:
	.size	_ZN9rocsolver6v33100L17syevj_offd_rotateILb1E19rocblas_complex_numIfEfPS3_EEvbiiT2_iilPT0_PiS8_S8_i, .Lfunc_end93-_ZN9rocsolver6v33100L17syevj_offd_rotateILb1E19rocblas_complex_numIfEfPS3_EEvbiiT2_iilPT0_PiS8_S8_i
                                        ; -- End function
	.section	.AMDGPU.csdata,"",@progbits
; Kernel info:
; codeLenInByte = 1512
; NumSgprs: 82
; NumVgprs: 26
; NumAgprs: 0
; TotalNumVgprs: 26
; ScratchSize: 0
; MemoryBound: 0
; FloatMode: 240
; IeeeMode: 1
; LDSByteSize: 0 bytes/workgroup (compile time only)
; SGPRBlocks: 10
; VGPRBlocks: 3
; NumSGPRsForWavesPerEU: 82
; NumVGPRsForWavesPerEU: 26
; AccumOffset: 28
; Occupancy: 8
; WaveLimiterHint : 1
; COMPUTE_PGM_RSRC2:SCRATCH_EN: 0
; COMPUTE_PGM_RSRC2:USER_SGPR: 6
; COMPUTE_PGM_RSRC2:TRAP_HANDLER: 0
; COMPUTE_PGM_RSRC2:TGID_X_EN: 1
; COMPUTE_PGM_RSRC2:TGID_Y_EN: 1
; COMPUTE_PGM_RSRC2:TGID_Z_EN: 1
; COMPUTE_PGM_RSRC2:TIDIG_COMP_CNT: 1
; COMPUTE_PGM_RSRC3_GFX90A:ACCUM_OFFSET: 6
; COMPUTE_PGM_RSRC3_GFX90A:TG_SPLIT: 0
	.section	.text._ZN9rocsolver6v33100L17syevj_cycle_pairsI19rocblas_complex_numIfEEEviPiS4_,"axG",@progbits,_ZN9rocsolver6v33100L17syevj_cycle_pairsI19rocblas_complex_numIfEEEviPiS4_,comdat
	.globl	_ZN9rocsolver6v33100L17syevj_cycle_pairsI19rocblas_complex_numIfEEEviPiS4_ ; -- Begin function _ZN9rocsolver6v33100L17syevj_cycle_pairsI19rocblas_complex_numIfEEEviPiS4_
	.p2align	8
	.type	_ZN9rocsolver6v33100L17syevj_cycle_pairsI19rocblas_complex_numIfEEEviPiS4_,@function
_ZN9rocsolver6v33100L17syevj_cycle_pairsI19rocblas_complex_numIfEEEviPiS4_: ; @_ZN9rocsolver6v33100L17syevj_cycle_pairsI19rocblas_complex_numIfEEEviPiS4_
; %bb.0:
	s_load_dword s8, s[4:5], 0x0
	s_load_dwordx4 s[0:3], s[4:5], 0x8
	s_load_dword s11, s[4:5], 0x24
	v_cmp_eq_u32_e32 vcc, 0, v0
	s_waitcnt lgkmcnt(0)
	s_add_i32 s9, s8, -1
	s_and_saveexec_b64 s[4:5], vcc
	s_cbranch_execz .LBB94_6
; %bb.1:
	s_lshl_b32 s6, s9, 1
	s_or_b32 s7, s6, 1
	s_bfe_i32 s10, s9, 0x1001e
	s_add_i32 s12, s7, s10
	s_xor_b32 s10, s12, s10
	v_cvt_f32_u32_e32 v1, s10
	s_load_dword s12, s[2:3], 0x0
	s_sub_i32 s14, 0, s10
	v_rcp_iflag_f32_e32 v1, v1
	s_waitcnt lgkmcnt(0)
	s_add_i32 s12, s12, -1
	s_ashr_i32 s13, s12, 31
	v_mul_f32_e32 v1, 0x4f7ffffe, v1
	v_cvt_u32_f32_e32 v1, v1
	s_abs_i32 s12, s12
	v_readfirstlane_b32 s15, v1
	s_mul_i32 s14, s14, s15
	s_mul_hi_u32 s14, s15, s14
	s_add_i32 s15, s15, s14
	s_mul_hi_u32 s14, s12, s15
	s_mul_i32 s14, s14, s10
	s_sub_i32 s12, s12, s14
	s_sub_i32 s14, s12, s10
	s_cmp_ge_u32 s12, s10
	s_cselect_b32 s12, s14, s12
	s_sub_i32 s14, s12, s10
	s_cmp_ge_u32 s12, s10
	s_cselect_b32 s10, s14, s12
	s_xor_b32 s10, s10, s13
	s_sub_i32 s10, s10, s13
	s_bitcmp0_b32 s10, 0
	s_cbranch_scc1 .LBB94_3
; %bb.2:
	s_add_i32 s12, s10, 3
	s_cmp_gt_i32 s12, s6
	s_cselect_b32 s12, s7, s12
	s_cbranch_execz .LBB94_4
	s_branch .LBB94_5
.LBB94_3:
                                        ; implicit-def: $sgpr12
.LBB94_4:
	s_add_i32 s6, s10, -1
	s_cmp_gt_i32 s10, 1
	s_cselect_b32 s12, s6, 2
.LBB94_5:
	v_mov_b32_e32 v1, 0
	v_mov_b32_e32 v2, s12
	global_store_dword v1, v2, s[2:3]
.LBB94_6:
	s_or_b64 exec, exec, s[4:5]
	v_add_u32_e32 v4, 1, v0
	v_cmp_gt_i32_e32 vcc, s8, v4
	s_and_saveexec_b64 s[4:5], vcc
	s_cbranch_execz .LBB94_17
; %bb.7:
	s_lshl_b32 s9, s9, 1
	s_or_b32 s10, s9, 1
	v_cvt_f32_u32_e32 v1, s10
	v_lshlrev_b32_e32 v0, 2, v0
	v_add_co_u32_e32 v0, vcc, 4, v0
	v_rcp_iflag_f32_e32 v1, v1
	s_and_b32 s11, 0xffff, s11
	s_mov_b32 s6, 0
	s_lshl_b32 s12, s11, 2
	v_mul_f32_e32 v1, 0x4f7ffffe, v1
	v_cvt_u32_f32_e32 v2, v1
	v_addc_co_u32_e64 v1, s[4:5], 0, 0, vcc
	s_sub_i32 s4, 0, s10
	v_mul_lo_u32 v3, s4, v2
	v_mul_hi_u32 v3, v2, v3
	v_add_u32_e32 v5, v2, v3
	s_mov_b64 s[4:5], 0
	v_mov_b32_e32 v6, s1
	v_mov_b32_e32 v7, s3
	;; [unrolled: 1-line block ×3, first 2 shown]
	s_branch .LBB94_9
.LBB94_8:                               ;   in Loop: Header=BB94_9 Depth=1
	s_or_b64 exec, exec, s[6:7]
	v_add_u32_e32 v4, s11, v4
	v_cmp_le_i32_e32 vcc, s8, v4
	s_or_b64 s[4:5], vcc, s[4:5]
	v_add_co_u32_e32 v0, vcc, s12, v0
	v_addc_co_u32_e32 v1, vcc, v1, v8, vcc
	global_store_dword v[2:3], v9, off
	s_andn2_b64 exec, exec, s[4:5]
	s_cbranch_execz .LBB94_17
.LBB94_9:                               ; =>This Inner Loop Header: Depth=1
	v_add_co_u32_e32 v2, vcc, s0, v0
	v_addc_co_u32_e32 v3, vcc, v6, v1, vcc
	global_load_dword v9, v[2:3], off
	s_waitcnt vmcnt(0)
	v_add_u32_e32 v9, -1, v9
	v_sub_u32_e32 v11, 0, v9
	v_ashrrev_i32_e32 v10, 31, v9
	v_max_i32_e32 v9, v9, v11
	v_mul_hi_u32 v11, v9, v5
	v_mul_lo_u32 v11, v11, s10
	v_sub_u32_e32 v9, v9, v11
	v_subrev_u32_e32 v11, s10, v9
	v_cmp_le_u32_e32 vcc, s10, v9
	v_cndmask_b32_e32 v9, v9, v11, vcc
	v_subrev_u32_e32 v11, s10, v9
	v_cmp_le_u32_e32 vcc, s10, v9
	v_cndmask_b32_e32 v9, v9, v11, vcc
	v_xor_b32_e32 v9, v9, v10
	v_sub_u32_e32 v10, v9, v10
	v_and_b32_e32 v9, 1, v10
	v_cmp_eq_u32_e32 vcc, 1, v9
                                        ; implicit-def: $vgpr9
	s_and_saveexec_b64 s[6:7], vcc
	s_xor_b64 s[6:7], exec, s[6:7]
; %bb.10:                               ;   in Loop: Header=BB94_9 Depth=1
	v_add_u32_e32 v9, 3, v10
	v_mov_b32_e32 v10, s10
	v_cmp_lt_i32_e32 vcc, s9, v9
	v_cndmask_b32_e32 v9, v9, v10, vcc
                                        ; implicit-def: $vgpr10
; %bb.11:                               ;   in Loop: Header=BB94_9 Depth=1
	s_andn2_saveexec_b64 s[6:7], s[6:7]
; %bb.12:                               ;   in Loop: Header=BB94_9 Depth=1
	v_add_u32_e32 v9, -1, v10
	v_cmp_lt_i32_e32 vcc, 1, v10
	v_cndmask_b32_e32 v9, 2, v9, vcc
; %bb.13:                               ;   in Loop: Header=BB94_9 Depth=1
	s_or_b64 exec, exec, s[6:7]
	global_store_dword v[2:3], v9, off
	v_add_co_u32_e32 v2, vcc, s2, v0
	v_addc_co_u32_e32 v3, vcc, v7, v1, vcc
	global_load_dword v9, v[2:3], off
	s_waitcnt vmcnt(0)
	v_add_u32_e32 v9, -1, v9
	v_sub_u32_e32 v11, 0, v9
	v_ashrrev_i32_e32 v10, 31, v9
	v_max_i32_e32 v9, v9, v11
	v_mul_hi_u32 v11, v9, v5
	v_mul_lo_u32 v11, v11, s10
	v_sub_u32_e32 v9, v9, v11
	v_subrev_u32_e32 v11, s10, v9
	v_cmp_le_u32_e32 vcc, s10, v9
	v_cndmask_b32_e32 v9, v9, v11, vcc
	v_subrev_u32_e32 v11, s10, v9
	v_cmp_le_u32_e32 vcc, s10, v9
	v_cndmask_b32_e32 v9, v9, v11, vcc
	v_xor_b32_e32 v9, v9, v10
	v_sub_u32_e32 v10, v9, v10
	v_and_b32_e32 v9, 1, v10
	v_cmp_eq_u32_e32 vcc, 1, v9
                                        ; implicit-def: $vgpr9
	s_and_saveexec_b64 s[6:7], vcc
	s_xor_b64 s[6:7], exec, s[6:7]
; %bb.14:                               ;   in Loop: Header=BB94_9 Depth=1
	v_add_u32_e32 v9, 3, v10
	v_mov_b32_e32 v10, s10
	v_cmp_lt_i32_e32 vcc, s9, v9
	v_cndmask_b32_e32 v9, v9, v10, vcc
                                        ; implicit-def: $vgpr10
; %bb.15:                               ;   in Loop: Header=BB94_9 Depth=1
	s_andn2_saveexec_b64 s[6:7], s[6:7]
	s_cbranch_execz .LBB94_8
; %bb.16:                               ;   in Loop: Header=BB94_9 Depth=1
	v_add_u32_e32 v9, -1, v10
	v_cmp_lt_i32_e32 vcc, 1, v10
	v_cndmask_b32_e32 v9, 2, v9, vcc
	s_branch .LBB94_8
.LBB94_17:
	s_endpgm
	.section	.rodata,"a",@progbits
	.p2align	6, 0x0
	.amdhsa_kernel _ZN9rocsolver6v33100L17syevj_cycle_pairsI19rocblas_complex_numIfEEEviPiS4_
		.amdhsa_group_segment_fixed_size 0
		.amdhsa_private_segment_fixed_size 0
		.amdhsa_kernarg_size 280
		.amdhsa_user_sgpr_count 6
		.amdhsa_user_sgpr_private_segment_buffer 1
		.amdhsa_user_sgpr_dispatch_ptr 0
		.amdhsa_user_sgpr_queue_ptr 0
		.amdhsa_user_sgpr_kernarg_segment_ptr 1
		.amdhsa_user_sgpr_dispatch_id 0
		.amdhsa_user_sgpr_flat_scratch_init 0
		.amdhsa_user_sgpr_kernarg_preload_length 0
		.amdhsa_user_sgpr_kernarg_preload_offset 0
		.amdhsa_user_sgpr_private_segment_size 0
		.amdhsa_uses_dynamic_stack 0
		.amdhsa_system_sgpr_private_segment_wavefront_offset 0
		.amdhsa_system_sgpr_workgroup_id_x 1
		.amdhsa_system_sgpr_workgroup_id_y 0
		.amdhsa_system_sgpr_workgroup_id_z 0
		.amdhsa_system_sgpr_workgroup_info 0
		.amdhsa_system_vgpr_workitem_id 0
		.amdhsa_next_free_vgpr 12
		.amdhsa_next_free_sgpr 16
		.amdhsa_accum_offset 12
		.amdhsa_reserve_vcc 1
		.amdhsa_reserve_flat_scratch 0
		.amdhsa_float_round_mode_32 0
		.amdhsa_float_round_mode_16_64 0
		.amdhsa_float_denorm_mode_32 3
		.amdhsa_float_denorm_mode_16_64 3
		.amdhsa_dx10_clamp 1
		.amdhsa_ieee_mode 1
		.amdhsa_fp16_overflow 0
		.amdhsa_tg_split 0
		.amdhsa_exception_fp_ieee_invalid_op 0
		.amdhsa_exception_fp_denorm_src 0
		.amdhsa_exception_fp_ieee_div_zero 0
		.amdhsa_exception_fp_ieee_overflow 0
		.amdhsa_exception_fp_ieee_underflow 0
		.amdhsa_exception_fp_ieee_inexact 0
		.amdhsa_exception_int_div_zero 0
	.end_amdhsa_kernel
	.section	.text._ZN9rocsolver6v33100L17syevj_cycle_pairsI19rocblas_complex_numIfEEEviPiS4_,"axG",@progbits,_ZN9rocsolver6v33100L17syevj_cycle_pairsI19rocblas_complex_numIfEEEviPiS4_,comdat
.Lfunc_end94:
	.size	_ZN9rocsolver6v33100L17syevj_cycle_pairsI19rocblas_complex_numIfEEEviPiS4_, .Lfunc_end94-_ZN9rocsolver6v33100L17syevj_cycle_pairsI19rocblas_complex_numIfEEEviPiS4_
                                        ; -- End function
	.section	.AMDGPU.csdata,"",@progbits
; Kernel info:
; codeLenInByte = 692
; NumSgprs: 20
; NumVgprs: 12
; NumAgprs: 0
; TotalNumVgprs: 12
; ScratchSize: 0
; MemoryBound: 0
; FloatMode: 240
; IeeeMode: 1
; LDSByteSize: 0 bytes/workgroup (compile time only)
; SGPRBlocks: 2
; VGPRBlocks: 1
; NumSGPRsForWavesPerEU: 20
; NumVGPRsForWavesPerEU: 12
; AccumOffset: 12
; Occupancy: 8
; WaveLimiterHint : 0
; COMPUTE_PGM_RSRC2:SCRATCH_EN: 0
; COMPUTE_PGM_RSRC2:USER_SGPR: 6
; COMPUTE_PGM_RSRC2:TRAP_HANDLER: 0
; COMPUTE_PGM_RSRC2:TGID_X_EN: 1
; COMPUTE_PGM_RSRC2:TGID_Y_EN: 0
; COMPUTE_PGM_RSRC2:TGID_Z_EN: 0
; COMPUTE_PGM_RSRC2:TIDIG_COMP_CNT: 0
; COMPUTE_PGM_RSRC3_GFX90A:ACCUM_OFFSET: 2
; COMPUTE_PGM_RSRC3_GFX90A:TG_SPLIT: 0
	.section	.text._ZN9rocsolver6v33100L15syevj_calc_normI19rocblas_complex_numIfEfEEviiPT0_PT_S5_Pi,"axG",@progbits,_ZN9rocsolver6v33100L15syevj_calc_normI19rocblas_complex_numIfEfEEviiPT0_PT_S5_Pi,comdat
	.globl	_ZN9rocsolver6v33100L15syevj_calc_normI19rocblas_complex_numIfEfEEviiPT0_PT_S5_Pi ; -- Begin function _ZN9rocsolver6v33100L15syevj_calc_normI19rocblas_complex_numIfEfEEviiPT0_PT_S5_Pi
	.p2align	8
	.type	_ZN9rocsolver6v33100L15syevj_calc_normI19rocblas_complex_numIfEfEEviiPT0_PT_S5_Pi,@function
_ZN9rocsolver6v33100L15syevj_calc_normI19rocblas_complex_numIfEfEEviiPT0_PT_S5_Pi: ; @_ZN9rocsolver6v33100L15syevj_calc_normI19rocblas_complex_numIfEfEEviiPT0_PT_S5_Pi
; %bb.0:
	s_load_dwordx8 s[8:15], s[4:5], 0x8
	s_mov_b32 s16, s7
	s_ashr_i32 s17, s7, 31
	s_lshl_b64 s[6:7], s[16:17], 2
	s_waitcnt lgkmcnt(0)
	s_add_u32 s0, s14, s6
	s_addc_u32 s1, s15, s7
	s_load_dword s2, s[0:1], 0x4
	s_waitcnt lgkmcnt(0)
	s_cmp_lg_u32 s2, 0
	s_cbranch_scc0 .LBB95_2
.LBB95_1:
	s_endpgm
.LBB95_2:
	s_load_dword s17, s[4:5], 0x34
	s_load_dwordx2 s[2:3], s[4:5], 0x0
	v_mov_b32_e32 v1, 0
	s_waitcnt lgkmcnt(0)
	s_and_b32 s22, s17, 0xffff
	v_cmp_gt_i32_e32 vcc, s2, v0
	s_and_saveexec_b64 s[4:5], vcc
	s_cbranch_execz .LBB95_10
; %bb.3:
	s_mul_i32 s16, s16, s2
	s_mul_i32 s16, s16, s2
	s_ashr_i32 s17, s16, 31
	s_lshl_b64 s[16:17], s[16:17], 3
	s_add_u32 s10, s10, s16
	v_lshlrev_b32_e32 v1, 3, v0
	s_addc_u32 s11, s11, s17
	v_mov_b32_e32 v2, s11
	v_add_co_u32_e32 v1, vcc, s10, v1
	v_addc_co_u32_e32 v3, vcc, 0, v2, vcc
	s_ashr_i32 s11, s2, 31
	s_mov_b32 s10, s2
	s_mov_b32 s18, 0
	v_add_co_u32_e32 v2, vcc, 4, v1
	s_lshl_b64 s[16:17], s[10:11], 3
	v_addc_co_u32_e32 v3, vcc, 0, v3, vcc
	s_lshl_b32 s23, s22, 3
	s_mov_b64 s[10:11], 0
	v_mov_b32_e32 v1, 0
	v_mov_b32_e32 v6, s17
	;; [unrolled: 1-line block ×4, first 2 shown]
	s_branch .LBB95_6
.LBB95_4:                               ;   in Loop: Header=BB95_6 Depth=1
	s_or_b64 exec, exec, s[20:21]
.LBB95_5:                               ;   in Loop: Header=BB95_6 Depth=1
	s_or_b64 exec, exec, s[18:19]
	v_add_u32_e32 v8, s22, v8
	v_cmp_le_i32_e32 vcc, s2, v8
	s_or_b64 s[10:11], vcc, s[10:11]
	v_add_co_u32_e32 v2, vcc, s23, v2
	v_addc_co_u32_e32 v3, vcc, v3, v7, vcc
	s_andn2_b64 exec, exec, s[10:11]
	s_cbranch_execz .LBB95_9
.LBB95_6:                               ; =>This Loop Header: Depth=1
                                        ;     Child Loop BB95_8 Depth 2
	v_cmp_ne_u32_e32 vcc, 0, v8
	s_and_saveexec_b64 s[18:19], vcc
	s_cbranch_execz .LBB95_5
; %bb.7:                                ;   in Loop: Header=BB95_6 Depth=1
	s_mov_b32 s17, 0
	s_mov_b64 s[20:21], 0
	v_pk_mov_b32 v[4:5], v[2:3], v[2:3] op_sel:[0,1]
.LBB95_8:                               ;   Parent Loop BB95_6 Depth=1
                                        ; =>  This Inner Loop Header: Depth=2
	global_load_dwordx2 v[10:11], v[4:5], off offset:-4
	v_add_co_u32_e32 v4, vcc, s16, v4
	s_add_i32 s17, s17, 1
	v_addc_co_u32_e32 v5, vcc, v5, v6, vcc
	v_cmp_ge_u32_e32 vcc, s17, v8
	s_or_b64 s[20:21], vcc, s[20:21]
	s_waitcnt vmcnt(0)
	v_mul_f32_e32 v9, v11, v11
	v_fmac_f32_e32 v9, v10, v10
	v_fmac_f32_e32 v1, 2.0, v9
	s_andn2_b64 exec, exec, s[20:21]
	s_cbranch_execnz .LBB95_8
	s_branch .LBB95_4
.LBB95_9:
	s_or_b64 exec, exec, s[10:11]
.LBB95_10:
	s_or_b64 exec, exec, s[4:5]
	v_lshl_add_u32 v2, v0, 2, 0
	v_cmp_eq_u32_e32 vcc, 0, v0
	ds_write_b32 v2, v1
	s_waitcnt lgkmcnt(0)
	s_barrier
	s_and_saveexec_b64 s[4:5], vcc
	s_cbranch_execz .LBB95_1
; %bb.11:
	s_min_i32 s4, s22, s2
	s_cmp_lt_i32 s4, 2
	s_cbranch_scc1 .LBB95_20
; %bb.12:
	s_add_i32 s2, s4, -1
	s_add_i32 s4, s4, -2
	s_cmp_lt_u32 s4, 7
	s_cbranch_scc1 .LBB95_16
; %bb.13:
	s_mov_b32 s10, 0
	s_add_i32 s4, 0, 4
	s_and_b32 s5, s2, -8
.LBB95_14:                              ; =>This Inner Loop Header: Depth=1
	v_mov_b32_e32 v0, s4
	ds_read2_b32 v[2:3], v0 offset1:1
	ds_read2_b32 v[4:5], v0 offset0:2 offset1:3
	ds_read2_b32 v[6:7], v0 offset0:4 offset1:5
	;; [unrolled: 1-line block ×3, first 2 shown]
	s_mov_b32 s11, s10
	s_waitcnt lgkmcnt(3)
	v_add_f32_e32 v0, v1, v2
	v_add_f32_e32 v0, v0, v3
	s_waitcnt lgkmcnt(2)
	v_add_f32_e32 v0, v0, v4
	v_add_f32_e32 v0, v0, v5
	;; [unrolled: 3-line block ×3, first 2 shown]
	s_add_i32 s4, s4, 32
	s_add_i32 s10, s10, 8
	s_waitcnt lgkmcnt(0)
	v_add_f32_e32 v0, v0, v8
	s_cmp_lg_u32 s5, s10
	v_add_f32_e32 v1, v0, v9
	s_cbranch_scc1 .LBB95_14
; %bb.15:
	s_add_i32 s4, s11, 9
	s_branch .LBB95_17
.LBB95_16:
	s_mov_b32 s4, 1
.LBB95_17:
	s_and_b32 s2, s2, 7
	s_cmp_eq_u32 s2, 0
	s_cbranch_scc1 .LBB95_20
; %bb.18:
	s_lshl_b32 s4, s4, 2
	s_add_i32 s4, s4, 0
.LBB95_19:                              ; =>This Inner Loop Header: Depth=1
	v_mov_b32_e32 v0, s4
	ds_read_b32 v0, v0
	s_add_i32 s4, s4, 4
	s_add_i32 s2, s2, -1
	s_cmp_lg_u32 s2, 0
	s_waitcnt lgkmcnt(0)
	v_add_f32_e32 v1, v1, v0
	s_cbranch_scc1 .LBB95_19
.LBB95_20:
	s_add_u32 s4, s8, s6
	s_addc_u32 s5, s9, s7
	v_mov_b32_e32 v0, 0
	global_store_dword v0, v1, s[4:5]
	s_add_u32 s4, s12, s6
	s_addc_u32 s5, s13, s7
	global_load_dword v2, v0, s[4:5]
	s_waitcnt vmcnt(0)
	v_cmp_lt_f32_e32 vcc, v1, v2
	s_and_b64 exec, exec, vcc
	s_cbranch_execz .LBB95_1
; %bb.21:
	s_add_i32 s2, s3, 1
	s_mov_b64 s[4:5], exec
	v_mov_b32_e32 v1, s2
	global_store_dword v0, v1, s[0:1] offset:4
	v_mbcnt_lo_u32_b32 v0, s4, 0
	v_mbcnt_hi_u32_b32 v0, s5, v0
	v_cmp_eq_u32_e32 vcc, 0, v0
	s_and_b64 s[0:1], exec, vcc
	s_mov_b64 exec, s[0:1]
	s_cbranch_execz .LBB95_1
; %bb.22:
	s_bcnt1_i32_b64 s0, s[4:5]
	v_mov_b32_e32 v0, 0
	v_mov_b32_e32 v1, s0
	global_atomic_add v0, v1, s[14:15]
	s_endpgm
	.section	.rodata,"a",@progbits
	.p2align	6, 0x0
	.amdhsa_kernel _ZN9rocsolver6v33100L15syevj_calc_normI19rocblas_complex_numIfEfEEviiPT0_PT_S5_Pi
		.amdhsa_group_segment_fixed_size 0
		.amdhsa_private_segment_fixed_size 0
		.amdhsa_kernarg_size 296
		.amdhsa_user_sgpr_count 6
		.amdhsa_user_sgpr_private_segment_buffer 1
		.amdhsa_user_sgpr_dispatch_ptr 0
		.amdhsa_user_sgpr_queue_ptr 0
		.amdhsa_user_sgpr_kernarg_segment_ptr 1
		.amdhsa_user_sgpr_dispatch_id 0
		.amdhsa_user_sgpr_flat_scratch_init 0
		.amdhsa_user_sgpr_kernarg_preload_length 0
		.amdhsa_user_sgpr_kernarg_preload_offset 0
		.amdhsa_user_sgpr_private_segment_size 0
		.amdhsa_uses_dynamic_stack 0
		.amdhsa_system_sgpr_private_segment_wavefront_offset 0
		.amdhsa_system_sgpr_workgroup_id_x 1
		.amdhsa_system_sgpr_workgroup_id_y 1
		.amdhsa_system_sgpr_workgroup_id_z 0
		.amdhsa_system_sgpr_workgroup_info 0
		.amdhsa_system_vgpr_workitem_id 0
		.amdhsa_next_free_vgpr 12
		.amdhsa_next_free_sgpr 24
		.amdhsa_accum_offset 12
		.amdhsa_reserve_vcc 1
		.amdhsa_reserve_flat_scratch 0
		.amdhsa_float_round_mode_32 0
		.amdhsa_float_round_mode_16_64 0
		.amdhsa_float_denorm_mode_32 3
		.amdhsa_float_denorm_mode_16_64 3
		.amdhsa_dx10_clamp 1
		.amdhsa_ieee_mode 1
		.amdhsa_fp16_overflow 0
		.amdhsa_tg_split 0
		.amdhsa_exception_fp_ieee_invalid_op 0
		.amdhsa_exception_fp_denorm_src 0
		.amdhsa_exception_fp_ieee_div_zero 0
		.amdhsa_exception_fp_ieee_overflow 0
		.amdhsa_exception_fp_ieee_underflow 0
		.amdhsa_exception_fp_ieee_inexact 0
		.amdhsa_exception_int_div_zero 0
	.end_amdhsa_kernel
	.section	.text._ZN9rocsolver6v33100L15syevj_calc_normI19rocblas_complex_numIfEfEEviiPT0_PT_S5_Pi,"axG",@progbits,_ZN9rocsolver6v33100L15syevj_calc_normI19rocblas_complex_numIfEfEEviiPT0_PT_S5_Pi,comdat
.Lfunc_end95:
	.size	_ZN9rocsolver6v33100L15syevj_calc_normI19rocblas_complex_numIfEfEEviiPT0_PT_S5_Pi, .Lfunc_end95-_ZN9rocsolver6v33100L15syevj_calc_normI19rocblas_complex_numIfEfEEviiPT0_PT_S5_Pi
                                        ; -- End function
	.section	.AMDGPU.csdata,"",@progbits
; Kernel info:
; codeLenInByte = 696
; NumSgprs: 28
; NumVgprs: 12
; NumAgprs: 0
; TotalNumVgprs: 12
; ScratchSize: 0
; MemoryBound: 0
; FloatMode: 240
; IeeeMode: 1
; LDSByteSize: 0 bytes/workgroup (compile time only)
; SGPRBlocks: 3
; VGPRBlocks: 1
; NumSGPRsForWavesPerEU: 28
; NumVGPRsForWavesPerEU: 12
; AccumOffset: 12
; Occupancy: 8
; WaveLimiterHint : 0
; COMPUTE_PGM_RSRC2:SCRATCH_EN: 0
; COMPUTE_PGM_RSRC2:USER_SGPR: 6
; COMPUTE_PGM_RSRC2:TRAP_HANDLER: 0
; COMPUTE_PGM_RSRC2:TGID_X_EN: 1
; COMPUTE_PGM_RSRC2:TGID_Y_EN: 1
; COMPUTE_PGM_RSRC2:TGID_Z_EN: 0
; COMPUTE_PGM_RSRC2:TIDIG_COMP_CNT: 0
; COMPUTE_PGM_RSRC3_GFX90A:ACCUM_OFFSET: 2
; COMPUTE_PGM_RSRC3_GFX90A:TG_SPLIT: 0
	.section	.text._ZN9rocsolver6v33100L14syevj_finalizeI19rocblas_complex_numIfEfPS3_EEv14rocblas_esort_14rocblas_evect_iT1_iilPT0_iPiS9_lSA_PT_SA_,"axG",@progbits,_ZN9rocsolver6v33100L14syevj_finalizeI19rocblas_complex_numIfEfPS3_EEv14rocblas_esort_14rocblas_evect_iT1_iilPT0_iPiS9_lSA_PT_SA_,comdat
	.globl	_ZN9rocsolver6v33100L14syevj_finalizeI19rocblas_complex_numIfEfPS3_EEv14rocblas_esort_14rocblas_evect_iT1_iilPT0_iPiS9_lSA_PT_SA_ ; -- Begin function _ZN9rocsolver6v33100L14syevj_finalizeI19rocblas_complex_numIfEfPS3_EEv14rocblas_esort_14rocblas_evect_iT1_iilPT0_iPiS9_lSA_PT_SA_
	.p2align	8
	.type	_ZN9rocsolver6v33100L14syevj_finalizeI19rocblas_complex_numIfEfPS3_EEv14rocblas_esort_14rocblas_evect_iT1_iilPT0_iPiS9_lSA_PT_SA_,@function
_ZN9rocsolver6v33100L14syevj_finalizeI19rocblas_complex_numIfEfPS3_EEv14rocblas_esort_14rocblas_evect_iT1_iilPT0_iPiS9_lSA_PT_SA_: ; @_ZN9rocsolver6v33100L14syevj_finalizeI19rocblas_complex_numIfEfPS3_EEv14rocblas_esort_14rocblas_evect_iT1_iilPT0_iPiS9_lSA_PT_SA_
; %bb.0:
	s_load_dwordx4 s[20:23], s[4:5], 0x20
	s_load_dwordx8 s[8:15], s[4:5], 0x38
	s_load_dwordx4 s[24:27], s[4:5], 0x58
	s_mov_b32 s28, s7
	s_ashr_i32 s29, s7, 31
	v_cmp_eq_u32_e64 s[0:1], 0, v0
	s_and_saveexec_b64 s[6:7], s[0:1]
	s_cbranch_execz .LBB96_2
; %bb.1:
	s_lshl_b64 s[16:17], s[28:29], 2
	s_waitcnt lgkmcnt(0)
	s_add_u32 s2, s26, s16
	s_addc_u32 s3, s27, s17
	s_add_u32 s18, s22, s16
	s_addc_u32 s19, s23, s17
	s_load_dword s22, s[18:19], 0x0
	v_mov_b32_e32 v1, 0xf800000
	v_mov_b32_e32 v2, 0x4f800000
	s_load_dword s23, s[2:3], 0x4
	s_waitcnt lgkmcnt(0)
	v_mul_f32_e32 v2, s22, v2
	v_mov_b32_e32 v3, s22
	v_cmp_lt_f32_e32 vcc, s22, v1
	v_cndmask_b32_e32 v1, v3, v2, vcc
	v_sqrt_f32_e32 v2, v1
	s_load_dword s22, s[4:5], 0x30
	v_mov_b32_e32 v3, 0
	v_add_u32_e32 v4, -1, v2
	v_fma_f32 v5, -v4, v2, v1
	v_cmp_ge_f32_e64 s[2:3], 0, v5
	v_add_u32_e32 v5, 1, v2
	v_cndmask_b32_e64 v4, v2, v4, s[2:3]
	v_fma_f32 v2, -v5, v2, v1
	v_cmp_lt_f32_e64 s[2:3], 0, v2
	v_cndmask_b32_e64 v2, v4, v5, s[2:3]
	v_mul_f32_e32 v4, 0x37800000, v2
	v_cndmask_b32_e32 v2, v2, v4, vcc
	v_mov_b32_e32 v4, 0x260
	v_cmp_class_f32_e32 vcc, v1, v4
	v_cndmask_b32_e32 v1, v2, v1, vcc
	s_waitcnt lgkmcnt(0)
	global_store_dword v3, v1, s[18:19]
	s_add_i32 s18, s23, -1
	s_cmp_lt_i32 s23, 1
	s_cselect_b64 s[2:3], -1, 0
	v_cndmask_b32_e64 v1, 0, 1, s[2:3]
	s_and_b64 s[2:3], s[2:3], exec
	s_cselect_b32 s18, s22, s18
	s_add_u32 s2, s8, s16
	s_addc_u32 s3, s9, s17
	v_mov_b32_e32 v2, s18
	global_store_dword v3, v2, s[2:3]
	s_add_u32 s2, s14, s16
	s_addc_u32 s3, s15, s17
	global_store_dword v3, v1, s[2:3]
.LBB96_2:
	s_or_b64 exec, exec, s[6:7]
	s_load_dwordx4 s[16:19], s[4:5], 0x0
	s_waitcnt lgkmcnt(0)
	s_mul_i32 s2, s28, s13
	s_mul_hi_u32 s3, s28, s12
	s_add_i32 s2, s3, s2
	s_mul_i32 s3, s29, s12
	s_add_i32 s3, s2, s3
	s_mul_i32 s2, s28, s12
	s_lshl_b64 s[22:23], s[2:3], 2
	s_add_u32 s19, s10, s22
	s_addc_u32 s26, s11, s23
	v_cmp_gt_i32_e64 s[2:3], s18, v0
	s_and_saveexec_b64 s[6:7], s[2:3]
	s_cbranch_execz .LBB96_5
; %bb.3:
	s_mul_i32 s8, s28, s18
	s_load_dword s13, s[4:5], 0x74
	s_mul_i32 s8, s8, s18
	s_ashr_i32 s9, s8, 31
	s_lshl_b64 s[8:9], s[8:9], 3
	s_add_u32 s12, s24, s8
	s_addc_u32 s15, s25, s9
	s_add_i32 s14, s18, 1
	s_waitcnt lgkmcnt(0)
	s_and_b32 s13, s13, 0xffff
	v_mad_u64_u32 v[2:3], s[8:9], v0, s18, v[0:1]
	s_mul_i32 s14, s14, s13
	s_mov_b64 s[8:9], 0
	v_mov_b32_e32 v1, s15
	v_mov_b32_e32 v6, s26
	v_mov_b32_e32 v4, v0
.LBB96_4:                               ; =>This Inner Loop Header: Depth=1
	v_ashrrev_i32_e32 v3, 31, v2
	v_lshlrev_b64 v[8:9], 3, v[2:3]
	v_add_co_u32_e32 v8, vcc, s12, v8
	v_addc_co_u32_e32 v9, vcc, v1, v9, vcc
	global_load_dword v3, v[8:9], off
	v_ashrrev_i32_e32 v5, 31, v4
	v_lshlrev_b64 v[8:9], 2, v[4:5]
	v_add_co_u32_e32 v8, vcc, s19, v8
	v_add_u32_e32 v4, s13, v4
	v_addc_co_u32_e32 v9, vcc, v6, v9, vcc
	v_cmp_le_i32_e32 vcc, s18, v4
	s_or_b64 s[8:9], vcc, s[8:9]
	v_add_u32_e32 v2, s14, v2
	s_waitcnt vmcnt(0)
	global_store_dword v[8:9], v3, off
	s_andn2_b64 exec, exec, s[8:9]
	s_cbranch_execnz .LBB96_4
.LBB96_5:
	s_or_b64 exec, exec, s[6:7]
	s_cmpk_lg_i32 s17, 0xd5
	s_cselect_b64 s[24:25], -1, 0
	v_cmp_eq_u32_e32 vcc, 0, v0
	s_or_b64 s[8:9], vcc, s[24:25]
	s_cmpk_lg_i32 s16, 0xfb
	s_cselect_b64 s[12:13], -1, 0
	s_and_b64 s[8:9], s[12:13], s[8:9]
	s_cmp_gt_i32 s18, 1
	s_cselect_b64 s[12:13], -1, 0
	s_mov_b32 s7, 0
	s_and_b64 s[8:9], s[12:13], s[8:9]
	s_barrier
	s_and_saveexec_b64 s[12:13], s[8:9]
	s_cbranch_execz .LBB96_18
; %bb.6:
	s_load_dwordx4 s[12:15], s[4:5], 0x10
	s_mul_i32 s6, s28, s21
	s_mul_hi_u32 s8, s28, s20
	s_add_i32 s6, s8, s6
	s_mul_i32 s16, s28, s20
	s_waitcnt lgkmcnt(0)
	s_ashr_i32 s9, s14, 31
	s_mov_b32 s8, s14
	s_mul_i32 s14, s29, s20
	s_add_i32 s17, s6, s14
	s_lshl_b64 s[16:17], s[16:17], 3
	s_add_u32 s6, s12, s16
	s_addc_u32 s12, s13, s17
	s_lshl_b64 s[8:9], s[8:9], 3
	s_add_u32 s14, s6, s8
	s_addc_u32 s27, s12, s9
	s_add_u32 s8, s4, 0x68
	s_addc_u32 s9, s5, 0
	s_add_i32 s28, s18, -2
	s_add_u32 s4, s22, s10
	s_addc_u32 s5, s23, s11
	s_add_u32 s10, s4, 4
	v_cndmask_b32_e64 v2, 0, 1, s[24:25]
	s_addc_u32 s11, s5, 0
	v_mov_b32_e32 v1, 0
	v_cmp_ne_u32_e64 s[4:5], 1, v2
	s_mov_b32 s22, 0
	s_mov_b32 s23, 0
	s_branch .LBB96_9
.LBB96_7:                               ;   in Loop: Header=BB96_9 Depth=1
	s_or_b64 exec, exec, s[16:17]
	s_barrier
.LBB96_8:                               ;   in Loop: Header=BB96_9 Depth=1
	s_add_u32 s10, s10, 4
	s_addc_u32 s11, s11, 0
	s_add_i32 s22, s22, s15
	s_cmp_lg_u32 s6, s28
	s_cbranch_scc0 .LBB96_18
.LBB96_9:                               ; =>This Loop Header: Depth=1
                                        ;     Child Loop BB96_10 Depth 2
                                        ;     Child Loop BB96_17 Depth 2
	s_mov_b32 s6, s23
	s_lshl_b64 s[12:13], s[6:7], 2
	s_add_u32 s16, s19, s12
	s_addc_u32 s17, s26, s13
	global_load_dword v2, v1, s[16:17]
	s_add_i32 s23, s23, 1
	s_mov_b64 s[20:21], s[10:11]
	s_mov_b32 s13, s23
	s_mov_b32 s12, s6
.LBB96_10:                              ;   Parent Loop BB96_9 Depth=1
                                        ; =>  This Inner Loop Header: Depth=2
	global_load_dword v3, v1, s[20:21]
	s_waitcnt vmcnt(0)
	v_cmp_lt_f32_e32 vcc, v3, v2
	s_and_b64 s[24:25], vcc, exec
	s_cselect_b32 s12, s13, s12
	s_add_i32 s13, s13, 1
	s_add_u32 s20, s20, 4
	s_addc_u32 s21, s21, 0
	v_cndmask_b32_e32 v2, v2, v3, vcc
	s_cmp_lt_i32 s13, s18
	s_cbranch_scc1 .LBB96_10
; %bb.11:                               ;   in Loop: Header=BB96_9 Depth=1
	s_cmp_eq_u32 s12, s6
	s_barrier
	s_cbranch_scc1 .LBB96_8
; %bb.12:                               ;   in Loop: Header=BB96_9 Depth=1
	s_and_saveexec_b64 s[20:21], s[0:1]
	s_cbranch_execz .LBB96_14
; %bb.13:                               ;   in Loop: Header=BB96_9 Depth=1
	global_load_dword v3, v1, s[16:17]
	s_ashr_i32 s13, s12, 31
	s_lshl_b64 s[24:25], s[12:13], 2
	s_add_u32 s24, s19, s24
	s_addc_u32 s25, s26, s25
	s_waitcnt vmcnt(0)
	global_store_dword v1, v3, s[24:25]
	global_store_dword v1, v2, s[16:17]
.LBB96_14:                              ;   in Loop: Header=BB96_9 Depth=1
	s_or_b64 exec, exec, s[20:21]
	s_and_b64 vcc, exec, s[4:5]
	s_cbranch_vccnz .LBB96_8
; %bb.15:                               ;   in Loop: Header=BB96_9 Depth=1
	s_and_saveexec_b64 s[16:17], s[2:3]
	s_cbranch_execz .LBB96_7
; %bb.16:                               ;   in Loop: Header=BB96_9 Depth=1
	s_load_dword s21, s[8:9], 0xc
	s_mul_i32 s20, s12, s15
	s_mov_b64 s[12:13], 0
	v_mov_b32_e32 v2, v0
	s_waitcnt lgkmcnt(0)
	s_and_b32 s21, s21, 0xffff
.LBB96_17:                              ;   Parent Loop BB96_9 Depth=1
                                        ; =>  This Inner Loop Header: Depth=2
	v_add_u32_e32 v4, s20, v2
	v_ashrrev_i32_e32 v5, 31, v4
	v_add_u32_e32 v6, s22, v2
	v_lshlrev_b64 v[4:5], 3, v[4:5]
	v_mov_b32_e32 v3, s27
	v_ashrrev_i32_e32 v7, 31, v6
	v_add_co_u32_e32 v4, vcc, s14, v4
	v_lshlrev_b64 v[6:7], 3, v[6:7]
	v_addc_co_u32_e32 v5, vcc, v3, v5, vcc
	v_mov_b32_e32 v8, s27
	v_add_co_u32_e32 v6, vcc, s14, v6
	v_addc_co_u32_e32 v7, vcc, v8, v7, vcc
	global_load_dwordx2 v[8:9], v[6:7], off
	global_load_dwordx2 v[10:11], v[4:5], off
	v_add_u32_e32 v2, s21, v2
	v_cmp_le_i32_e32 vcc, s18, v2
	s_or_b64 s[12:13], vcc, s[12:13]
	s_waitcnt vmcnt(1)
	global_store_dwordx2 v[4:5], v[8:9], off
	s_waitcnt vmcnt(1)
	global_store_dwordx2 v[6:7], v[10:11], off
	s_andn2_b64 exec, exec, s[12:13]
	s_cbranch_execnz .LBB96_17
	s_branch .LBB96_7
.LBB96_18:
	s_endpgm
	.section	.rodata,"a",@progbits
	.p2align	6, 0x0
	.amdhsa_kernel _ZN9rocsolver6v33100L14syevj_finalizeI19rocblas_complex_numIfEfPS3_EEv14rocblas_esort_14rocblas_evect_iT1_iilPT0_iPiS9_lSA_PT_SA_
		.amdhsa_group_segment_fixed_size 0
		.amdhsa_private_segment_fixed_size 0
		.amdhsa_kernarg_size 360
		.amdhsa_user_sgpr_count 6
		.amdhsa_user_sgpr_private_segment_buffer 1
		.amdhsa_user_sgpr_dispatch_ptr 0
		.amdhsa_user_sgpr_queue_ptr 0
		.amdhsa_user_sgpr_kernarg_segment_ptr 1
		.amdhsa_user_sgpr_dispatch_id 0
		.amdhsa_user_sgpr_flat_scratch_init 0
		.amdhsa_user_sgpr_kernarg_preload_length 0
		.amdhsa_user_sgpr_kernarg_preload_offset 0
		.amdhsa_user_sgpr_private_segment_size 0
		.amdhsa_uses_dynamic_stack 0
		.amdhsa_system_sgpr_private_segment_wavefront_offset 0
		.amdhsa_system_sgpr_workgroup_id_x 1
		.amdhsa_system_sgpr_workgroup_id_y 1
		.amdhsa_system_sgpr_workgroup_id_z 0
		.amdhsa_system_sgpr_workgroup_info 0
		.amdhsa_system_vgpr_workitem_id 0
		.amdhsa_next_free_vgpr 12
		.amdhsa_next_free_sgpr 30
		.amdhsa_accum_offset 12
		.amdhsa_reserve_vcc 1
		.amdhsa_reserve_flat_scratch 0
		.amdhsa_float_round_mode_32 0
		.amdhsa_float_round_mode_16_64 0
		.amdhsa_float_denorm_mode_32 3
		.amdhsa_float_denorm_mode_16_64 3
		.amdhsa_dx10_clamp 1
		.amdhsa_ieee_mode 1
		.amdhsa_fp16_overflow 0
		.amdhsa_tg_split 0
		.amdhsa_exception_fp_ieee_invalid_op 0
		.amdhsa_exception_fp_denorm_src 0
		.amdhsa_exception_fp_ieee_div_zero 0
		.amdhsa_exception_fp_ieee_overflow 0
		.amdhsa_exception_fp_ieee_underflow 0
		.amdhsa_exception_fp_ieee_inexact 0
		.amdhsa_exception_int_div_zero 0
	.end_amdhsa_kernel
	.section	.text._ZN9rocsolver6v33100L14syevj_finalizeI19rocblas_complex_numIfEfPS3_EEv14rocblas_esort_14rocblas_evect_iT1_iilPT0_iPiS9_lSA_PT_SA_,"axG",@progbits,_ZN9rocsolver6v33100L14syevj_finalizeI19rocblas_complex_numIfEfPS3_EEv14rocblas_esort_14rocblas_evect_iT1_iilPT0_iPiS9_lSA_PT_SA_,comdat
.Lfunc_end96:
	.size	_ZN9rocsolver6v33100L14syevj_finalizeI19rocblas_complex_numIfEfPS3_EEv14rocblas_esort_14rocblas_evect_iT1_iilPT0_iPiS9_lSA_PT_SA_, .Lfunc_end96-_ZN9rocsolver6v33100L14syevj_finalizeI19rocblas_complex_numIfEfPS3_EEv14rocblas_esort_14rocblas_evect_iT1_iilPT0_iPiS9_lSA_PT_SA_
                                        ; -- End function
	.section	.AMDGPU.csdata,"",@progbits
; Kernel info:
; codeLenInByte = 1076
; NumSgprs: 34
; NumVgprs: 12
; NumAgprs: 0
; TotalNumVgprs: 12
; ScratchSize: 0
; MemoryBound: 0
; FloatMode: 240
; IeeeMode: 1
; LDSByteSize: 0 bytes/workgroup (compile time only)
; SGPRBlocks: 4
; VGPRBlocks: 1
; NumSGPRsForWavesPerEU: 34
; NumVGPRsForWavesPerEU: 12
; AccumOffset: 12
; Occupancy: 8
; WaveLimiterHint : 0
; COMPUTE_PGM_RSRC2:SCRATCH_EN: 0
; COMPUTE_PGM_RSRC2:USER_SGPR: 6
; COMPUTE_PGM_RSRC2:TRAP_HANDLER: 0
; COMPUTE_PGM_RSRC2:TGID_X_EN: 1
; COMPUTE_PGM_RSRC2:TGID_Y_EN: 1
; COMPUTE_PGM_RSRC2:TGID_Z_EN: 0
; COMPUTE_PGM_RSRC2:TIDIG_COMP_CNT: 0
; COMPUTE_PGM_RSRC3_GFX90A:ACCUM_OFFSET: 2
; COMPUTE_PGM_RSRC3_GFX90A:TG_SPLIT: 0
	.section	.text._ZN9rocsolver6v33100L18geqr2_kernel_smallILi256E19rocblas_complex_numIfEifPS3_EEvT1_S5_T3_lS5_lPT2_lPT0_l,"axG",@progbits,_ZN9rocsolver6v33100L18geqr2_kernel_smallILi256E19rocblas_complex_numIfEifPS3_EEvT1_S5_T3_lS5_lPT2_lPT0_l,comdat
	.globl	_ZN9rocsolver6v33100L18geqr2_kernel_smallILi256E19rocblas_complex_numIfEifPS3_EEvT1_S5_T3_lS5_lPT2_lPT0_l ; -- Begin function _ZN9rocsolver6v33100L18geqr2_kernel_smallILi256E19rocblas_complex_numIfEifPS3_EEvT1_S5_T3_lS5_lPT2_lPT0_l
	.p2align	8
	.type	_ZN9rocsolver6v33100L18geqr2_kernel_smallILi256E19rocblas_complex_numIfEifPS3_EEvT1_S5_T3_lS5_lPT2_lPT0_l,@function
_ZN9rocsolver6v33100L18geqr2_kernel_smallILi256E19rocblas_complex_numIfEifPS3_EEvT1_S5_T3_lS5_lPT2_lPT0_l: ; @_ZN9rocsolver6v33100L18geqr2_kernel_smallILi256E19rocblas_complex_numIfEifPS3_EEvT1_S5_T3_lS5_lPT2_lPT0_l
; %bb.0:
	s_load_dwordx8 s[8:15], s[4:5], 0x20
	s_load_dwordx2 s[16:17], s[4:5], 0x0
	s_load_dwordx4 s[0:3], s[4:5], 0x8
	s_load_dword s28, s[4:5], 0x18
	s_load_dwordx2 s[18:19], s[4:5], 0x40
	s_ashr_i32 s6, s7, 31
	s_waitcnt lgkmcnt(0)
	s_mul_i32 s4, s7, s9
	s_mul_hi_u32 s5, s7, s8
	s_add_i32 s4, s5, s4
	s_mul_i32 s5, s6, s8
	s_add_i32 s5, s4, s5
	s_mul_i32 s4, s7, s8
	s_lshl_b64 s[4:5], s[4:5], 3
	s_add_u32 s4, s0, s4
	s_addc_u32 s5, s1, s5
	s_lshl_b64 s[0:1], s[2:3], 3
	s_add_u32 s26, s4, s0
	v_and_b32_e32 v2, 0x7f, v0
	s_addc_u32 s27, s5, s1
	v_cmp_gt_i32_e64 s[0:1], s16, v2
	v_lshrrev_b32_e32 v3, 7, v0
	v_lshlrev_b32_e32 v10, 3, v2
	s_and_saveexec_b64 s[4:5], s[0:1]
	s_cbranch_execz .LBB97_6
; %bb.1:
	v_lshrrev_b32_e32 v1, 7, v0
	v_mul_lo_u32 v4, s16, v1
	v_lshlrev_b32_e32 v4, 3, v4
	v_add3_u32 v8, v4, v10, 0
	v_mad_u64_u32 v[4:5], s[2:3], s28, v1, v[2:3]
	v_cmp_gt_i32_e32 vcc, s17, v1
	s_lshl_b32 s24, s16, 4
	s_lshl_b32 s25, s28, 1
	s_mov_b64 s[8:9], 0
	v_mov_b32_e32 v5, v2
	s_branch .LBB97_3
.LBB97_2:                               ;   in Loop: Header=BB97_3 Depth=1
	s_or_b64 exec, exec, s[20:21]
	v_add_u32_e32 v5, 0x80, v5
	v_cmp_le_i32_e64 s[2:3], s16, v5
	v_add_u32_e32 v8, 0x400, v8
	s_or_b64 s[8:9], s[2:3], s[8:9]
	v_add_u32_e32 v4, 0x80, v4
	s_andn2_b64 exec, exec, s[8:9]
	s_cbranch_execz .LBB97_6
.LBB97_3:                               ; =>This Loop Header: Depth=1
                                        ;     Child Loop BB97_5 Depth 2
	s_and_saveexec_b64 s[20:21], vcc
	s_cbranch_execz .LBB97_2
; %bb.4:                                ;   in Loop: Header=BB97_3 Depth=1
	s_mov_b64 s[22:23], 0
	v_mov_b32_e32 v6, v4
	v_mov_b32_e32 v9, v8
	v_mov_b32_e32 v11, v1
.LBB97_5:                               ;   Parent Loop BB97_3 Depth=1
                                        ; =>  This Inner Loop Header: Depth=2
	v_ashrrev_i32_e32 v7, 31, v6
	v_lshlrev_b64 v[12:13], 3, v[6:7]
	v_mov_b32_e32 v14, s27
	v_add_co_u32_e64 v12, s[2:3], s26, v12
	v_addc_co_u32_e64 v13, s[2:3], v14, v13, s[2:3]
	global_load_dwordx2 v[12:13], v[12:13], off
	v_add_u32_e32 v11, 2, v11
	v_cmp_le_i32_e64 s[2:3], s17, v11
	v_add_u32_e32 v6, s25, v6
	s_or_b64 s[22:23], s[2:3], s[22:23]
	s_waitcnt vmcnt(0)
	ds_write_b64 v9, v[12:13]
	v_add_u32_e32 v9, s24, v9
	s_andn2_b64 exec, exec, s[22:23]
	s_cbranch_execnz .LBB97_5
	s_branch .LBB97_2
.LBB97_6:
	s_or_b64 exec, exec, s[4:5]
	s_min_i32 s29, s17, s16
	s_cmp_lt_i32 s29, 1
	s_waitcnt lgkmcnt(0)
	s_barrier
	s_cbranch_scc1 .LBB97_44
; %bb.7:
	v_mbcnt_lo_u32_b32 v1, -1, 0
	s_mul_i32 s2, s7, s13
	s_mul_hi_u32 s3, s7, s12
	v_mbcnt_hi_u32_b32 v5, -1, v1
	s_add_i32 s2, s3, s2
	s_mul_i32 s3, s6, s12
	v_and_b32_e32 v6, 63, v5
	s_add_i32 s3, s2, s3
	s_mul_i32 s2, s7, s12
	v_cmp_ne_u32_e32 vcc, 63, v6
	s_lshl_b64 s[2:3], s[2:3], 2
	v_addc_co_u32_e32 v1, vcc, 0, v5, vcc
	s_add_u32 s30, s10, s2
	v_cmp_gt_u32_e32 vcc, 62, v6
	s_addc_u32 s31, s11, s3
	s_mul_i32 s2, s7, s19
	s_mul_hi_u32 s3, s7, s18
	v_cndmask_b32_e64 v7, 0, 1, vcc
	s_add_i32 s2, s3, s2
	s_mul_i32 s3, s6, s18
	v_lshlrev_b32_e32 v7, 1, v7
	v_cmp_gt_u32_e32 vcc, 60, v6
	s_add_i32 s3, s2, s3
	s_mul_i32 s2, s7, s18
	v_add_lshl_u32 v11, v7, v5, 2
	v_cndmask_b32_e64 v7, 0, 1, vcc
	s_lshl_b64 s[2:3], s[2:3], 3
	v_lshlrev_b32_e32 v7, 2, v7
	v_cmp_gt_u32_e32 vcc, 56, v6
	s_add_u32 s33, s14, s2
	s_mul_i32 s2, s17, s16
	v_add_lshl_u32 v12, v7, v5, 2
	v_cndmask_b32_e64 v7, 0, 1, vcc
	s_addc_u32 s34, s15, s3
	s_lshl_b32 s2, s2, 3
	v_lshlrev_b32_e32 v7, 3, v7
	v_cmp_gt_u32_e32 vcc, 48, v6
	s_add_i32 s35, s2, 0
	s_lshl_b32 s2, s17, 3
	v_add_lshl_u32 v13, v7, v5, 2
	v_cndmask_b32_e64 v7, 0, 1, vcc
	v_cmp_gt_u32_e32 vcc, 32, v6
	s_add_i32 s36, s35, s2
	v_cndmask_b32_e64 v6, 0, 1, vcc
	v_lshlrev_b32_e32 v7, 4, v7
	v_lshlrev_b32_e32 v6, 5, v6
	s_cmp_lg_u64 s[10:11], 0
	v_add_lshl_u32 v14, v7, v5, 2
	v_add_lshl_u32 v15, v6, v5, 2
	v_and_b32_e32 v5, 63, v0
	s_cselect_b64 s[10:11], -1, 0
	s_lshl_b32 s37, s16, 3
	v_mul_lo_u32 v7, s16, v0
	s_mov_b32 s13, 0
	v_cmp_eq_u32_e64 s[2:3], 0, v5
	v_lshrrev_b32_e32 v5, 3, v0
	v_lshlrev_b32_e32 v6, 3, v0
	v_add_u32_e32 v7, s16, v7
	s_add_i32 s6, s37, 0
	v_mov_b32_e32 v4, 0
	v_lshlrev_b32_e32 v1, 2, v1
	v_cmp_eq_u32_e64 s[4:5], 0, v0
	v_add3_u32 v16, v6, 0, 8
	s_add_i32 s38, s37, 8
	v_lshl_add_u32 v17, v7, 3, 0
	s_lshl_b32 s39, s16, 11
	v_add_u32_e32 v18, s6, v6
	v_add_u32_e32 v19, s36, v5
	v_mov_b32_e32 v20, 1.0
	s_mov_b32 s40, 0xf800000
	v_mov_b32_e32 v21, 0x260
	s_mov_b32 s41, 0
	s_mov_b32 s12, s13
	s_branch .LBB97_9
.LBB97_8:                               ;   in Loop: Header=BB97_9 Depth=1
	s_or_b64 exec, exec, s[6:7]
	s_add_i32 s12, s12, 1
	s_add_i32 s41, s41, s38
	v_add_u32_e32 v16, s38, v16
	v_add_u32_e32 v17, s38, v17
	s_cmp_eq_u32 s12, s29
	v_add_u32_e32 v18, s38, v18
	s_waitcnt lgkmcnt(0)
	s_barrier
	s_cbranch_scc1 .LBB97_44
.LBB97_9:                               ; =>This Loop Header: Depth=1
                                        ;     Child Loop BB97_11 Depth 2
                                        ;     Child Loop BB97_30 Depth 2
	;; [unrolled: 1-line block ×3, first 2 shown]
                                        ;       Child Loop BB97_36 Depth 3
                                        ;     Child Loop BB97_40 Depth 2
                                        ;       Child Loop BB97_42 Depth 3
	s_sub_i32 s42, s16, s12
	s_add_i32 s44, s42, -1
	v_cmp_gt_i32_e64 s[6:7], s44, v0
	v_mov_b32_e32 v5, 0
	v_mov_b32_e32 v6, 0
	s_and_saveexec_b64 s[8:9], s[6:7]
	s_cbranch_execz .LBB97_13
; %bb.10:                               ;   in Loop: Header=BB97_9 Depth=1
	s_mov_b64 s[14:15], 0
	v_mov_b32_e32 v5, 0
	v_mov_b32_e32 v7, v16
	;; [unrolled: 1-line block ×4, first 2 shown]
.LBB97_11:                              ;   Parent Loop BB97_9 Depth=1
                                        ; =>  This Inner Loop Header: Depth=2
	ds_read_b64 v[22:23], v7
	v_add_u32_e32 v8, 0x100, v8
	v_cmp_le_i32_e32 vcc, s44, v8
	v_add_u32_e32 v7, 0x800, v7
	s_or_b64 s[14:15], vcc, s[14:15]
	s_waitcnt lgkmcnt(0)
	v_mul_f32_e32 v9, v23, v23
	v_mul_f32_e32 v24, v23, v22
	v_fmac_f32_e32 v9, v22, v22
	v_fma_f32 v22, v22, v23, -v24
	v_add_f32_e32 v6, v6, v9
	v_add_f32_e32 v5, v5, v22
	s_andn2_b64 exec, exec, s[14:15]
	s_cbranch_execnz .LBB97_11
; %bb.12:                               ;   in Loop: Header=BB97_9 Depth=1
	s_or_b64 exec, exec, s[14:15]
.LBB97_13:                              ;   in Loop: Header=BB97_9 Depth=1
	s_or_b64 exec, exec, s[8:9]
	ds_bpermute_b32 v7, v1, v6
	ds_bpermute_b32 v8, v1, v5
	s_waitcnt lgkmcnt(1)
	v_add_f32_e32 v6, v6, v7
	s_waitcnt lgkmcnt(0)
	v_add_f32_e32 v5, v5, v8
	ds_bpermute_b32 v7, v11, v6
	ds_bpermute_b32 v8, v11, v5
	s_waitcnt lgkmcnt(1)
	v_add_f32_e32 v6, v6, v7
	s_waitcnt lgkmcnt(0)
	v_add_f32_e32 v5, v5, v8
	;; [unrolled: 6-line block ×5, first 2 shown]
	ds_bpermute_b32 v8, v15, v6
	ds_bpermute_b32 v7, v15, v5
	s_waitcnt lgkmcnt(1)
	v_add_f32_e32 v6, v6, v8
	s_and_saveexec_b64 s[8:9], s[2:3]
	s_cbranch_execz .LBB97_15
; %bb.14:                               ;   in Loop: Header=BB97_9 Depth=1
	s_waitcnt lgkmcnt(0)
	v_add_f32_e32 v5, v5, v7
	ds_write2_b32 v19, v6, v5 offset0:2 offset1:3
.LBB97_15:                              ;   in Loop: Header=BB97_9 Depth=1
	s_or_b64 exec, exec, s[8:9]
	s_lshl_b32 s8, s12, 3
	s_add_i32 s43, s8, 0
	s_mul_i32 s8, s12, s16
	s_lshl_b32 s8, s8, 3
	s_add_i32 s43, s43, s8
	s_waitcnt lgkmcnt(0)
	s_barrier
	s_and_saveexec_b64 s[14:15], s[4:5]
	s_cbranch_execz .LBB97_28
; %bb.16:                               ;   in Loop: Header=BB97_9 Depth=1
	v_mov_b32_e32 v5, s36
	ds_read2_b32 v[8:9], v5 offset0:4 offset1:6
	ds_read_b32 v7, v5 offset:32
	v_mov_b32_e32 v5, s43
	ds_read_b32 v5, v5 offset:4
	s_lshl_b64 s[8:9], s[12:13], 2
	s_waitcnt lgkmcnt(2)
	v_add_f32_e32 v6, v6, v8
	v_add_f32_e32 v6, v6, v9
	s_waitcnt lgkmcnt(1)
	v_add_f32_e32 v7, v6, v7
	s_waitcnt lgkmcnt(0)
	v_mul_f32_e32 v6, v5, v5
	s_add_u32 s22, s30, s8
	v_max_f32_e32 v8, v7, v6
	s_addc_u32 s23, s31, s9
	v_cmp_nlt_f32_e32 vcc, 0, v8
	s_mov_b64 s[20:21], 0
                                        ; implicit-def: $sgpr48
                                        ; implicit-def: $sgpr47
                                        ; implicit-def: $sgpr45
                                        ; implicit-def: $sgpr46
                                        ; implicit-def: $sgpr18_sgpr19
	s_and_saveexec_b64 s[8:9], vcc
	s_xor_b64 s[8:9], exec, s[8:9]
	s_cbranch_execz .LBB97_20
; %bb.17:                               ;   in Loop: Header=BB97_9 Depth=1
	v_mov_b32_e32 v5, v4
	v_mov_b32_e32 v6, s36
	s_mov_b64 s[18:19], 0
	s_and_b64 vcc, exec, s[10:11]
	ds_write_b64 v6, v[4:5]
                                        ; implicit-def: $sgpr48
                                        ; implicit-def: $sgpr47
	s_cbranch_vccz .LBB97_19
; %bb.18:                               ;   in Loop: Header=BB97_9 Depth=1
	v_mov_b32_e32 v5, s43
	ds_read_b32 v6, v5
	s_mov_b64 s[20:21], -1
	s_mov_b32 s47, 1.0
	s_mov_b32 s48, 0
	ds_write_b32 v5, v20
	s_waitcnt lgkmcnt(1)
	global_store_dword v4, v6, s[22:23]
.LBB97_19:                              ;   in Loop: Header=BB97_9 Depth=1
	s_mov_b32 s46, 1.0
	s_mov_b32 s45, 0
	s_and_b64 s[20:21], s[20:21], exec
                                        ; implicit-def: $vgpr6
                                        ; implicit-def: $vgpr7
                                        ; implicit-def: $vgpr5
.LBB97_20:                              ;   in Loop: Header=BB97_9 Depth=1
	s_or_saveexec_b64 s[24:25], s[8:9]
	v_mov_b32_e32 v23, s48
	v_mov_b32_e32 v22, s47
	s_xor_b64 exec, exec, s[24:25]
	s_cbranch_execz .LBB97_25
; %bb.21:                               ;   in Loop: Header=BB97_9 Depth=1
	v_mov_b32_e32 v8, s43
	ds_read_b32 v8, v8
	s_waitcnt lgkmcnt(0)
	v_fma_f32 v9, v8, v8, v6
	v_add_f32_e32 v7, v7, v9
	v_mul_f32_e32 v9, 0x4f800000, v7
	v_cmp_gt_f32_e32 vcc, s40, v7
	v_cndmask_b32_e32 v7, v7, v9, vcc
	v_sqrt_f32_e32 v9, v7
	v_add_u32_e32 v22, -1, v9
	v_add_u32_e32 v23, 1, v9
	v_fma_f32 v24, -v22, v9, v7
	v_fma_f32 v25, -v23, v9, v7
	v_cmp_ge_f32_e64 s[8:9], 0, v24
	v_cndmask_b32_e64 v9, v9, v22, s[8:9]
	v_cmp_lt_f32_e64 s[8:9], 0, v25
	v_cndmask_b32_e64 v9, v9, v23, s[8:9]
	v_mul_f32_e32 v22, 0x37800000, v9
	v_cndmask_b32_e32 v9, v9, v22, vcc
	v_cmp_class_f32_e32 vcc, v7, v21
	v_cndmask_b32_e32 v7, v9, v7, vcc
	v_cmp_le_f32_e32 vcc, 0, v8
	v_cndmask_b32_e64 v7, v7, -v7, vcc
	v_sub_f32_e32 v9, v8, v7
	v_fmac_f32_e32 v6, v9, v9
	v_div_scale_f32 v22, s[8:9], v6, v6, v9
	v_rcp_f32_e32 v23, v22
	v_div_scale_f32 v24, vcc, v9, v6, v9
	v_sub_f32_e32 v8, v7, v8
	v_fma_f32 v25, -v22, v23, 1.0
	v_fmac_f32_e32 v23, v25, v23
	v_mul_f32_e32 v25, v24, v23
	v_fma_f32 v26, -v22, v25, v24
	v_fmac_f32_e32 v25, v26, v23
	v_fma_f32 v22, -v22, v25, v24
	v_div_scale_f32 v24, s[8:9], v6, v6, -v5
	v_rcp_f32_e32 v26, v24
	v_div_fmas_f32 v22, v22, v23, v25
	v_div_fixup_f32 v22, v22, v6, v9
	v_fma_f32 v9, -v24, v26, 1.0
	v_fmac_f32_e32 v26, v9, v26
	v_div_scale_f32 v9, vcc, -v5, v6, -v5
	v_mul_f32_e32 v23, v9, v26
	v_fma_f32 v25, -v24, v23, v9
	v_fmac_f32_e32 v23, v25, v26
	v_fma_f32 v9, -v24, v23, v9
	v_div_scale_f32 v24, s[8:9], v7, v7, v8
	v_rcp_f32_e32 v25, v24
	v_div_fmas_f32 v9, v9, v26, v23
	v_div_fixup_f32 v23, v9, v6, -v5
	v_fma_f32 v6, -v24, v25, 1.0
	v_fmac_f32_e32 v25, v6, v25
	v_div_scale_f32 v6, vcc, v8, v7, v8
	v_mul_f32_e32 v9, v6, v25
	v_fma_f32 v26, -v24, v9, v6
	v_fmac_f32_e32 v9, v26, v25
	v_fma_f32 v6, -v24, v9, v6
	v_div_scale_f32 v24, s[8:9], v7, v7, -v5
	v_rcp_f32_e32 v26, v24
	v_div_fmas_f32 v6, v6, v25, v9
	v_div_fixup_f32 v8, v6, v7, v8
	v_fma_f32 v6, -v24, v26, 1.0
	v_fmac_f32_e32 v26, v6, v26
	v_div_scale_f32 v6, vcc, -v5, v7, -v5
	v_mul_f32_e32 v9, v6, v26
	v_fma_f32 v25, -v24, v9, v6
	v_fmac_f32_e32 v9, v25, v26
	v_fma_f32 v6, -v24, v9, v6
	v_div_fmas_f32 v6, v6, v26, v9
	v_div_fixup_f32 v9, v6, v7, -v5
	v_mov_b32_e32 v5, s36
	s_and_b64 vcc, exec, s[10:11]
	ds_write_b64 v5, v[8:9]
	s_cbranch_vccz .LBB97_43
; %bb.22:                               ;   in Loop: Header=BB97_9 Depth=1
	v_mov_b32_e32 v5, s43
	global_store_dword v4, v7, s[22:23]
	ds_write_b32 v5, v20
	s_cbranch_execnz .LBB97_24
.LBB97_23:                              ;   in Loop: Header=BB97_9 Depth=1
	v_mov_b32_e32 v5, s43
	ds_write_b32 v5, v7
.LBB97_24:                              ;   in Loop: Header=BB97_9 Depth=1
	s_or_b64 s[20:21], s[20:21], exec
.LBB97_25:                              ;   in Loop: Header=BB97_9 Depth=1
	s_or_b64 exec, exec, s[24:25]
	v_pk_mov_b32 v[6:7], s[18:19], s[18:19] op_sel:[0,1]
	v_mov_b32_e32 v8, s46
	v_mov_b32_e32 v9, s45
	s_and_saveexec_b64 s[8:9], s[20:21]
	s_cbranch_execz .LBB97_27
; %bb.26:                               ;   in Loop: Header=BB97_9 Depth=1
	v_mov_b32_e32 v5, s43
	ds_write_b32 v5, v4 offset:4
	v_mov_b32_e32 v5, s36
	ds_read_b64 v[6:7], v5
	v_mov_b32_e32 v8, v22
	v_mov_b32_e32 v9, v23
.LBB97_27:                              ;   in Loop: Header=BB97_9 Depth=1
	s_or_b64 exec, exec, s[8:9]
	s_lshl_b64 s[8:9], s[12:13], 3
	s_add_u32 s8, s33, s8
	s_addc_u32 s9, s34, s9
	s_waitcnt lgkmcnt(0)
	global_store_dwordx2 v4, v[6:7], s[8:9]
	v_xor_b32_e32 v7, 0x80000000, v7
	v_mov_b32_e32 v5, s36
	ds_write2_b64 v5, v[6:7], v[8:9] offset1:1
.LBB97_28:                              ;   in Loop: Header=BB97_9 Depth=1
	s_or_b64 exec, exec, s[14:15]
	s_waitcnt lgkmcnt(0)
	s_barrier
	s_and_saveexec_b64 s[8:9], s[6:7]
	s_cbranch_execz .LBB97_31
; %bb.29:                               ;   in Loop: Header=BB97_9 Depth=1
	s_mov_b32 s14, 0
	s_mov_b64 s[6:7], 0
	v_mov_b32_e32 v5, v0
.LBB97_30:                              ;   Parent Loop BB97_9 Depth=1
                                        ; =>  This Inner Loop Header: Depth=2
	v_mov_b32_e32 v6, s36
	v_add_u32_e32 v24, s14, v16
	ds_read_b64 v[6:7], v6 offset:8
	ds_read_b64 v[8:9], v24
	v_add_u32_e32 v5, 0x100, v5
	s_addk_i32 s14, 0x800
	v_cmp_le_i32_e32 vcc, s44, v5
	s_or_b64 s[6:7], vcc, s[6:7]
	s_waitcnt lgkmcnt(0)
	v_mul_f32_e32 v22, v7, v9
	v_mul_f32_e32 v23, v6, v9
	v_fma_f32 v22, v6, v8, -v22
	v_fmac_f32_e32 v23, v7, v8
	ds_write_b64 v24, v[22:23]
	s_andn2_b64 exec, exec, s[6:7]
	s_cbranch_execnz .LBB97_30
.LBB97_31:                              ;   in Loop: Header=BB97_9 Depth=1
	s_or_b64 exec, exec, s[8:9]
	s_not_b32 s18, s12
	s_add_i32 s18, s18, s17
	v_cmp_gt_i32_e32 vcc, s18, v0
	s_waitcnt lgkmcnt(0)
	s_barrier
	s_and_saveexec_b64 s[6:7], vcc
	s_cbranch_execz .LBB97_37
; %bb.32:                               ;   in Loop: Header=BB97_9 Depth=1
	s_cmp_gt_i32 s42, 0
	s_mov_b64 s[8:9], 0
	s_cselect_b64 s[14:15], -1, 0
	v_mov_b32_e32 v5, v17
	v_mov_b32_e32 v6, v0
	s_branch .LBB97_34
.LBB97_33:                              ;   in Loop: Header=BB97_34 Depth=2
	v_mov_b32_e32 v9, s36
	ds_read_b64 v[22:23], v9
	v_lshl_add_u32 v24, v6, 3, s35
	v_add_u32_e32 v6, 0x100, v6
	v_cmp_le_i32_e32 vcc, s18, v6
	s_or_b64 s[8:9], vcc, s[8:9]
	s_waitcnt lgkmcnt(0)
	v_mul_f32_e32 v25, v7, v23
	v_mul_f32_e32 v9, v8, v23
	v_fma_f32 v8, v8, v22, -v25
	v_fmac_f32_e32 v9, v7, v22
	v_add_u32_e32 v5, s39, v5
	ds_write_b64 v24, v[8:9]
	s_andn2_b64 exec, exec, s[8:9]
	s_cbranch_execz .LBB97_37
.LBB97_34:                              ;   Parent Loop BB97_9 Depth=1
                                        ; =>  This Loop Header: Depth=2
                                        ;       Child Loop BB97_36 Depth 3
	s_andn2_b64 vcc, exec, s[14:15]
	v_mov_b32_e32 v7, 0
	v_mov_b32_e32 v8, 0
	s_cbranch_vccnz .LBB97_33
; %bb.35:                               ;   in Loop: Header=BB97_34 Depth=2
	s_mov_b32 s19, 0
	v_mov_b32_e32 v7, 0
	s_mov_b32 s20, s41
	v_mov_b32_e32 v9, v5
	v_mov_b32_e32 v8, 0
.LBB97_36:                              ;   Parent Loop BB97_9 Depth=1
                                        ;     Parent Loop BB97_34 Depth=2
                                        ; =>    This Inner Loop Header: Depth=3
	v_mov_b32_e32 v24, s20
	ds_read_b64 v[22:23], v9
	ds_read_b64 v[24:25], v24
	s_add_i32 s19, s19, 1
	s_add_i32 s20, s20, 8
	v_add_u32_e32 v9, 8, v9
	s_cmp_ge_i32 s19, s42
	s_waitcnt lgkmcnt(0)
	v_mul_f32_e32 v26, v25, v23
	v_mul_f32_e32 v25, v25, v22
	v_fmac_f32_e32 v26, v24, v22
	v_fma_f32 v22, v24, v23, -v25
	v_add_f32_e32 v8, v8, v26
	v_add_f32_e32 v7, v7, v22
	s_cbranch_scc0 .LBB97_36
	s_branch .LBB97_33
.LBB97_37:                              ;   in Loop: Header=BB97_9 Depth=1
	s_or_b64 exec, exec, s[6:7]
	v_cmp_gt_i32_e32 vcc, s42, v0
	s_waitcnt lgkmcnt(0)
	s_barrier
	s_and_saveexec_b64 s[6:7], vcc
	s_cbranch_execz .LBB97_8
; %bb.38:                               ;   in Loop: Header=BB97_9 Depth=1
	s_cmp_gt_i32 s18, 0
	s_mov_b64 s[8:9], 0
	s_cselect_b64 s[14:15], -1, 0
	v_mov_b32_e32 v5, v18
	v_mov_b32_e32 v6, v0
	s_branch .LBB97_40
.LBB97_39:                              ;   in Loop: Header=BB97_40 Depth=2
	v_add_u32_e32 v6, 0x100, v6
	v_cmp_le_i32_e32 vcc, s42, v6
	s_or_b64 s[8:9], vcc, s[8:9]
	v_add_u32_e32 v5, 0x800, v5
	s_andn2_b64 exec, exec, s[8:9]
	s_cbranch_execz .LBB97_8
.LBB97_40:                              ;   Parent Loop BB97_9 Depth=1
                                        ; =>  This Loop Header: Depth=2
                                        ;       Child Loop BB97_42 Depth 3
	s_andn2_b64 vcc, exec, s[14:15]
	s_cbranch_vccnz .LBB97_39
; %bb.41:                               ;   in Loop: Header=BB97_40 Depth=2
	v_lshl_add_u32 v7, v6, 3, s43
	s_mov_b32 s19, 0
	s_mov_b32 s20, s35
	v_mov_b32_e32 v8, v5
.LBB97_42:                              ;   Parent Loop BB97_9 Depth=1
                                        ;     Parent Loop BB97_40 Depth=2
                                        ; =>    This Inner Loop Header: Depth=3
	v_mov_b32_e32 v9, s20
	ds_read_b64 v[22:23], v7
	ds_read_b64 v[24:25], v8
	ds_read_b64 v[26:27], v9
	s_add_i32 s19, s19, 1
	s_add_i32 s20, s20, 8
	s_cmp_ge_i32 s19, s18
	s_waitcnt lgkmcnt(0)
	v_pk_mul_f32 v[28:29], v[26:27], v[22:23] op_sel:[0,1]
	v_pk_fma_f32 v[30:31], v[26:27], v[22:23], v[28:29] op_sel:[0,0,1] op_sel_hi:[1,1,0] neg_lo:[0,0,1] neg_hi:[0,0,1]
	v_pk_fma_f32 v[22:23], v[26:27], v[22:23], v[28:29] op_sel:[0,0,1] op_sel_hi:[1,0,0]
	v_mov_b32_e32 v31, v23
	v_pk_add_f32 v[22:23], v[24:25], v[30:31] neg_lo:[0,1] neg_hi:[0,1]
	ds_write_b64 v8, v[22:23]
	v_add_u32_e32 v8, s37, v8
	s_cbranch_scc0 .LBB97_42
	s_branch .LBB97_39
.LBB97_43:                              ;   in Loop: Header=BB97_9 Depth=1
	s_branch .LBB97_23
.LBB97_44:
	s_and_saveexec_b64 s[2:3], s[0:1]
	s_cbranch_execz .LBB97_50
; %bb.45:
	v_mad_u64_u32 v[0:1], s[0:1], s28, v3, v[2:3]
	v_mul_lo_u32 v1, s16, v3
	v_lshlrev_b32_e32 v1, 3, v1
	v_cmp_gt_i32_e32 vcc, s17, v3
	s_lshl_b32 s10, s28, 1
	v_add3_u32 v1, v1, v10, 0
	s_lshl_b32 s11, s16, 4
	s_mov_b64 s[4:5], 0
	s_branch .LBB97_47
.LBB97_46:                              ;   in Loop: Header=BB97_47 Depth=1
	s_or_b64 exec, exec, s[6:7]
	v_add_u32_e32 v2, 0x80, v2
	v_cmp_le_i32_e64 s[0:1], s16, v2
	v_add_u32_e32 v0, 0x80, v0
	s_or_b64 s[4:5], s[0:1], s[4:5]
	v_add_u32_e32 v1, 0x400, v1
	s_andn2_b64 exec, exec, s[4:5]
	s_cbranch_execz .LBB97_50
.LBB97_47:                              ; =>This Loop Header: Depth=1
                                        ;     Child Loop BB97_49 Depth 2
	s_and_saveexec_b64 s[6:7], vcc
	s_cbranch_execz .LBB97_46
; %bb.48:                               ;   in Loop: Header=BB97_47 Depth=1
	s_mov_b64 s[8:9], 0
	v_mov_b32_e32 v6, v1
	v_mov_b32_e32 v4, v0
	v_mov_b32_e32 v7, v3
.LBB97_49:                              ;   Parent Loop BB97_47 Depth=1
                                        ; =>  This Inner Loop Header: Depth=2
	ds_read_b64 v[8:9], v6
	v_ashrrev_i32_e32 v5, 31, v4
	v_add_u32_e32 v7, 2, v7
	v_lshlrev_b64 v[10:11], 3, v[4:5]
	v_mov_b32_e32 v12, s27
	v_cmp_le_i32_e64 s[0:1], s17, v7
	v_add_co_u32_e64 v10, s[2:3], s26, v10
	v_add_u32_e32 v6, s11, v6
	v_add_u32_e32 v4, s10, v4
	v_addc_co_u32_e64 v11, s[2:3], v12, v11, s[2:3]
	s_or_b64 s[8:9], s[0:1], s[8:9]
	s_waitcnt lgkmcnt(0)
	global_store_dwordx2 v[10:11], v[8:9], off
	s_andn2_b64 exec, exec, s[8:9]
	s_cbranch_execnz .LBB97_49
	s_branch .LBB97_46
.LBB97_50:
	s_endpgm
	.section	.rodata,"a",@progbits
	.p2align	6, 0x0
	.amdhsa_kernel _ZN9rocsolver6v33100L18geqr2_kernel_smallILi256E19rocblas_complex_numIfEifPS3_EEvT1_S5_T3_lS5_lPT2_lPT0_l
		.amdhsa_group_segment_fixed_size 0
		.amdhsa_private_segment_fixed_size 0
		.amdhsa_kernarg_size 72
		.amdhsa_user_sgpr_count 6
		.amdhsa_user_sgpr_private_segment_buffer 1
		.amdhsa_user_sgpr_dispatch_ptr 0
		.amdhsa_user_sgpr_queue_ptr 0
		.amdhsa_user_sgpr_kernarg_segment_ptr 1
		.amdhsa_user_sgpr_dispatch_id 0
		.amdhsa_user_sgpr_flat_scratch_init 0
		.amdhsa_user_sgpr_kernarg_preload_length 0
		.amdhsa_user_sgpr_kernarg_preload_offset 0
		.amdhsa_user_sgpr_private_segment_size 0
		.amdhsa_uses_dynamic_stack 0
		.amdhsa_system_sgpr_private_segment_wavefront_offset 0
		.amdhsa_system_sgpr_workgroup_id_x 1
		.amdhsa_system_sgpr_workgroup_id_y 0
		.amdhsa_system_sgpr_workgroup_id_z 1
		.amdhsa_system_sgpr_workgroup_info 0
		.amdhsa_system_vgpr_workitem_id 0
		.amdhsa_next_free_vgpr 32
		.amdhsa_next_free_sgpr 49
		.amdhsa_accum_offset 32
		.amdhsa_reserve_vcc 1
		.amdhsa_reserve_flat_scratch 0
		.amdhsa_float_round_mode_32 0
		.amdhsa_float_round_mode_16_64 0
		.amdhsa_float_denorm_mode_32 3
		.amdhsa_float_denorm_mode_16_64 3
		.amdhsa_dx10_clamp 1
		.amdhsa_ieee_mode 1
		.amdhsa_fp16_overflow 0
		.amdhsa_tg_split 0
		.amdhsa_exception_fp_ieee_invalid_op 0
		.amdhsa_exception_fp_denorm_src 0
		.amdhsa_exception_fp_ieee_div_zero 0
		.amdhsa_exception_fp_ieee_overflow 0
		.amdhsa_exception_fp_ieee_underflow 0
		.amdhsa_exception_fp_ieee_inexact 0
		.amdhsa_exception_int_div_zero 0
	.end_amdhsa_kernel
	.section	.text._ZN9rocsolver6v33100L18geqr2_kernel_smallILi256E19rocblas_complex_numIfEifPS3_EEvT1_S5_T3_lS5_lPT2_lPT0_l,"axG",@progbits,_ZN9rocsolver6v33100L18geqr2_kernel_smallILi256E19rocblas_complex_numIfEifPS3_EEvT1_S5_T3_lS5_lPT2_lPT0_l,comdat
.Lfunc_end97:
	.size	_ZN9rocsolver6v33100L18geqr2_kernel_smallILi256E19rocblas_complex_numIfEifPS3_EEvT1_S5_T3_lS5_lPT2_lPT0_l, .Lfunc_end97-_ZN9rocsolver6v33100L18geqr2_kernel_smallILi256E19rocblas_complex_numIfEifPS3_EEvT1_S5_T3_lS5_lPT2_lPT0_l
                                        ; -- End function
	.section	.AMDGPU.csdata,"",@progbits
; Kernel info:
; codeLenInByte = 2760
; NumSgprs: 53
; NumVgprs: 32
; NumAgprs: 0
; TotalNumVgprs: 32
; ScratchSize: 0
; MemoryBound: 0
; FloatMode: 240
; IeeeMode: 1
; LDSByteSize: 0 bytes/workgroup (compile time only)
; SGPRBlocks: 6
; VGPRBlocks: 3
; NumSGPRsForWavesPerEU: 53
; NumVGPRsForWavesPerEU: 32
; AccumOffset: 32
; Occupancy: 8
; WaveLimiterHint : 0
; COMPUTE_PGM_RSRC2:SCRATCH_EN: 0
; COMPUTE_PGM_RSRC2:USER_SGPR: 6
; COMPUTE_PGM_RSRC2:TRAP_HANDLER: 0
; COMPUTE_PGM_RSRC2:TGID_X_EN: 1
; COMPUTE_PGM_RSRC2:TGID_Y_EN: 0
; COMPUTE_PGM_RSRC2:TGID_Z_EN: 1
; COMPUTE_PGM_RSRC2:TIDIG_COMP_CNT: 0
; COMPUTE_PGM_RSRC3_GFX90A:ACCUM_OFFSET: 7
; COMPUTE_PGM_RSRC3_GFX90A:TG_SPLIT: 0
	.section	.text._ZN9rocsolver6v33100L16reset_batch_infoI19rocblas_complex_numIfEiiPS3_EEvT2_lT0_T1_,"axG",@progbits,_ZN9rocsolver6v33100L16reset_batch_infoI19rocblas_complex_numIfEiiPS3_EEvT2_lT0_T1_,comdat
	.globl	_ZN9rocsolver6v33100L16reset_batch_infoI19rocblas_complex_numIfEiiPS3_EEvT2_lT0_T1_ ; -- Begin function _ZN9rocsolver6v33100L16reset_batch_infoI19rocblas_complex_numIfEiiPS3_EEvT2_lT0_T1_
	.p2align	8
	.type	_ZN9rocsolver6v33100L16reset_batch_infoI19rocblas_complex_numIfEiiPS3_EEvT2_lT0_T1_,@function
_ZN9rocsolver6v33100L16reset_batch_infoI19rocblas_complex_numIfEiiPS3_EEvT2_lT0_T1_: ; @_ZN9rocsolver6v33100L16reset_batch_infoI19rocblas_complex_numIfEiiPS3_EEvT2_lT0_T1_
; %bb.0:
	s_load_dword s2, s[4:5], 0x24
	s_load_dwordx2 s[0:1], s[4:5], 0x10
	s_waitcnt lgkmcnt(0)
	s_and_b32 s2, s2, 0xffff
	s_mul_i32 s6, s6, s2
	v_add_u32_e32 v0, s6, v0
	v_cmp_gt_i32_e32 vcc, s0, v0
	s_and_saveexec_b64 s[2:3], vcc
	s_cbranch_execz .LBB98_2
; %bb.1:
	s_load_dwordx4 s[8:11], s[4:5], 0x0
	s_ashr_i32 s0, s7, 31
	v_ashrrev_i32_e32 v1, 31, v0
	v_cvt_f32_i32_e32 v2, s1
	v_lshlrev_b64 v[0:1], 3, v[0:1]
	s_waitcnt lgkmcnt(0)
	s_mul_i32 s3, s7, s11
	s_mul_hi_u32 s4, s7, s10
	s_mul_i32 s0, s0, s10
	s_add_i32 s3, s4, s3
	s_mul_i32 s2, s7, s10
	s_add_i32 s3, s3, s0
	s_lshl_b64 s[2:3], s[2:3], 3
	s_add_u32 s0, s8, s2
	s_addc_u32 s2, s9, s3
	v_mov_b32_e32 v3, s2
	v_add_co_u32_e32 v0, vcc, s0, v0
	v_addc_co_u32_e32 v1, vcc, v3, v1, vcc
	v_mov_b32_e32 v3, 0
	global_store_dwordx2 v[0:1], v[2:3], off
.LBB98_2:
	s_endpgm
	.section	.rodata,"a",@progbits
	.p2align	6, 0x0
	.amdhsa_kernel _ZN9rocsolver6v33100L16reset_batch_infoI19rocblas_complex_numIfEiiPS3_EEvT2_lT0_T1_
		.amdhsa_group_segment_fixed_size 0
		.amdhsa_private_segment_fixed_size 0
		.amdhsa_kernarg_size 280
		.amdhsa_user_sgpr_count 6
		.amdhsa_user_sgpr_private_segment_buffer 1
		.amdhsa_user_sgpr_dispatch_ptr 0
		.amdhsa_user_sgpr_queue_ptr 0
		.amdhsa_user_sgpr_kernarg_segment_ptr 1
		.amdhsa_user_sgpr_dispatch_id 0
		.amdhsa_user_sgpr_flat_scratch_init 0
		.amdhsa_user_sgpr_kernarg_preload_length 0
		.amdhsa_user_sgpr_kernarg_preload_offset 0
		.amdhsa_user_sgpr_private_segment_size 0
		.amdhsa_uses_dynamic_stack 0
		.amdhsa_system_sgpr_private_segment_wavefront_offset 0
		.amdhsa_system_sgpr_workgroup_id_x 1
		.amdhsa_system_sgpr_workgroup_id_y 1
		.amdhsa_system_sgpr_workgroup_id_z 0
		.amdhsa_system_sgpr_workgroup_info 0
		.amdhsa_system_vgpr_workitem_id 0
		.amdhsa_next_free_vgpr 4
		.amdhsa_next_free_sgpr 12
		.amdhsa_accum_offset 4
		.amdhsa_reserve_vcc 1
		.amdhsa_reserve_flat_scratch 0
		.amdhsa_float_round_mode_32 0
		.amdhsa_float_round_mode_16_64 0
		.amdhsa_float_denorm_mode_32 3
		.amdhsa_float_denorm_mode_16_64 3
		.amdhsa_dx10_clamp 1
		.amdhsa_ieee_mode 1
		.amdhsa_fp16_overflow 0
		.amdhsa_tg_split 0
		.amdhsa_exception_fp_ieee_invalid_op 0
		.amdhsa_exception_fp_denorm_src 0
		.amdhsa_exception_fp_ieee_div_zero 0
		.amdhsa_exception_fp_ieee_overflow 0
		.amdhsa_exception_fp_ieee_underflow 0
		.amdhsa_exception_fp_ieee_inexact 0
		.amdhsa_exception_int_div_zero 0
	.end_amdhsa_kernel
	.section	.text._ZN9rocsolver6v33100L16reset_batch_infoI19rocblas_complex_numIfEiiPS3_EEvT2_lT0_T1_,"axG",@progbits,_ZN9rocsolver6v33100L16reset_batch_infoI19rocblas_complex_numIfEiiPS3_EEvT2_lT0_T1_,comdat
.Lfunc_end98:
	.size	_ZN9rocsolver6v33100L16reset_batch_infoI19rocblas_complex_numIfEiiPS3_EEvT2_lT0_T1_, .Lfunc_end98-_ZN9rocsolver6v33100L16reset_batch_infoI19rocblas_complex_numIfEiiPS3_EEvT2_lT0_T1_
                                        ; -- End function
	.section	.AMDGPU.csdata,"",@progbits
; Kernel info:
; codeLenInByte = 144
; NumSgprs: 16
; NumVgprs: 4
; NumAgprs: 0
; TotalNumVgprs: 4
; ScratchSize: 0
; MemoryBound: 0
; FloatMode: 240
; IeeeMode: 1
; LDSByteSize: 0 bytes/workgroup (compile time only)
; SGPRBlocks: 1
; VGPRBlocks: 0
; NumSGPRsForWavesPerEU: 16
; NumVGPRsForWavesPerEU: 4
; AccumOffset: 4
; Occupancy: 8
; WaveLimiterHint : 0
; COMPUTE_PGM_RSRC2:SCRATCH_EN: 0
; COMPUTE_PGM_RSRC2:USER_SGPR: 6
; COMPUTE_PGM_RSRC2:TRAP_HANDLER: 0
; COMPUTE_PGM_RSRC2:TGID_X_EN: 1
; COMPUTE_PGM_RSRC2:TGID_Y_EN: 1
; COMPUTE_PGM_RSRC2:TGID_Z_EN: 0
; COMPUTE_PGM_RSRC2:TIDIG_COMP_CNT: 0
; COMPUTE_PGM_RSRC3_GFX90A:ACCUM_OFFSET: 0
; COMPUTE_PGM_RSRC3_GFX90A:TG_SPLIT: 0
	.section	.text._ZN9rocsolver6v33100L8set_diagI19rocblas_complex_numIfEifPS3_TnNSt9enable_ifIXaa18rocblas_is_complexIT_Ent18rocblas_is_complexIT1_EEiE4typeELi0EEEvPS7_llT2_lT0_lSC_b,"axG",@progbits,_ZN9rocsolver6v33100L8set_diagI19rocblas_complex_numIfEifPS3_TnNSt9enable_ifIXaa18rocblas_is_complexIT_Ent18rocblas_is_complexIT1_EEiE4typeELi0EEEvPS7_llT2_lT0_lSC_b,comdat
	.globl	_ZN9rocsolver6v33100L8set_diagI19rocblas_complex_numIfEifPS3_TnNSt9enable_ifIXaa18rocblas_is_complexIT_Ent18rocblas_is_complexIT1_EEiE4typeELi0EEEvPS7_llT2_lT0_lSC_b ; -- Begin function _ZN9rocsolver6v33100L8set_diagI19rocblas_complex_numIfEifPS3_TnNSt9enable_ifIXaa18rocblas_is_complexIT_Ent18rocblas_is_complexIT1_EEiE4typeELi0EEEvPS7_llT2_lT0_lSC_b
	.p2align	8
	.type	_ZN9rocsolver6v33100L8set_diagI19rocblas_complex_numIfEifPS3_TnNSt9enable_ifIXaa18rocblas_is_complexIT_Ent18rocblas_is_complexIT1_EEiE4typeELi0EEEvPS7_llT2_lT0_lSC_b,@function
_ZN9rocsolver6v33100L8set_diagI19rocblas_complex_numIfEifPS3_TnNSt9enable_ifIXaa18rocblas_is_complexIT_Ent18rocblas_is_complexIT1_EEiE4typeELi0EEEvPS7_llT2_lT0_lSC_b: ; @_ZN9rocsolver6v33100L8set_diagI19rocblas_complex_numIfEifPS3_TnNSt9enable_ifIXaa18rocblas_is_complexIT_Ent18rocblas_is_complexIT1_EEiE4typeELi0EEEvPS7_llT2_lT0_lSC_b
; %bb.0:
	s_load_dword s2, s[4:5], 0x4c
	s_load_dwordx2 s[0:1], s[4:5], 0x38
	v_bfe_u32 v0, v0, 10, 10
	s_waitcnt lgkmcnt(0)
	s_lshr_b32 s2, s2, 16
	s_mul_i32 s7, s7, s2
	v_add_u32_e32 v0, s7, v0
	v_cmp_gt_i32_e32 vcc, s0, v0
	s_and_saveexec_b64 s[2:3], vcc
	s_cbranch_execz .LBB99_5
; %bb.1:
	s_load_dwordx2 s[2:3], s[4:5], 0x20
	s_load_dword s7, s[4:5], 0x28
	s_load_dwordx2 s[16:17], s[4:5], 0x30
	s_load_dwordx8 s[8:15], s[4:5], 0x0
	s_bitcmp1_b32 s1, 0
	s_cselect_b64 s[0:1], -1, 0
	s_ashr_i32 s18, s6, 31
	s_waitcnt lgkmcnt(0)
	s_mul_i32 s4, s6, s17
	s_mul_hi_u32 s5, s6, s16
	s_add_i32 s4, s5, s4
	s_mul_i32 s5, s18, s16
	s_add_i32 s5, s4, s5
	s_mul_i32 s4, s6, s16
	s_lshl_b64 s[4:5], s[4:5], 3
	s_add_u32 s4, s14, s4
	s_addc_u32 s5, s15, s5
	s_lshl_b64 s[2:3], s[2:3], 3
	s_add_u32 s4, s4, s2
	s_addc_u32 s5, s5, s3
	v_mad_u64_u32 v[2:3], s[2:3], v0, s7, v[0:1]
	v_ashrrev_i32_e32 v3, 31, v2
	v_lshlrev_b64 v[2:3], 3, v[2:3]
	v_mov_b32_e32 v1, s5
	v_add_co_u32_e32 v2, vcc, s4, v2
	v_addc_co_u32_e32 v3, vcc, v1, v3, vcc
	global_load_dword v4, v[2:3], off
	s_mul_i32 s3, s6, s13
	s_mul_hi_u32 s4, s6, s12
	s_mul_i32 s18, s18, s12
	s_add_i32 s3, s4, s3
	s_mul_i32 s2, s6, s12
	s_add_i32 s3, s3, s18
	s_lshl_b64 s[2:3], s[2:3], 2
	s_add_u32 s4, s8, s2
	s_addc_u32 s5, s9, s3
	s_lshl_b64 s[2:3], s[10:11], 2
	v_ashrrev_i32_e32 v1, 31, v0
	s_add_u32 s2, s4, s2
	v_lshlrev_b64 v[0:1], 2, v[0:1]
	s_addc_u32 s3, s5, s3
	s_and_b64 vcc, exec, s[0:1]
	v_mov_b32_e32 v5, s3
	v_add_co_u32_e64 v0, s[0:1], s2, v0
	v_addc_co_u32_e64 v1, s[0:1], v5, v1, s[0:1]
	s_waitcnt vmcnt(0)
	global_store_dword v[0:1], v4, off
	s_cbranch_vccnz .LBB99_3
; %bb.2:
	global_load_dword v5, v[2:3], off offset:4
	s_branch .LBB99_4
.LBB99_3:
	v_mov_b32_e32 v4, 1.0
	v_mov_b32_e32 v5, 0
.LBB99_4:
	s_waitcnt vmcnt(0)
	global_store_dwordx2 v[2:3], v[4:5], off
.LBB99_5:
	s_endpgm
	.section	.rodata,"a",@progbits
	.p2align	6, 0x0
	.amdhsa_kernel _ZN9rocsolver6v33100L8set_diagI19rocblas_complex_numIfEifPS3_TnNSt9enable_ifIXaa18rocblas_is_complexIT_Ent18rocblas_is_complexIT1_EEiE4typeELi0EEEvPS7_llT2_lT0_lSC_b
		.amdhsa_group_segment_fixed_size 0
		.amdhsa_private_segment_fixed_size 0
		.amdhsa_kernarg_size 320
		.amdhsa_user_sgpr_count 6
		.amdhsa_user_sgpr_private_segment_buffer 1
		.amdhsa_user_sgpr_dispatch_ptr 0
		.amdhsa_user_sgpr_queue_ptr 0
		.amdhsa_user_sgpr_kernarg_segment_ptr 1
		.amdhsa_user_sgpr_dispatch_id 0
		.amdhsa_user_sgpr_flat_scratch_init 0
		.amdhsa_user_sgpr_kernarg_preload_length 0
		.amdhsa_user_sgpr_kernarg_preload_offset 0
		.amdhsa_user_sgpr_private_segment_size 0
		.amdhsa_uses_dynamic_stack 0
		.amdhsa_system_sgpr_private_segment_wavefront_offset 0
		.amdhsa_system_sgpr_workgroup_id_x 1
		.amdhsa_system_sgpr_workgroup_id_y 1
		.amdhsa_system_sgpr_workgroup_id_z 0
		.amdhsa_system_sgpr_workgroup_info 0
		.amdhsa_system_vgpr_workitem_id 1
		.amdhsa_next_free_vgpr 6
		.amdhsa_next_free_sgpr 19
		.amdhsa_accum_offset 8
		.amdhsa_reserve_vcc 1
		.amdhsa_reserve_flat_scratch 0
		.amdhsa_float_round_mode_32 0
		.amdhsa_float_round_mode_16_64 0
		.amdhsa_float_denorm_mode_32 3
		.amdhsa_float_denorm_mode_16_64 3
		.amdhsa_dx10_clamp 1
		.amdhsa_ieee_mode 1
		.amdhsa_fp16_overflow 0
		.amdhsa_tg_split 0
		.amdhsa_exception_fp_ieee_invalid_op 0
		.amdhsa_exception_fp_denorm_src 0
		.amdhsa_exception_fp_ieee_div_zero 0
		.amdhsa_exception_fp_ieee_overflow 0
		.amdhsa_exception_fp_ieee_underflow 0
		.amdhsa_exception_fp_ieee_inexact 0
		.amdhsa_exception_int_div_zero 0
	.end_amdhsa_kernel
	.section	.text._ZN9rocsolver6v33100L8set_diagI19rocblas_complex_numIfEifPS3_TnNSt9enable_ifIXaa18rocblas_is_complexIT_Ent18rocblas_is_complexIT1_EEiE4typeELi0EEEvPS7_llT2_lT0_lSC_b,"axG",@progbits,_ZN9rocsolver6v33100L8set_diagI19rocblas_complex_numIfEifPS3_TnNSt9enable_ifIXaa18rocblas_is_complexIT_Ent18rocblas_is_complexIT1_EEiE4typeELi0EEEvPS7_llT2_lT0_lSC_b,comdat
.Lfunc_end99:
	.size	_ZN9rocsolver6v33100L8set_diagI19rocblas_complex_numIfEifPS3_TnNSt9enable_ifIXaa18rocblas_is_complexIT_Ent18rocblas_is_complexIT1_EEiE4typeELi0EEEvPS7_llT2_lT0_lSC_b, .Lfunc_end99-_ZN9rocsolver6v33100L8set_diagI19rocblas_complex_numIfEifPS3_TnNSt9enable_ifIXaa18rocblas_is_complexIT_Ent18rocblas_is_complexIT1_EEiE4typeELi0EEEvPS7_llT2_lT0_lSC_b
                                        ; -- End function
	.section	.AMDGPU.csdata,"",@progbits
; Kernel info:
; codeLenInByte = 324
; NumSgprs: 23
; NumVgprs: 6
; NumAgprs: 0
; TotalNumVgprs: 6
; ScratchSize: 0
; MemoryBound: 0
; FloatMode: 240
; IeeeMode: 1
; LDSByteSize: 0 bytes/workgroup (compile time only)
; SGPRBlocks: 2
; VGPRBlocks: 0
; NumSGPRsForWavesPerEU: 23
; NumVGPRsForWavesPerEU: 6
; AccumOffset: 8
; Occupancy: 8
; WaveLimiterHint : 0
; COMPUTE_PGM_RSRC2:SCRATCH_EN: 0
; COMPUTE_PGM_RSRC2:USER_SGPR: 6
; COMPUTE_PGM_RSRC2:TRAP_HANDLER: 0
; COMPUTE_PGM_RSRC2:TGID_X_EN: 1
; COMPUTE_PGM_RSRC2:TGID_Y_EN: 1
; COMPUTE_PGM_RSRC2:TGID_Z_EN: 0
; COMPUTE_PGM_RSRC2:TIDIG_COMP_CNT: 1
; COMPUTE_PGM_RSRC3_GFX90A:ACCUM_OFFSET: 1
; COMPUTE_PGM_RSRC3_GFX90A:TG_SPLIT: 0
	.section	.text._ZN9rocsolver6v33100L11set_taubetaI19rocblas_complex_numIfEifPS3_EEvPT_lS6_T2_llPT1_ll,"axG",@progbits,_ZN9rocsolver6v33100L11set_taubetaI19rocblas_complex_numIfEifPS3_EEvPT_lS6_T2_llPT1_ll,comdat
	.globl	_ZN9rocsolver6v33100L11set_taubetaI19rocblas_complex_numIfEifPS3_EEvPT_lS6_T2_llPT1_ll ; -- Begin function _ZN9rocsolver6v33100L11set_taubetaI19rocblas_complex_numIfEifPS3_EEvPT_lS6_T2_llPT1_ll
	.p2align	8
	.type	_ZN9rocsolver6v33100L11set_taubetaI19rocblas_complex_numIfEifPS3_EEvPT_lS6_T2_llPT1_ll,@function
_ZN9rocsolver6v33100L11set_taubetaI19rocblas_complex_numIfEifPS3_EEvPT_lS6_T2_llPT1_ll: ; @_ZN9rocsolver6v33100L11set_taubetaI19rocblas_complex_numIfEifPS3_EEvPT_lS6_T2_llPT1_ll
; %bb.0:
	s_load_dwordx16 s[8:23], s[4:5], 0x0
	s_ashr_i32 s7, s6, 31
	s_mov_b64 s[0:1], 0
	s_mov_b64 s[24:25], 0
	s_waitcnt lgkmcnt(0)
	s_cmp_eq_u64 s[20:21], 0
	s_cbranch_scc1 .LBB100_2
; %bb.1:
	s_load_dwordx2 s[2:3], s[4:5], 0x40
	s_waitcnt lgkmcnt(0)
	s_mul_i32 s3, s6, s3
	s_mul_hi_u32 s4, s6, s2
	s_mul_i32 s5, s7, s2
	s_add_i32 s3, s4, s3
	s_mul_i32 s2, s6, s2
	s_add_i32 s3, s3, s5
	s_lshl_b64 s[2:3], s[2:3], 2
	s_add_u32 s4, s20, s2
	s_addc_u32 s5, s21, s3
	s_lshl_b64 s[2:3], s[22:23], 2
	s_add_u32 s24, s4, s2
	s_addc_u32 s25, s5, s3
.LBB100_2:
	s_mul_i32 s2, s6, s19
	s_mul_hi_u32 s3, s6, s18
	s_add_i32 s2, s3, s2
	s_mul_i32 s3, s7, s18
	s_add_i32 s3, s2, s3
	s_mul_i32 s2, s6, s18
	s_lshl_b64 s[2:3], s[2:3], 3
	s_add_u32 s4, s14, s2
	s_addc_u32 s5, s15, s3
	s_lshl_b64 s[2:3], s[16:17], 3
	s_add_u32 s2, s4, s2
	s_addc_u32 s3, s5, s3
	s_mul_i32 s4, s6, s11
	s_mul_hi_u32 s5, s6, s10
	s_add_i32 s4, s5, s4
	s_mul_i32 s5, s7, s10
	s_add_i32 s5, s4, s5
	s_mul_i32 s4, s6, s10
	s_lshl_b64 s[4:5], s[4:5], 3
	s_add_u32 s4, s8, s4
	s_addc_u32 s5, s9, s5
	s_lshl_b64 s[6:7], s[6:7], 3
	s_add_u32 s8, s12, s6
	s_addc_u32 s9, s13, s7
	s_load_dword s14, s[2:3], 0x4
	s_load_dword s12, s[8:9], 0x0
	s_cmp_lg_u64 s[24:25], 0
	s_cselect_b64 s[6:7], -1, 0
	s_mov_b64 s[10:11], -1
	s_waitcnt lgkmcnt(0)
	v_mul_f32_e64 v2, s14, s14
	v_max_f32_e64 v0, s12, s12
	v_max_f32_e32 v0, v0, v2
	v_cmp_nlt_f32_e32 vcc, 0, v0
	s_cbranch_vccz .LBB100_5
; %bb.3:
	v_mov_b32_e32 v1, 0
	v_mov_b32_e32 v0, 1.0
	v_mov_b32_e32 v4, v1
	v_mov_b32_e32 v5, v1
	s_mov_b64 s[10:11], 0
	s_and_b64 vcc, exec, s[6:7]
	global_store_dwordx2 v1, v[0:1], s[8:9]
	global_store_dwordx2 v1, v[4:5], s[4:5]
	s_cbranch_vccz .LBB100_5
; %bb.4:
	global_load_dword v3, v1, s[2:3]
	v_pk_mov_b32 v[4:5], s[24:25], s[24:25] op_sel:[0,1]
	s_mov_b64 s[0:1], -1
	s_waitcnt vmcnt(0)
	flat_store_dword v[4:5], v3
	global_store_dword v1, v0, s[2:3]
.LBB100_5:
	s_and_b64 vcc, exec, s[10:11]
	s_cbranch_vccnz .LBB100_8
; %bb.6:
	s_andn2_b64 vcc, exec, s[0:1]
	s_cbranch_vccz .LBB100_12
; %bb.7:
	s_endpgm
.LBB100_8:
	s_load_dword s10, s[2:3], 0x0
	s_mov_b32 s0, 0xf800000
	v_mov_b32_e32 v3, 0x260
	s_waitcnt lgkmcnt(0)
	v_fma_f32 v0, s10, s10, v2
	v_add_f32_e32 v0, s12, v0
	v_mul_f32_e32 v1, 0x4f800000, v0
	v_cmp_gt_f32_e32 vcc, s0, v0
	v_cndmask_b32_e32 v0, v0, v1, vcc
	v_sqrt_f32_e32 v1, v0
	v_add_u32_e32 v4, -1, v1
	v_add_u32_e32 v5, 1, v1
	v_fma_f32 v6, -v4, v1, v0
	v_fma_f32 v7, -v5, v1, v0
	v_cmp_ge_f32_e64 s[0:1], 0, v6
	v_cndmask_b32_e64 v1, v1, v4, s[0:1]
	v_cmp_lt_f32_e64 s[0:1], 0, v7
	v_cndmask_b32_e64 v1, v1, v5, s[0:1]
	v_mul_f32_e32 v4, 0x37800000, v1
	v_cndmask_b32_e32 v1, v1, v4, vcc
	v_cmp_class_f32_e32 vcc, v0, v3
	v_cndmask_b32_e32 v0, v1, v0, vcc
	v_cmp_ge_f32_e64 s[0:1], s10, 0
	v_cndmask_b32_e64 v0, v0, -v0, s[0:1]
	v_sub_f32_e32 v1, s10, v0
	v_fmac_f32_e32 v2, v1, v1
	v_div_scale_f32 v3, s[0:1], v2, v2, v1
	v_rcp_f32_e32 v4, v3
	v_fma_f32 v5, -v3, v4, 1.0
	v_fmac_f32_e32 v4, v5, v4
	v_div_scale_f32 v5, vcc, v1, v2, v1
	v_mul_f32_e32 v6, v5, v4
	v_fma_f32 v7, -v3, v6, v5
	v_fmac_f32_e32 v6, v7, v4
	v_fma_f32 v3, -v3, v6, v5
	v_div_scale_f32 v5, s[0:1], v2, v2, -s14
	v_rcp_f32_e32 v7, v5
	v_div_fmas_f32 v3, v3, v4, v6
	v_div_fixup_f32 v4, v3, v2, v1
	v_fma_f32 v1, -v5, v7, 1.0
	v_fmac_f32_e32 v7, v1, v7
	v_div_scale_f32 v1, vcc, -s14, v2, -s14
	v_mul_f32_e32 v3, v1, v7
	v_fma_f32 v6, -v5, v3, v1
	v_fmac_f32_e32 v3, v6, v7
	v_fma_f32 v1, -v5, v3, v1
	v_div_fmas_f32 v1, v1, v7, v3
	v_subrev_f32_e32 v3, s10, v0
	v_div_scale_f32 v6, s[0:1], v0, v0, v3
	v_rcp_f32_e32 v7, v6
	v_div_fixup_f32 v5, v1, v2, -s14
	v_mov_b32_e32 v1, 0
	global_store_dwordx2 v1, v[4:5], s[8:9]
	v_fma_f32 v2, -v6, v7, 1.0
	v_fmac_f32_e32 v7, v2, v7
	v_div_scale_f32 v2, vcc, v3, v0, v3
	v_mul_f32_e32 v4, v2, v7
	v_fma_f32 v5, -v6, v4, v2
	v_fmac_f32_e32 v4, v5, v7
	v_div_scale_f32 v5, s[0:1], v0, v0, -s14
	v_fma_f32 v2, -v6, v4, v2
	v_rcp_f32_e32 v6, v5
	v_div_fmas_f32 v2, v2, v7, v4
	v_div_fixup_f32 v2, v2, v0, v3
	v_fma_f32 v3, -v5, v6, 1.0
	v_fmac_f32_e32 v6, v3, v6
	v_div_scale_f32 v3, vcc, -s14, v0, -s14
	v_mul_f32_e32 v4, v3, v6
	v_fma_f32 v7, -v5, v4, v3
	v_fmac_f32_e32 v4, v7, v6
	v_fma_f32 v3, -v5, v4, v3
	v_div_fmas_f32 v3, v3, v6, v4
	v_div_fixup_f32 v3, v3, v0, -s14
	s_and_b64 vcc, exec, s[6:7]
	global_store_dwordx2 v1, v[2:3], s[4:5]
	s_cbranch_vccz .LBB100_13
; %bb.9:
	v_pk_mov_b32 v[2:3], s[24:25], s[24:25] op_sel:[0,1]
	flat_store_dword v[2:3], v0
	v_mov_b32_e32 v2, 1.0
	s_waitcnt lgkmcnt(0)
	global_store_dword v1, v2, s[2:3]
	s_cbranch_execnz .LBB100_11
.LBB100_10:
	v_mov_b32_e32 v1, 0
	global_store_dword v1, v0, s[2:3]
.LBB100_11:
.LBB100_12:
	v_mov_b32_e32 v0, 0
	global_store_dword v0, v0, s[2:3] offset:4
	s_endpgm
.LBB100_13:
	s_branch .LBB100_10
	.section	.rodata,"a",@progbits
	.p2align	6, 0x0
	.amdhsa_kernel _ZN9rocsolver6v33100L11set_taubetaI19rocblas_complex_numIfEifPS3_EEvPT_lS6_T2_llPT1_ll
		.amdhsa_group_segment_fixed_size 0
		.amdhsa_private_segment_fixed_size 0
		.amdhsa_kernarg_size 72
		.amdhsa_user_sgpr_count 6
		.amdhsa_user_sgpr_private_segment_buffer 1
		.amdhsa_user_sgpr_dispatch_ptr 0
		.amdhsa_user_sgpr_queue_ptr 0
		.amdhsa_user_sgpr_kernarg_segment_ptr 1
		.amdhsa_user_sgpr_dispatch_id 0
		.amdhsa_user_sgpr_flat_scratch_init 0
		.amdhsa_user_sgpr_kernarg_preload_length 0
		.amdhsa_user_sgpr_kernarg_preload_offset 0
		.amdhsa_user_sgpr_private_segment_size 0
		.amdhsa_uses_dynamic_stack 0
		.amdhsa_system_sgpr_private_segment_wavefront_offset 0
		.amdhsa_system_sgpr_workgroup_id_x 1
		.amdhsa_system_sgpr_workgroup_id_y 0
		.amdhsa_system_sgpr_workgroup_id_z 0
		.amdhsa_system_sgpr_workgroup_info 0
		.amdhsa_system_vgpr_workitem_id 0
		.amdhsa_next_free_vgpr 8
		.amdhsa_next_free_sgpr 26
		.amdhsa_accum_offset 8
		.amdhsa_reserve_vcc 1
		.amdhsa_reserve_flat_scratch 0
		.amdhsa_float_round_mode_32 0
		.amdhsa_float_round_mode_16_64 0
		.amdhsa_float_denorm_mode_32 3
		.amdhsa_float_denorm_mode_16_64 3
		.amdhsa_dx10_clamp 1
		.amdhsa_ieee_mode 1
		.amdhsa_fp16_overflow 0
		.amdhsa_tg_split 0
		.amdhsa_exception_fp_ieee_invalid_op 0
		.amdhsa_exception_fp_denorm_src 0
		.amdhsa_exception_fp_ieee_div_zero 0
		.amdhsa_exception_fp_ieee_overflow 0
		.amdhsa_exception_fp_ieee_underflow 0
		.amdhsa_exception_fp_ieee_inexact 0
		.amdhsa_exception_int_div_zero 0
	.end_amdhsa_kernel
	.section	.text._ZN9rocsolver6v33100L11set_taubetaI19rocblas_complex_numIfEifPS3_EEvPT_lS6_T2_llPT1_ll,"axG",@progbits,_ZN9rocsolver6v33100L11set_taubetaI19rocblas_complex_numIfEifPS3_EEvPT_lS6_T2_llPT1_ll,comdat
.Lfunc_end100:
	.size	_ZN9rocsolver6v33100L11set_taubetaI19rocblas_complex_numIfEifPS3_EEvPT_lS6_T2_llPT1_ll, .Lfunc_end100-_ZN9rocsolver6v33100L11set_taubetaI19rocblas_complex_numIfEifPS3_EEvPT_lS6_T2_llPT1_ll
                                        ; -- End function
	.section	.AMDGPU.csdata,"",@progbits
; Kernel info:
; codeLenInByte = 900
; NumSgprs: 30
; NumVgprs: 8
; NumAgprs: 0
; TotalNumVgprs: 8
; ScratchSize: 0
; MemoryBound: 0
; FloatMode: 240
; IeeeMode: 1
; LDSByteSize: 0 bytes/workgroup (compile time only)
; SGPRBlocks: 3
; VGPRBlocks: 0
; NumSGPRsForWavesPerEU: 30
; NumVGPRsForWavesPerEU: 8
; AccumOffset: 8
; Occupancy: 8
; WaveLimiterHint : 0
; COMPUTE_PGM_RSRC2:SCRATCH_EN: 0
; COMPUTE_PGM_RSRC2:USER_SGPR: 6
; COMPUTE_PGM_RSRC2:TRAP_HANDLER: 0
; COMPUTE_PGM_RSRC2:TGID_X_EN: 1
; COMPUTE_PGM_RSRC2:TGID_Y_EN: 0
; COMPUTE_PGM_RSRC2:TGID_Z_EN: 0
; COMPUTE_PGM_RSRC2:TIDIG_COMP_CNT: 0
; COMPUTE_PGM_RSRC3_GFX90A:ACCUM_OFFSET: 1
; COMPUTE_PGM_RSRC3_GFX90A:TG_SPLIT: 0
	.section	.text._ZN9rocsolver6v33100L13conj_in_placeI19rocblas_complex_numIfEiPS3_TnNSt9enable_ifIX18rocblas_is_complexIT_EEiE4typeELi0EEEvT0_S9_T1_lS9_l,"axG",@progbits,_ZN9rocsolver6v33100L13conj_in_placeI19rocblas_complex_numIfEiPS3_TnNSt9enable_ifIX18rocblas_is_complexIT_EEiE4typeELi0EEEvT0_S9_T1_lS9_l,comdat
	.globl	_ZN9rocsolver6v33100L13conj_in_placeI19rocblas_complex_numIfEiPS3_TnNSt9enable_ifIX18rocblas_is_complexIT_EEiE4typeELi0EEEvT0_S9_T1_lS9_l ; -- Begin function _ZN9rocsolver6v33100L13conj_in_placeI19rocblas_complex_numIfEiPS3_TnNSt9enable_ifIX18rocblas_is_complexIT_EEiE4typeELi0EEEvT0_S9_T1_lS9_l
	.p2align	8
	.type	_ZN9rocsolver6v33100L13conj_in_placeI19rocblas_complex_numIfEiPS3_TnNSt9enable_ifIX18rocblas_is_complexIT_EEiE4typeELi0EEEvT0_S9_T1_lS9_l,@function
_ZN9rocsolver6v33100L13conj_in_placeI19rocblas_complex_numIfEiPS3_TnNSt9enable_ifIX18rocblas_is_complexIT_EEiE4typeELi0EEEvT0_S9_T1_lS9_l: ; @_ZN9rocsolver6v33100L13conj_in_placeI19rocblas_complex_numIfEiPS3_TnNSt9enable_ifIX18rocblas_is_complexIT_EEiE4typeELi0EEEvT0_S9_T1_lS9_l
; %bb.0:
	s_load_dword s2, s[4:5], 0x34
	s_load_dwordx2 s[0:1], s[4:5], 0x0
	v_and_b32_e32 v1, 0x3ff, v0
	v_bfe_u32 v0, v0, 10, 10
	s_waitcnt lgkmcnt(0)
	s_lshr_b32 s3, s2, 16
	s_and_b32 s2, s2, 0xffff
	s_mul_i32 s6, s6, s2
	s_mul_i32 s7, s7, s3
	v_add_u32_e32 v2, s6, v1
	v_add_u32_e32 v0, s7, v0
	v_cmp_gt_i32_e32 vcc, s0, v2
	v_cmp_gt_i32_e64 s[0:1], s1, v0
	s_and_b64 s[0:1], vcc, s[0:1]
	s_and_saveexec_b64 s[2:3], s[0:1]
	s_cbranch_execz .LBB101_2
; %bb.1:
	s_load_dwordx2 s[6:7], s[4:5], 0x20
	s_load_dwordx4 s[0:3], s[4:5], 0x8
	s_load_dword s9, s[4:5], 0x18
	s_ashr_i32 s4, s8, 31
	v_ashrrev_i32_e32 v3, 31, v2
	s_waitcnt lgkmcnt(0)
	s_mul_i32 s5, s8, s7
	s_mul_hi_u32 s7, s8, s6
	s_add_i32 s5, s7, s5
	s_mul_i32 s4, s4, s6
	s_add_i32 s5, s5, s4
	s_mul_i32 s4, s8, s6
	s_lshl_b64 s[4:5], s[4:5], 3
	s_add_u32 s4, s0, s4
	s_addc_u32 s5, s1, s5
	s_lshl_b64 s[0:1], s[2:3], 3
	s_add_u32 s2, s4, s0
	s_addc_u32 s3, s5, s1
	v_mad_i64_i32 v[0:1], s[0:1], v0, s9, 0
	v_lshlrev_b64 v[4:5], 3, v[0:1]
	v_mov_b32_e32 v1, s3
	v_add_co_u32_e32 v6, vcc, s2, v4
	v_addc_co_u32_e32 v1, vcc, v1, v5, vcc
	v_lshlrev_b64 v[4:5], 3, v[2:3]
	v_add_co_u32_e32 v4, vcc, v6, v4
	v_addc_co_u32_e32 v5, vcc, v1, v5, vcc
	global_load_dwordx2 v[4:5], v[4:5], off
	v_add_u32_e32 v0, v0, v2
	v_ashrrev_i32_e32 v1, 31, v0
	v_lshlrev_b64 v[0:1], 3, v[0:1]
	v_mov_b32_e32 v2, s3
	v_add_co_u32_e32 v0, vcc, s2, v0
	v_addc_co_u32_e32 v1, vcc, v2, v1, vcc
	s_waitcnt vmcnt(0)
	v_xor_b32_e32 v5, 0x80000000, v5
	global_store_dwordx2 v[0:1], v[4:5], off
.LBB101_2:
	s_endpgm
	.section	.rodata,"a",@progbits
	.p2align	6, 0x0
	.amdhsa_kernel _ZN9rocsolver6v33100L13conj_in_placeI19rocblas_complex_numIfEiPS3_TnNSt9enable_ifIX18rocblas_is_complexIT_EEiE4typeELi0EEEvT0_S9_T1_lS9_l
		.amdhsa_group_segment_fixed_size 0
		.amdhsa_private_segment_fixed_size 0
		.amdhsa_kernarg_size 296
		.amdhsa_user_sgpr_count 6
		.amdhsa_user_sgpr_private_segment_buffer 1
		.amdhsa_user_sgpr_dispatch_ptr 0
		.amdhsa_user_sgpr_queue_ptr 0
		.amdhsa_user_sgpr_kernarg_segment_ptr 1
		.amdhsa_user_sgpr_dispatch_id 0
		.amdhsa_user_sgpr_flat_scratch_init 0
		.amdhsa_user_sgpr_kernarg_preload_length 0
		.amdhsa_user_sgpr_kernarg_preload_offset 0
		.amdhsa_user_sgpr_private_segment_size 0
		.amdhsa_uses_dynamic_stack 0
		.amdhsa_system_sgpr_private_segment_wavefront_offset 0
		.amdhsa_system_sgpr_workgroup_id_x 1
		.amdhsa_system_sgpr_workgroup_id_y 1
		.amdhsa_system_sgpr_workgroup_id_z 1
		.amdhsa_system_sgpr_workgroup_info 0
		.amdhsa_system_vgpr_workitem_id 1
		.amdhsa_next_free_vgpr 7
		.amdhsa_next_free_sgpr 10
		.amdhsa_accum_offset 8
		.amdhsa_reserve_vcc 1
		.amdhsa_reserve_flat_scratch 0
		.amdhsa_float_round_mode_32 0
		.amdhsa_float_round_mode_16_64 0
		.amdhsa_float_denorm_mode_32 3
		.amdhsa_float_denorm_mode_16_64 3
		.amdhsa_dx10_clamp 1
		.amdhsa_ieee_mode 1
		.amdhsa_fp16_overflow 0
		.amdhsa_tg_split 0
		.amdhsa_exception_fp_ieee_invalid_op 0
		.amdhsa_exception_fp_denorm_src 0
		.amdhsa_exception_fp_ieee_div_zero 0
		.amdhsa_exception_fp_ieee_overflow 0
		.amdhsa_exception_fp_ieee_underflow 0
		.amdhsa_exception_fp_ieee_inexact 0
		.amdhsa_exception_int_div_zero 0
	.end_amdhsa_kernel
	.section	.text._ZN9rocsolver6v33100L13conj_in_placeI19rocblas_complex_numIfEiPS3_TnNSt9enable_ifIX18rocblas_is_complexIT_EEiE4typeELi0EEEvT0_S9_T1_lS9_l,"axG",@progbits,_ZN9rocsolver6v33100L13conj_in_placeI19rocblas_complex_numIfEiPS3_TnNSt9enable_ifIX18rocblas_is_complexIT_EEiE4typeELi0EEEvT0_S9_T1_lS9_l,comdat
.Lfunc_end101:
	.size	_ZN9rocsolver6v33100L13conj_in_placeI19rocblas_complex_numIfEiPS3_TnNSt9enable_ifIX18rocblas_is_complexIT_EEiE4typeELi0EEEvT0_S9_T1_lS9_l, .Lfunc_end101-_ZN9rocsolver6v33100L13conj_in_placeI19rocblas_complex_numIfEiPS3_TnNSt9enable_ifIX18rocblas_is_complexIT_EEiE4typeELi0EEEvT0_S9_T1_lS9_l
                                        ; -- End function
	.section	.AMDGPU.csdata,"",@progbits
; Kernel info:
; codeLenInByte = 276
; NumSgprs: 14
; NumVgprs: 7
; NumAgprs: 0
; TotalNumVgprs: 7
; ScratchSize: 0
; MemoryBound: 0
; FloatMode: 240
; IeeeMode: 1
; LDSByteSize: 0 bytes/workgroup (compile time only)
; SGPRBlocks: 1
; VGPRBlocks: 0
; NumSGPRsForWavesPerEU: 14
; NumVGPRsForWavesPerEU: 7
; AccumOffset: 8
; Occupancy: 8
; WaveLimiterHint : 0
; COMPUTE_PGM_RSRC2:SCRATCH_EN: 0
; COMPUTE_PGM_RSRC2:USER_SGPR: 6
; COMPUTE_PGM_RSRC2:TRAP_HANDLER: 0
; COMPUTE_PGM_RSRC2:TGID_X_EN: 1
; COMPUTE_PGM_RSRC2:TGID_Y_EN: 1
; COMPUTE_PGM_RSRC2:TGID_Z_EN: 1
; COMPUTE_PGM_RSRC2:TIDIG_COMP_CNT: 1
; COMPUTE_PGM_RSRC3_GFX90A:ACCUM_OFFSET: 1
; COMPUTE_PGM_RSRC3_GFX90A:TG_SPLIT: 0
	.section	.text._ZN9rocsolver6v33100L16larf_left_kernelILi1024E19rocblas_complex_numIfEiPS3_EEvT1_S5_T2_lS5_lPKT0_lS6_lS5_l,"axG",@progbits,_ZN9rocsolver6v33100L16larf_left_kernelILi1024E19rocblas_complex_numIfEiPS3_EEvT1_S5_T2_lS5_lPKT0_lS6_lS5_l,comdat
	.globl	_ZN9rocsolver6v33100L16larf_left_kernelILi1024E19rocblas_complex_numIfEiPS3_EEvT1_S5_T2_lS5_lPKT0_lS6_lS5_l ; -- Begin function _ZN9rocsolver6v33100L16larf_left_kernelILi1024E19rocblas_complex_numIfEiPS3_EEvT1_S5_T2_lS5_lPKT0_lS6_lS5_l
	.p2align	8
	.type	_ZN9rocsolver6v33100L16larf_left_kernelILi1024E19rocblas_complex_numIfEiPS3_EEvT1_S5_T2_lS5_lPKT0_lS6_lS5_l,@function
_ZN9rocsolver6v33100L16larf_left_kernelILi1024E19rocblas_complex_numIfEiPS3_EEvT1_S5_T2_lS5_lPKT0_lS6_lS5_l: ; @_ZN9rocsolver6v33100L16larf_left_kernelILi1024E19rocblas_complex_numIfEiPS3_EEvT1_S5_T2_lS5_lPKT0_lS6_lS5_l
; %bb.0:
	s_load_dwordx2 s[0:1], s[4:5], 0x50
	s_load_dwordx2 s[2:3], s[4:5], 0x40
	s_load_dword s6, s[4:5], 0x48
	s_load_dword s9, s[4:5], 0x0
	s_load_dwordx8 s[12:19], s[4:5], 0x20
	s_ashr_i32 s22, s8, 31
	s_waitcnt lgkmcnt(0)
	s_mul_i32 s1, s8, s1
	s_mul_hi_u32 s10, s8, s0
	s_add_i32 s1, s10, s1
	s_mul_i32 s10, s22, s0
	v_mov_b32_e32 v5, 0
	s_add_i32 s11, s1, s10
	s_mul_i32 s10, s8, s0
	s_mul_hi_i32 s21, s6, s7
	s_mul_i32 s20, s6, s7
	v_cmp_gt_i32_e64 s[0:1], s9, v0
	v_mov_b32_e32 v4, v5
	s_and_saveexec_b64 s[6:7], s[0:1]
	s_cbranch_execz .LBB102_6
; %bb.1:
	s_load_dword s28, s[4:5], 0x18
	s_load_dwordx4 s[24:27], s[4:5], 0x8
	s_sub_i32 s4, 1, s9
	s_mul_hi_u32 s30, s12, s8
	s_mul_i32 s13, s13, s8
	s_waitcnt lgkmcnt(0)
	s_ashr_i32 s29, s28, 31
	s_mul_i32 s23, s4, s28
	v_cmp_lt_i64_e64 s[4:5], s[28:29], 1
	s_and_b64 s[4:5], s[4:5], exec
	s_cselect_b32 s4, s23, 0
	s_mul_i32 s23, s12, s22
	s_add_i32 s23, s30, s23
	s_ashr_i32 s5, s4, 31
	s_add_i32 s13, s23, s13
	s_mul_i32 s12, s12, s8
	s_lshl_b64 s[12:13], s[12:13], 3
	s_lshl_b64 s[26:27], s[26:27], 3
	;; [unrolled: 1-line block ×3, first 2 shown]
	s_add_u32 s4, s24, s4
	s_addc_u32 s5, s25, s5
	s_add_u32 s4, s4, s26
	s_addc_u32 s5, s5, s27
	v_mad_i64_i32 v[2:3], s[30:31], s28, v0, 0
	s_add_u32 s4, s4, s12
	v_lshl_add_u32 v1, v0, 3, 0
	v_lshlrev_b64 v[2:3], 3, v[2:3]
	s_addc_u32 s5, s5, s13
	v_add_u32_e32 v1, 0x80, v1
	v_mov_b32_e32 v4, s5
	v_add_co_u32_e32 v2, vcc, s4, v2
	s_lshl_b64 s[12:13], s[28:29], 13
	v_addc_co_u32_e32 v3, vcc, v4, v3, vcc
	s_mov_b64 s[4:5], 0
	v_mov_b32_e32 v4, s13
	v_mov_b32_e32 v5, v1
	;; [unrolled: 1-line block ×3, first 2 shown]
.LBB102_2:                              ; =>This Inner Loop Header: Depth=1
	global_load_dwordx2 v[8:9], v[2:3], off
	v_add_co_u32_e32 v2, vcc, s12, v2
	v_add_u32_e32 v6, 0x400, v6
	v_addc_co_u32_e32 v3, vcc, v3, v4, vcc
	v_cmp_le_i32_e32 vcc, s9, v6
	s_or_b64 s[4:5], vcc, s[4:5]
	s_waitcnt vmcnt(0)
	ds_write_b64 v5, v[8:9]
	v_add_u32_e32 v5, 0x2000, v5
	s_andn2_b64 exec, exec, s[4:5]
	s_cbranch_execnz .LBB102_2
; %bb.3:
	s_or_b64 exec, exec, s[4:5]
	s_lshl_b64 s[4:5], s[10:11], 3
	s_lshl_b64 s[12:13], s[20:21], 3
	s_add_u32 s12, s4, s12
	s_addc_u32 s13, s5, s13
	s_lshl_b64 s[4:5], s[2:3], 3
	s_add_u32 s4, s12, s4
	s_addc_u32 s5, s13, s5
	s_add_u32 s4, s18, s4
	v_lshlrev_b32_e32 v2, 3, v0
	s_addc_u32 s5, s19, s5
	v_mov_b32_e32 v3, s5
	v_add_co_u32_e32 v4, vcc, s4, v2
	v_mov_b32_e32 v2, 0
	v_addc_co_u32_e32 v5, vcc, 0, v3, vcc
	s_mov_b64 s[4:5], 0
	v_mov_b32_e32 v6, v0
	v_mov_b32_e32 v3, v2
.LBB102_4:                              ; =>This Inner Loop Header: Depth=1
	global_load_dwordx2 v[8:9], v[4:5], off
	ds_read_b64 v[10:11], v1
	v_add_co_u32_e32 v4, vcc, 0x2000, v4
	v_add_u32_e32 v6, 0x400, v6
	v_addc_co_u32_e32 v5, vcc, 0, v5, vcc
	v_cmp_le_i32_e32 vcc, s9, v6
	v_add_u32_e32 v1, 0x2000, v1
	s_or_b64 s[4:5], vcc, s[4:5]
	s_waitcnt vmcnt(0)
	v_mov_b32_e32 v12, v9
	s_waitcnt lgkmcnt(0)
	v_pk_mul_f32 v[14:15], v[8:9], v[10:11] op_sel:[0,1] op_sel_hi:[1,0]
	v_pk_mul_f32 v[12:13], v[12:13], v[10:11] op_sel:[0,1] op_sel_hi:[1,0]
	v_mov_b32_e32 v14, v15
	v_pk_fma_f32 v[12:13], v[8:9], v[10:11], v[12:13]
	v_pk_fma_f32 v[8:9], v[8:9], v[10:11], v[14:15] op_sel:[0,1,0] op_sel_hi:[1,0,1] neg_lo:[0,0,1] neg_hi:[0,0,1]
	v_mov_b32_e32 v9, v12
	v_pk_add_f32 v[2:3], v[2:3], v[8:9]
	s_andn2_b64 exec, exec, s[4:5]
	s_cbranch_execnz .LBB102_4
; %bb.5:
	s_or_b64 exec, exec, s[4:5]
	v_mov_b32_e32 v5, v2
	v_mov_b32_e32 v4, v3
.LBB102_6:
	s_or_b64 exec, exec, s[6:7]
	v_mbcnt_lo_u32_b32 v1, -1, 0
	v_mbcnt_hi_u32_b32 v1, -1, v1
	v_and_b32_e32 v6, 63, v1
	v_cmp_ne_u32_e32 vcc, 63, v6
	v_addc_co_u32_e32 v2, vcc, 0, v1, vcc
	v_lshlrev_b32_e32 v3, 2, v2
	ds_bpermute_b32 v2, v3, v4
	ds_bpermute_b32 v3, v3, v5
	v_cmp_gt_u32_e32 vcc, 62, v6
	v_cndmask_b32_e64 v7, 0, 1, vcc
	v_lshlrev_b32_e32 v7, 1, v7
	v_add_lshl_u32 v7, v7, v1, 2
	s_waitcnt lgkmcnt(0)
	v_pk_add_f32 v[2:3], v[4:5], v[2:3]
	ds_bpermute_b32 v4, v7, v2
	ds_bpermute_b32 v5, v7, v3
	v_cmp_gt_u32_e32 vcc, 60, v6
	v_cndmask_b32_e64 v7, 0, 1, vcc
	v_lshlrev_b32_e32 v7, 2, v7
	v_add_lshl_u32 v7, v7, v1, 2
	s_waitcnt lgkmcnt(0)
	v_pk_add_f32 v[2:3], v[2:3], v[4:5]
	;; [unrolled: 8-line block ×5, first 2 shown]
	ds_bpermute_b32 v4, v1, v2
	ds_bpermute_b32 v5, v1, v3
	v_and_b32_e32 v1, 63, v0
	v_cmp_eq_u32_e32 vcc, 0, v1
	s_waitcnt lgkmcnt(0)
	v_pk_add_f32 v[2:3], v[2:3], v[4:5]
	s_and_saveexec_b64 s[4:5], vcc
	s_cbranch_execz .LBB102_8
; %bb.7:
	v_lshrrev_b32_e32 v1, 3, v0
	v_add_u32_e32 v1, 0, v1
	ds_write2_b32 v1, v2, v3 offset1:1
.LBB102_8:
	s_or_b64 exec, exec, s[4:5]
	v_cmp_eq_u32_e32 vcc, 0, v0
	s_waitcnt lgkmcnt(0)
	s_barrier
	s_and_saveexec_b64 s[4:5], vcc
	s_cbranch_execz .LBB102_10
; %bb.9:
	v_mov_b32_e32 v1, 0
	ds_read2_b64 v[4:7], v1 offset0:1 offset1:2
	ds_read2_b64 v[8:11], v1 offset0:3 offset1:4
	;; [unrolled: 1-line block ×4, first 2 shown]
	s_waitcnt lgkmcnt(3)
	v_pk_add_f32 v[2:3], v[2:3], v[4:5]
	v_pk_add_f32 v[2:3], v[2:3], v[6:7]
	s_waitcnt lgkmcnt(2)
	v_pk_add_f32 v[2:3], v[2:3], v[8:9]
	v_pk_add_f32 v[2:3], v[2:3], v[10:11]
	s_waitcnt lgkmcnt(1)
	v_pk_add_f32 v[6:7], v[2:3], v[12:13]
	ds_read2_b64 v[2:5], v1 offset0:9 offset1:10
	v_pk_add_f32 v[6:7], v[6:7], v[14:15]
	s_waitcnt lgkmcnt(1)
	v_pk_add_f32 v[6:7], v[6:7], v[16:17]
	v_pk_add_f32 v[10:11], v[6:7], v[18:19]
	ds_read2_b64 v[6:9], v1 offset0:11 offset1:12
	s_waitcnt lgkmcnt(1)
	v_pk_add_f32 v[2:3], v[10:11], v[2:3]
	ds_read2_b64 v[10:13], v1 offset0:13 offset1:14
	v_pk_add_f32 v[2:3], v[2:3], v[4:5]
	ds_read_b64 v[4:5], v1 offset:120
	s_waitcnt lgkmcnt(2)
	v_pk_add_f32 v[2:3], v[2:3], v[6:7]
	v_pk_add_f32 v[2:3], v[2:3], v[8:9]
	s_waitcnt lgkmcnt(1)
	v_pk_add_f32 v[2:3], v[2:3], v[10:11]
	v_pk_add_f32 v[2:3], v[2:3], v[12:13]
	s_waitcnt lgkmcnt(0)
	v_pk_add_f32 v[2:3], v[2:3], v[4:5]
	ds_write_b64 v1, v[2:3]
.LBB102_10:
	s_or_b64 exec, exec, s[4:5]
	s_waitcnt lgkmcnt(0)
	s_barrier
	s_and_saveexec_b64 s[4:5], s[0:1]
	s_cbranch_execz .LBB102_20
; %bb.11:
	s_mul_i32 s0, s8, s17
	s_mul_hi_u32 s1, s8, s16
	s_add_i32 s0, s1, s0
	s_mul_i32 s1, s22, s16
	s_add_i32 s1, s0, s1
	s_mul_i32 s0, s8, s16
	s_lshl_b64 s[0:1], s[0:1], 3
	s_add_u32 s0, s14, s0
	s_addc_u32 s1, s15, s1
	v_mov_b32_e32 v7, 0
	s_load_dwordx2 s[0:1], s[0:1], 0x0
	ds_read_b64 v[4:5], v7
	s_mov_b64 s[4:5], 0
	s_waitcnt lgkmcnt(0)
	v_mul_f32_e32 v1, s1, v5
	v_fma_f32 v2, v4, -s0, -v1
	v_mul_f32_e32 v1, s1, v4
	v_fma_f32 v4, s0, v5, -v1
	v_xad_u32 v1, v0, -1, s9
	s_movk_i32 s0, 0x3ff
	v_cmp_lt_u32_e32 vcc, s0, v1
	s_and_saveexec_b64 s[0:1], vcc
	s_xor_b64 s[0:1], exec, s[0:1]
	s_cbranch_execnz .LBB102_14
; %bb.12:
	s_andn2_saveexec_b64 s[0:1], s[0:1]
	s_cbranch_execnz .LBB102_17
.LBB102_13:
	s_or_b64 exec, exec, s[0:1]
	s_and_b64 exec, exec, s[4:5]
	s_cbranch_execnz .LBB102_18
	s_branch .LBB102_20
.LBB102_14:
	s_lshl_b64 s[4:5], s[10:11], 3
	s_add_u32 s6, s18, s4
	s_addc_u32 s7, s19, s5
	s_lshl_b64 s[4:5], s[2:3], 3
	s_add_u32 s6, s6, s4
	v_lshrrev_b32_e32 v1, 10, v1
	s_addc_u32 s7, s7, s5
	s_lshl_b64 s[4:5], s[20:21], 3
	v_add_u32_e32 v10, 1, v1
	s_add_u32 s6, s6, s4
	s_addc_u32 s7, s7, s5
	v_and_b32_e32 v11, 0x7ffffe, v10
	v_or_b32_e32 v1, 0x400, v0
	v_lshl_add_u32 v6, v0, 3, 0
	v_mov_b32_e32 v3, v2
	v_mov_b32_e32 v5, v4
	v_add_u32_e32 v12, 0x80, v6
	s_mov_b64 s[4:5], 0
	v_mov_b32_e32 v13, s7
	v_mov_b32_e32 v14, v11
	v_pk_mov_b32 v[8:9], v[0:1], v[0:1] op_sel:[0,1]
.LBB102_15:                             ; =>This Inner Loop Header: Depth=1
	v_mov_b32_e32 v6, v8
	v_lshlrev_b64 v[16:17], 3, v[6:7]
	v_mov_b32_e32 v6, v9
	v_add_co_u32_e32 v20, vcc, s6, v16
	v_addc_co_u32_e32 v21, vcc, v13, v17, vcc
	v_lshlrev_b64 v[16:17], 3, v[6:7]
	v_add_co_u32_e32 v22, vcc, s6, v16
	v_addc_co_u32_e32 v23, vcc, v13, v17, vcc
	global_load_dwordx2 v[24:25], v[20:21], off
	global_load_dwordx2 v[26:27], v[22:23], off
	ds_read2st64_b64 v[16:19], v12 offset1:16
	v_add_u32_e32 v14, -2, v14
	v_cmp_eq_u32_e32 vcc, 0, v14
	v_add_u32_e32 v8, 0x800, v8
	v_add_u32_e32 v12, 0x4000, v12
	s_waitcnt lgkmcnt(0)
	v_mov_b32_e32 v29, v18
	v_mov_b32_e32 v18, v17
	;; [unrolled: 1-line block ×3, first 2 shown]
	v_pk_mul_f32 v[16:17], v[4:5], v[18:19]
	v_pk_mul_f32 v[18:19], v[2:3], v[18:19]
	v_pk_fma_f32 v[16:17], v[2:3], v[28:29], v[16:17] neg_lo:[0,0,1] neg_hi:[0,0,1]
	v_pk_fma_f32 v[18:19], v[4:5], v[28:29], v[18:19]
	v_add_u32_e32 v9, 0x800, v9
	s_or_b64 s[4:5], vcc, s[4:5]
	s_waitcnt vmcnt(1)
	v_mov_b32_e32 v28, v24
	s_waitcnt vmcnt(0)
	v_mov_b32_e32 v29, v26
	v_mov_b32_e32 v26, v25
	v_pk_add_f32 v[16:17], v[28:29], v[16:17]
	v_pk_add_f32 v[18:19], v[26:27], v[18:19]
	v_mov_b32_e32 v24, v16
	v_mov_b32_e32 v25, v18
	;; [unrolled: 1-line block ×3, first 2 shown]
	global_store_dwordx2 v[20:21], v[24:25], off
	global_store_dwordx2 v[22:23], v[18:19], off
	s_andn2_b64 exec, exec, s[4:5]
	s_cbranch_execnz .LBB102_15
; %bb.16:
	s_or_b64 exec, exec, s[4:5]
	v_cmp_ne_u32_e32 vcc, v10, v11
	v_lshl_or_b32 v0, v11, 10, v0
	s_and_b64 s[4:5], vcc, exec
	s_andn2_saveexec_b64 s[0:1], s[0:1]
	s_cbranch_execz .LBB102_13
.LBB102_17:
	s_or_b64 s[4:5], s[4:5], exec
	s_or_b64 exec, exec, s[0:1]
	s_and_b64 exec, exec, s[4:5]
	s_cbranch_execz .LBB102_20
.LBB102_18:
	s_lshl_b64 s[0:1], s[10:11], 3
	s_lshl_b64 s[4:5], s[20:21], 3
	s_add_u32 s4, s0, s4
	s_addc_u32 s5, s1, s5
	s_lshl_b64 s[0:1], s[2:3], 3
	s_add_u32 s0, s4, s0
	v_lshl_add_u32 v1, v0, 3, 0
	s_addc_u32 s1, s5, s1
	v_add_u32_e32 v8, 0x80, v1
	v_mov_b32_e32 v1, 0
	s_add_u32 s0, s18, s0
	v_lshlrev_b64 v[6:7], 3, v[0:1]
	s_addc_u32 s1, s19, s1
	v_mov_b32_e32 v1, s1
	v_add_co_u32_e32 v6, vcc, s0, v6
	v_mov_b32_e32 v5, v4
	v_mov_b32_e32 v3, v2
	v_addc_co_u32_e32 v7, vcc, v1, v7, vcc
	s_mov_b64 s[0:1], 0
.LBB102_19:                             ; =>This Inner Loop Header: Depth=1
	global_load_dwordx2 v[10:11], v[6:7], off
	ds_read_b64 v[12:13], v8
	v_add_u32_e32 v0, 0x400, v0
	v_cmp_le_i32_e32 vcc, s9, v0
	s_or_b64 s[0:1], vcc, s[0:1]
	v_add_u32_e32 v8, 0x2000, v8
	s_waitcnt lgkmcnt(0)
	v_pk_mul_f32 v[14:15], v[4:5], v[12:13]
	v_pk_fma_f32 v[16:17], v[2:3], v[12:13], v[14:15] op_sel:[0,0,1] op_sel_hi:[1,1,0] neg_lo:[0,0,1] neg_hi:[0,0,1]
	v_pk_fma_f32 v[12:13], v[2:3], v[12:13], v[14:15] op_sel:[0,0,1] op_sel_hi:[1,1,0]
	v_mov_b32_e32 v17, v13
	s_waitcnt vmcnt(0)
	v_pk_add_f32 v[10:11], v[10:11], v[16:17]
	global_store_dwordx2 v[6:7], v[10:11], off
	v_add_co_u32_e32 v6, vcc, 0x2000, v6
	v_addc_co_u32_e32 v7, vcc, 0, v7, vcc
	s_andn2_b64 exec, exec, s[0:1]
	s_cbranch_execnz .LBB102_19
.LBB102_20:
	s_endpgm
	.section	.rodata,"a",@progbits
	.p2align	6, 0x0
	.amdhsa_kernel _ZN9rocsolver6v33100L16larf_left_kernelILi1024E19rocblas_complex_numIfEiPS3_EEvT1_S5_T2_lS5_lPKT0_lS6_lS5_l
		.amdhsa_group_segment_fixed_size 0
		.amdhsa_private_segment_fixed_size 0
		.amdhsa_kernarg_size 88
		.amdhsa_user_sgpr_count 6
		.amdhsa_user_sgpr_private_segment_buffer 1
		.amdhsa_user_sgpr_dispatch_ptr 0
		.amdhsa_user_sgpr_queue_ptr 0
		.amdhsa_user_sgpr_kernarg_segment_ptr 1
		.amdhsa_user_sgpr_dispatch_id 0
		.amdhsa_user_sgpr_flat_scratch_init 0
		.amdhsa_user_sgpr_kernarg_preload_length 0
		.amdhsa_user_sgpr_kernarg_preload_offset 0
		.amdhsa_user_sgpr_private_segment_size 0
		.amdhsa_uses_dynamic_stack 0
		.amdhsa_system_sgpr_private_segment_wavefront_offset 0
		.amdhsa_system_sgpr_workgroup_id_x 1
		.amdhsa_system_sgpr_workgroup_id_y 1
		.amdhsa_system_sgpr_workgroup_id_z 1
		.amdhsa_system_sgpr_workgroup_info 0
		.amdhsa_system_vgpr_workitem_id 0
		.amdhsa_next_free_vgpr 30
		.amdhsa_next_free_sgpr 32
		.amdhsa_accum_offset 32
		.amdhsa_reserve_vcc 1
		.amdhsa_reserve_flat_scratch 0
		.amdhsa_float_round_mode_32 0
		.amdhsa_float_round_mode_16_64 0
		.amdhsa_float_denorm_mode_32 3
		.amdhsa_float_denorm_mode_16_64 3
		.amdhsa_dx10_clamp 1
		.amdhsa_ieee_mode 1
		.amdhsa_fp16_overflow 0
		.amdhsa_tg_split 0
		.amdhsa_exception_fp_ieee_invalid_op 0
		.amdhsa_exception_fp_denorm_src 0
		.amdhsa_exception_fp_ieee_div_zero 0
		.amdhsa_exception_fp_ieee_overflow 0
		.amdhsa_exception_fp_ieee_underflow 0
		.amdhsa_exception_fp_ieee_inexact 0
		.amdhsa_exception_int_div_zero 0
	.end_amdhsa_kernel
	.section	.text._ZN9rocsolver6v33100L16larf_left_kernelILi1024E19rocblas_complex_numIfEiPS3_EEvT1_S5_T2_lS5_lPKT0_lS6_lS5_l,"axG",@progbits,_ZN9rocsolver6v33100L16larf_left_kernelILi1024E19rocblas_complex_numIfEiPS3_EEvT1_S5_T2_lS5_lPKT0_lS6_lS5_l,comdat
.Lfunc_end102:
	.size	_ZN9rocsolver6v33100L16larf_left_kernelILi1024E19rocblas_complex_numIfEiPS3_EEvT1_S5_T2_lS5_lPKT0_lS6_lS5_l, .Lfunc_end102-_ZN9rocsolver6v33100L16larf_left_kernelILi1024E19rocblas_complex_numIfEiPS3_EEvT1_S5_T2_lS5_lPKT0_lS6_lS5_l
                                        ; -- End function
	.section	.AMDGPU.csdata,"",@progbits
; Kernel info:
; codeLenInByte = 1884
; NumSgprs: 36
; NumVgprs: 30
; NumAgprs: 0
; TotalNumVgprs: 30
; ScratchSize: 0
; MemoryBound: 0
; FloatMode: 240
; IeeeMode: 1
; LDSByteSize: 0 bytes/workgroup (compile time only)
; SGPRBlocks: 4
; VGPRBlocks: 3
; NumSGPRsForWavesPerEU: 36
; NumVGPRsForWavesPerEU: 30
; AccumOffset: 32
; Occupancy: 8
; WaveLimiterHint : 0
; COMPUTE_PGM_RSRC2:SCRATCH_EN: 0
; COMPUTE_PGM_RSRC2:USER_SGPR: 6
; COMPUTE_PGM_RSRC2:TRAP_HANDLER: 0
; COMPUTE_PGM_RSRC2:TGID_X_EN: 1
; COMPUTE_PGM_RSRC2:TGID_Y_EN: 1
; COMPUTE_PGM_RSRC2:TGID_Z_EN: 1
; COMPUTE_PGM_RSRC2:TIDIG_COMP_CNT: 0
; COMPUTE_PGM_RSRC3_GFX90A:ACCUM_OFFSET: 7
; COMPUTE_PGM_RSRC3_GFX90A:TG_SPLIT: 0
	.section	.text._ZN9rocsolver6v33100L17larf_right_kernelILi1024E19rocblas_complex_numIfEiPS3_EEvT1_S5_T2_lS5_lPKT0_lS6_lS5_l,"axG",@progbits,_ZN9rocsolver6v33100L17larf_right_kernelILi1024E19rocblas_complex_numIfEiPS3_EEvT1_S5_T2_lS5_lPKT0_lS6_lS5_l,comdat
	.globl	_ZN9rocsolver6v33100L17larf_right_kernelILi1024E19rocblas_complex_numIfEiPS3_EEvT1_S5_T2_lS5_lPKT0_lS6_lS5_l ; -- Begin function _ZN9rocsolver6v33100L17larf_right_kernelILi1024E19rocblas_complex_numIfEiPS3_EEvT1_S5_T2_lS5_lPKT0_lS6_lS5_l
	.p2align	8
	.type	_ZN9rocsolver6v33100L17larf_right_kernelILi1024E19rocblas_complex_numIfEiPS3_EEvT1_S5_T2_lS5_lPKT0_lS6_lS5_l,@function
_ZN9rocsolver6v33100L17larf_right_kernelILi1024E19rocblas_complex_numIfEiPS3_EEvT1_S5_T2_lS5_lPKT0_lS6_lS5_l: ; @_ZN9rocsolver6v33100L17larf_right_kernelILi1024E19rocblas_complex_numIfEiPS3_EEvT1_S5_T2_lS5_lPKT0_lS6_lS5_l
; %bb.0:
	s_load_dword s9, s[4:5], 0x4
	s_load_dwordx8 s[12:19], s[4:5], 0x20
	s_load_dwordx2 s[10:11], s[4:5], 0x40
	s_load_dword s2, s[4:5], 0x48
	s_load_dwordx2 s[0:1], s[4:5], 0x50
	s_ashr_i32 s27, s8, 31
	v_mov_b32_e32 v3, 0
	s_mov_b32 s6, s7
	s_ashr_i32 s7, s7, 31
	s_waitcnt lgkmcnt(0)
	v_cmp_gt_i32_e32 vcc, s9, v0
	v_lshl_add_u32 v1, v0, 3, 0
	s_mul_i32 s24, s0, s27
	s_mul_hi_u32 s25, s0, s8
	s_mul_i32 s26, s1, s8
	s_mul_i32 s20, s0, s8
	v_mov_b32_e32 v2, v3
	s_and_saveexec_b64 s[22:23], vcc
	s_cbranch_execz .LBB103_6
; %bb.1:
	s_load_dword s34, s[4:5], 0x18
	s_load_dwordx4 s[28:31], s[4:5], 0x8
	s_sub_i32 s0, 1, s9
	s_mul_hi_u32 s4, s12, s8
	v_add_u32_e32 v6, 0x80, v1
	s_waitcnt lgkmcnt(0)
	s_ashr_i32 s35, s34, 31
	s_mul_i32 s3, s0, s34
	v_cmp_lt_i64_e64 s[0:1], s[34:35], 1
	s_and_b64 s[0:1], s[0:1], exec
	s_cselect_b32 s0, s3, 0
	s_mul_i32 s3, s12, s27
	s_add_i32 s3, s4, s3
	s_mul_i32 s4, s13, s8
	s_ashr_i32 s1, s0, 31
	s_add_i32 s5, s3, s4
	s_mul_i32 s4, s12, s8
	v_mad_i64_i32 v[2:3], s[12:13], s34, v0, 0
	s_lshl_b64 s[4:5], s[4:5], 3
	s_lshl_b64 s[12:13], s[30:31], 3
	;; [unrolled: 1-line block ×3, first 2 shown]
	s_add_u32 s0, s28, s0
	s_addc_u32 s1, s29, s1
	s_add_u32 s0, s0, s12
	s_addc_u32 s1, s1, s13
	s_add_u32 s0, s0, s4
	v_lshlrev_b64 v[2:3], 3, v[2:3]
	s_addc_u32 s1, s1, s5
	v_mov_b32_e32 v4, s1
	v_add_co_u32_e64 v2, s[0:1], s0, v2
	s_lshl_b64 s[12:13], s[34:35], 13
	v_addc_co_u32_e64 v3, s[0:1], v4, v3, s[0:1]
	s_mov_b64 s[4:5], 0
	v_mov_b32_e32 v4, s13
	v_mov_b32_e32 v5, v6
	;; [unrolled: 1-line block ×3, first 2 shown]
.LBB103_2:                              ; =>This Inner Loop Header: Depth=1
	global_load_dwordx2 v[8:9], v[2:3], off
	v_add_co_u32_e64 v2, s[0:1], s12, v2
	v_add_u32_e32 v7, 0x400, v7
	v_addc_co_u32_e64 v3, s[0:1], v3, v4, s[0:1]
	v_cmp_le_i32_e64 s[0:1], s9, v7
	s_or_b64 s[4:5], s[0:1], s[4:5]
	s_waitcnt vmcnt(0)
	ds_write_b64 v5, v[8:9]
	v_add_u32_e32 v5, 0x2000, v5
	s_andn2_b64 exec, exec, s[4:5]
	s_cbranch_execnz .LBB103_2
; %bb.3:
	s_or_b64 exec, exec, s[4:5]
	s_add_i32 s0, s25, s24
	s_add_i32 s21, s0, s26
	v_mad_i64_i32 v[2:3], s[4:5], s2, v0, 0
	s_ashr_i32 s3, s2, 31
	s_lshl_b64 s[0:1], s[20:21], 3
	s_lshl_b64 s[4:5], s[10:11], 3
	;; [unrolled: 1-line block ×3, first 2 shown]
	s_add_u32 s12, s18, s12
	s_addc_u32 s13, s19, s13
	s_add_u32 s4, s12, s4
	s_addc_u32 s5, s13, s5
	s_add_u32 s0, s4, s0
	v_lshlrev_b64 v[2:3], 3, v[2:3]
	s_addc_u32 s1, s5, s1
	v_mov_b32_e32 v5, s1
	v_add_co_u32_e64 v4, s[0:1], s0, v2
	v_addc_co_u32_e64 v5, s[0:1], v5, v3, s[0:1]
	s_lshl_b64 s[12:13], s[2:3], 13
	v_mov_b32_e32 v3, 0
	s_mov_b64 s[4:5], 0
	v_mov_b32_e32 v7, s13
	v_mov_b32_e32 v8, v0
	;; [unrolled: 1-line block ×3, first 2 shown]
.LBB103_4:                              ; =>This Inner Loop Header: Depth=1
	global_load_dwordx2 v[10:11], v[4:5], off
	ds_read_b64 v[12:13], v6
	v_add_co_u32_e64 v4, s[0:1], s12, v4
	v_add_u32_e32 v8, 0x400, v8
	v_addc_co_u32_e64 v5, s[0:1], v5, v7, s[0:1]
	v_cmp_le_i32_e64 s[0:1], s9, v8
	v_add_u32_e32 v6, 0x2000, v6
	s_or_b64 s[4:5], s[0:1], s[4:5]
	s_waitcnt vmcnt(0) lgkmcnt(0)
	v_mul_f32_e32 v9, v13, v11
	v_mul_f32_e32 v11, v12, v11
	v_fma_f32 v9, v12, v10, -v9
	v_fmac_f32_e32 v11, v13, v10
	v_add_f32_e32 v2, v2, v9
	v_add_f32_e32 v3, v3, v11
	s_andn2_b64 exec, exec, s[4:5]
	s_cbranch_execnz .LBB103_4
; %bb.5:
	s_or_b64 exec, exec, s[4:5]
.LBB103_6:
	s_or_b64 exec, exec, s[22:23]
	v_mbcnt_lo_u32_b32 v4, -1, 0
	v_mbcnt_hi_u32_b32 v6, -1, v4
	v_and_b32_e32 v7, 63, v6
	v_cmp_ne_u32_e64 s[0:1], 63, v7
	v_addc_co_u32_e64 v4, s[0:1], 0, v6, s[0:1]
	v_lshlrev_b32_e32 v5, 2, v4
	ds_bpermute_b32 v4, v5, v2
	ds_bpermute_b32 v5, v5, v3
	v_cmp_gt_u32_e64 s[0:1], 62, v7
	v_cndmask_b32_e64 v8, 0, 1, s[0:1]
	v_lshlrev_b32_e32 v8, 1, v8
	v_add_lshl_u32 v8, v8, v6, 2
	s_waitcnt lgkmcnt(0)
	v_pk_add_f32 v[2:3], v[2:3], v[4:5]
	ds_bpermute_b32 v4, v8, v2
	ds_bpermute_b32 v5, v8, v3
	v_cmp_gt_u32_e64 s[0:1], 60, v7
	v_cndmask_b32_e64 v8, 0, 1, s[0:1]
	v_lshlrev_b32_e32 v8, 2, v8
	v_add_lshl_u32 v8, v8, v6, 2
	s_waitcnt lgkmcnt(0)
	v_pk_add_f32 v[2:3], v[2:3], v[4:5]
	;; [unrolled: 8-line block ×5, first 2 shown]
	ds_bpermute_b32 v4, v6, v2
	ds_bpermute_b32 v5, v6, v3
	s_waitcnt lgkmcnt(0)
	v_pk_add_f32 v[2:3], v[2:3], v[4:5]
	v_and_b32_e32 v4, 63, v0
	v_cmp_eq_u32_e64 s[0:1], 0, v4
	s_and_saveexec_b64 s[4:5], s[0:1]
	s_cbranch_execz .LBB103_8
; %bb.7:
	v_lshrrev_b32_e32 v4, 3, v0
	v_add_u32_e32 v4, 0, v4
	ds_write2_b32 v4, v2, v3 offset1:1
.LBB103_8:
	s_or_b64 exec, exec, s[4:5]
	v_cmp_eq_u32_e64 s[0:1], 0, v0
	s_waitcnt lgkmcnt(0)
	s_barrier
	s_and_saveexec_b64 s[4:5], s[0:1]
	s_cbranch_execz .LBB103_10
; %bb.9:
	v_mov_b32_e32 v20, 0
	ds_read2_b64 v[4:7], v20 offset0:1 offset1:2
	ds_read2_b64 v[8:11], v20 offset0:3 offset1:4
	;; [unrolled: 1-line block ×4, first 2 shown]
	s_waitcnt lgkmcnt(3)
	v_pk_add_f32 v[2:3], v[2:3], v[4:5]
	v_pk_add_f32 v[2:3], v[2:3], v[6:7]
	s_waitcnt lgkmcnt(2)
	v_pk_add_f32 v[2:3], v[2:3], v[8:9]
	v_pk_add_f32 v[2:3], v[2:3], v[10:11]
	s_waitcnt lgkmcnt(1)
	v_pk_add_f32 v[6:7], v[2:3], v[12:13]
	ds_read2_b64 v[2:5], v20 offset0:9 offset1:10
	v_pk_add_f32 v[6:7], v[6:7], v[14:15]
	s_waitcnt lgkmcnt(1)
	v_pk_add_f32 v[6:7], v[6:7], v[16:17]
	v_pk_add_f32 v[10:11], v[6:7], v[18:19]
	ds_read2_b64 v[6:9], v20 offset0:11 offset1:12
	s_waitcnt lgkmcnt(1)
	v_pk_add_f32 v[2:3], v[10:11], v[2:3]
	ds_read2_b64 v[10:13], v20 offset0:13 offset1:14
	v_pk_add_f32 v[2:3], v[2:3], v[4:5]
	ds_read_b64 v[4:5], v20 offset:120
	s_waitcnt lgkmcnt(2)
	v_pk_add_f32 v[2:3], v[2:3], v[6:7]
	v_pk_add_f32 v[2:3], v[2:3], v[8:9]
	s_waitcnt lgkmcnt(1)
	v_pk_add_f32 v[2:3], v[2:3], v[10:11]
	v_pk_add_f32 v[2:3], v[2:3], v[12:13]
	s_waitcnt lgkmcnt(0)
	v_pk_add_f32 v[2:3], v[2:3], v[4:5]
	ds_write_b64 v20, v[2:3]
.LBB103_10:
	s_or_b64 exec, exec, s[4:5]
	s_waitcnt lgkmcnt(0)
	s_barrier
	s_and_saveexec_b64 s[0:1], vcc
	s_cbranch_execz .LBB103_13
; %bb.11:
	s_mul_i32 s0, s8, s17
	s_mul_hi_u32 s1, s8, s16
	s_add_i32 s0, s1, s0
	s_mul_i32 s1, s27, s16
	s_add_i32 s1, s0, s1
	s_mul_i32 s0, s8, s16
	s_lshl_b64 s[0:1], s[0:1], 3
	s_add_u32 s0, s14, s0
	s_addc_u32 s1, s15, s1
	v_mov_b32_e32 v2, 0
	ds_read_b64 v[4:5], v2
	s_load_dwordx2 s[0:1], s[0:1], 0x0
	v_mad_i64_i32 v[6:7], s[4:5], s2, v0, 0
	s_ashr_i32 s3, s2, 31
	s_lshl_b64 s[4:5], s[10:11], 3
	s_waitcnt lgkmcnt(0)
	v_mul_f32_e32 v2, s0, v5
	v_mul_f32_e32 v3, s0, v4
	s_add_i32 s0, s25, s24
	s_add_i32 s21, s0, s26
	v_fma_f32 v2, v4, -s1, -v2
	v_fma_f32 v4, s1, v5, -v3
	s_lshl_b64 s[0:1], s[20:21], 3
	s_lshl_b64 s[6:7], s[6:7], 3
	s_add_u32 s6, s18, s6
	s_addc_u32 s7, s19, s7
	s_add_u32 s4, s6, s4
	s_addc_u32 s5, s7, s5
	s_add_u32 s0, s4, s0
	v_lshlrev_b64 v[6:7], 3, v[6:7]
	s_addc_u32 s1, s5, s1
	v_mov_b32_e32 v8, s1
	v_add_co_u32_e32 v6, vcc, s0, v6
	s_lshl_b64 s[0:1], s[2:3], 13
	v_mov_b32_e32 v3, v2
	v_mov_b32_e32 v5, v4
	v_add_u32_e32 v1, 0x80, v1
	v_addc_co_u32_e32 v7, vcc, v8, v7, vcc
	s_mov_b64 s[2:3], 0
	v_mov_b32_e32 v8, s1
.LBB103_12:                             ; =>This Inner Loop Header: Depth=1
	global_load_dwordx2 v[10:11], v[6:7], off
	ds_read_b64 v[12:13], v1
	v_add_u32_e32 v0, 0x400, v0
	v_cmp_le_i32_e32 vcc, s9, v0
	s_or_b64 s[2:3], vcc, s[2:3]
	v_add_u32_e32 v1, 0x2000, v1
	s_waitcnt lgkmcnt(0)
	v_pk_mul_f32 v[14:15], v[2:3], v[12:13]
	v_pk_fma_f32 v[16:17], v[4:5], v[12:13], v[14:15] op_sel:[0,0,1] op_sel_hi:[1,1,0]
	v_pk_fma_f32 v[12:13], v[4:5], v[12:13], v[14:15] op_sel:[0,0,1] op_sel_hi:[1,1,0] neg_lo:[1,0,0] neg_hi:[1,0,0]
	v_mov_b32_e32 v17, v13
	s_waitcnt vmcnt(0)
	v_pk_add_f32 v[10:11], v[10:11], v[16:17]
	global_store_dwordx2 v[6:7], v[10:11], off
	v_add_co_u32_e32 v6, vcc, s0, v6
	v_addc_co_u32_e32 v7, vcc, v7, v8, vcc
	s_andn2_b64 exec, exec, s[2:3]
	s_cbranch_execnz .LBB103_12
.LBB103_13:
	s_endpgm
	.section	.rodata,"a",@progbits
	.p2align	6, 0x0
	.amdhsa_kernel _ZN9rocsolver6v33100L17larf_right_kernelILi1024E19rocblas_complex_numIfEiPS3_EEvT1_S5_T2_lS5_lPKT0_lS6_lS5_l
		.amdhsa_group_segment_fixed_size 0
		.amdhsa_private_segment_fixed_size 0
		.amdhsa_kernarg_size 88
		.amdhsa_user_sgpr_count 6
		.amdhsa_user_sgpr_private_segment_buffer 1
		.amdhsa_user_sgpr_dispatch_ptr 0
		.amdhsa_user_sgpr_queue_ptr 0
		.amdhsa_user_sgpr_kernarg_segment_ptr 1
		.amdhsa_user_sgpr_dispatch_id 0
		.amdhsa_user_sgpr_flat_scratch_init 0
		.amdhsa_user_sgpr_kernarg_preload_length 0
		.amdhsa_user_sgpr_kernarg_preload_offset 0
		.amdhsa_user_sgpr_private_segment_size 0
		.amdhsa_uses_dynamic_stack 0
		.amdhsa_system_sgpr_private_segment_wavefront_offset 0
		.amdhsa_system_sgpr_workgroup_id_x 1
		.amdhsa_system_sgpr_workgroup_id_y 1
		.amdhsa_system_sgpr_workgroup_id_z 1
		.amdhsa_system_sgpr_workgroup_info 0
		.amdhsa_system_vgpr_workitem_id 0
		.amdhsa_next_free_vgpr 21
		.amdhsa_next_free_sgpr 36
		.amdhsa_accum_offset 24
		.amdhsa_reserve_vcc 1
		.amdhsa_reserve_flat_scratch 0
		.amdhsa_float_round_mode_32 0
		.amdhsa_float_round_mode_16_64 0
		.amdhsa_float_denorm_mode_32 3
		.amdhsa_float_denorm_mode_16_64 3
		.amdhsa_dx10_clamp 1
		.amdhsa_ieee_mode 1
		.amdhsa_fp16_overflow 0
		.amdhsa_tg_split 0
		.amdhsa_exception_fp_ieee_invalid_op 0
		.amdhsa_exception_fp_denorm_src 0
		.amdhsa_exception_fp_ieee_div_zero 0
		.amdhsa_exception_fp_ieee_overflow 0
		.amdhsa_exception_fp_ieee_underflow 0
		.amdhsa_exception_fp_ieee_inexact 0
		.amdhsa_exception_int_div_zero 0
	.end_amdhsa_kernel
	.section	.text._ZN9rocsolver6v33100L17larf_right_kernelILi1024E19rocblas_complex_numIfEiPS3_EEvT1_S5_T2_lS5_lPKT0_lS6_lS5_l,"axG",@progbits,_ZN9rocsolver6v33100L17larf_right_kernelILi1024E19rocblas_complex_numIfEiPS3_EEvT1_S5_T2_lS5_lPKT0_lS6_lS5_l,comdat
.Lfunc_end103:
	.size	_ZN9rocsolver6v33100L17larf_right_kernelILi1024E19rocblas_complex_numIfEiPS3_EEvT1_S5_T2_lS5_lPKT0_lS6_lS5_l, .Lfunc_end103-_ZN9rocsolver6v33100L17larf_right_kernelILi1024E19rocblas_complex_numIfEiPS3_EEvT1_S5_T2_lS5_lPKT0_lS6_lS5_l
                                        ; -- End function
	.section	.AMDGPU.csdata,"",@progbits
; Kernel info:
; codeLenInByte = 1528
; NumSgprs: 40
; NumVgprs: 21
; NumAgprs: 0
; TotalNumVgprs: 21
; ScratchSize: 0
; MemoryBound: 0
; FloatMode: 240
; IeeeMode: 1
; LDSByteSize: 0 bytes/workgroup (compile time only)
; SGPRBlocks: 4
; VGPRBlocks: 2
; NumSGPRsForWavesPerEU: 40
; NumVGPRsForWavesPerEU: 21
; AccumOffset: 24
; Occupancy: 8
; WaveLimiterHint : 0
; COMPUTE_PGM_RSRC2:SCRATCH_EN: 0
; COMPUTE_PGM_RSRC2:USER_SGPR: 6
; COMPUTE_PGM_RSRC2:TRAP_HANDLER: 0
; COMPUTE_PGM_RSRC2:TGID_X_EN: 1
; COMPUTE_PGM_RSRC2:TGID_Y_EN: 1
; COMPUTE_PGM_RSRC2:TGID_Z_EN: 1
; COMPUTE_PGM_RSRC2:TIDIG_COMP_CNT: 0
; COMPUTE_PGM_RSRC3_GFX90A:ACCUM_OFFSET: 5
; COMPUTE_PGM_RSRC3_GFX90A:TG_SPLIT: 0
	.section	.text._ZN9rocsolver6v33100L12restore_diagI19rocblas_complex_numIfEifPS3_EEvPT1_llT2_lT0_lS8_,"axG",@progbits,_ZN9rocsolver6v33100L12restore_diagI19rocblas_complex_numIfEifPS3_EEvPT1_llT2_lT0_lS8_,comdat
	.globl	_ZN9rocsolver6v33100L12restore_diagI19rocblas_complex_numIfEifPS3_EEvPT1_llT2_lT0_lS8_ ; -- Begin function _ZN9rocsolver6v33100L12restore_diagI19rocblas_complex_numIfEifPS3_EEvPT1_llT2_lT0_lS8_
	.p2align	8
	.type	_ZN9rocsolver6v33100L12restore_diagI19rocblas_complex_numIfEifPS3_EEvPT1_llT2_lT0_lS8_,@function
_ZN9rocsolver6v33100L12restore_diagI19rocblas_complex_numIfEifPS3_EEvPT1_llT2_lT0_lS8_: ; @_ZN9rocsolver6v33100L12restore_diagI19rocblas_complex_numIfEifPS3_EEvPT1_llT2_lT0_lS8_
; %bb.0:
	s_load_dword s0, s[4:5], 0x4c
	s_load_dword s1, s[4:5], 0x38
	v_bfe_u32 v0, v0, 10, 10
	s_waitcnt lgkmcnt(0)
	s_lshr_b32 s0, s0, 16
	s_mul_i32 s7, s7, s0
	v_add_u32_e32 v0, s7, v0
	v_cmp_gt_i32_e32 vcc, s1, v0
	s_and_saveexec_b64 s[0:1], vcc
	s_cbranch_execz .LBB104_2
; %bb.1:
	s_load_dwordx2 s[0:1], s[4:5], 0x30
	s_load_dwordx2 s[2:3], s[4:5], 0x20
	s_load_dword s7, s[4:5], 0x28
	s_load_dwordx8 s[8:15], s[4:5], 0x0
	s_ashr_i32 s4, s6, 31
	s_waitcnt lgkmcnt(0)
	s_mul_i32 s1, s6, s1
	s_mul_hi_u32 s5, s6, s0
	s_add_i32 s1, s5, s1
	s_mul_i32 s5, s4, s0
	s_add_i32 s1, s1, s5
	s_mul_i32 s0, s6, s0
	s_lshl_b64 s[0:1], s[0:1], 3
	s_add_u32 s5, s14, s0
	s_addc_u32 s14, s15, s1
	s_lshl_b64 s[0:1], s[2:3], 3
	s_add_u32 s2, s5, s0
	s_addc_u32 s3, s14, s1
	s_mul_i32 s0, s6, s13
	s_mul_hi_u32 s1, s6, s12
	s_add_i32 s0, s1, s0
	s_mul_i32 s4, s4, s12
	s_add_i32 s1, s0, s4
	s_mul_i32 s0, s6, s12
	s_lshl_b64 s[0:1], s[0:1], 2
	s_add_u32 s4, s8, s0
	s_addc_u32 s5, s9, s1
	s_lshl_b64 s[0:1], s[10:11], 2
	s_add_u32 s4, s4, s0
	s_addc_u32 s5, s5, s1
	v_mad_u64_u32 v[2:3], s[0:1], v0, s7, v[0:1]
	v_ashrrev_i32_e32 v1, 31, v0
	v_lshlrev_b64 v[0:1], 2, v[0:1]
	v_mov_b32_e32 v3, s5
	v_add_co_u32_e32 v0, vcc, s4, v0
	v_addc_co_u32_e32 v1, vcc, v3, v1, vcc
	global_load_dword v0, v[0:1], off
	v_ashrrev_i32_e32 v3, 31, v2
	v_lshlrev_b64 v[2:3], 3, v[2:3]
	v_mov_b32_e32 v1, s3
	v_add_co_u32_e32 v2, vcc, s2, v2
	v_addc_co_u32_e32 v3, vcc, v1, v3, vcc
	v_mov_b32_e32 v1, 0
	s_waitcnt vmcnt(0)
	global_store_dwordx2 v[2:3], v[0:1], off
.LBB104_2:
	s_endpgm
	.section	.rodata,"a",@progbits
	.p2align	6, 0x0
	.amdhsa_kernel _ZN9rocsolver6v33100L12restore_diagI19rocblas_complex_numIfEifPS3_EEvPT1_llT2_lT0_lS8_
		.amdhsa_group_segment_fixed_size 0
		.amdhsa_private_segment_fixed_size 0
		.amdhsa_kernarg_size 320
		.amdhsa_user_sgpr_count 6
		.amdhsa_user_sgpr_private_segment_buffer 1
		.amdhsa_user_sgpr_dispatch_ptr 0
		.amdhsa_user_sgpr_queue_ptr 0
		.amdhsa_user_sgpr_kernarg_segment_ptr 1
		.amdhsa_user_sgpr_dispatch_id 0
		.amdhsa_user_sgpr_flat_scratch_init 0
		.amdhsa_user_sgpr_kernarg_preload_length 0
		.amdhsa_user_sgpr_kernarg_preload_offset 0
		.amdhsa_user_sgpr_private_segment_size 0
		.amdhsa_uses_dynamic_stack 0
		.amdhsa_system_sgpr_private_segment_wavefront_offset 0
		.amdhsa_system_sgpr_workgroup_id_x 1
		.amdhsa_system_sgpr_workgroup_id_y 1
		.amdhsa_system_sgpr_workgroup_id_z 0
		.amdhsa_system_sgpr_workgroup_info 0
		.amdhsa_system_vgpr_workitem_id 1
		.amdhsa_next_free_vgpr 4
		.amdhsa_next_free_sgpr 16
		.amdhsa_accum_offset 4
		.amdhsa_reserve_vcc 1
		.amdhsa_reserve_flat_scratch 0
		.amdhsa_float_round_mode_32 0
		.amdhsa_float_round_mode_16_64 0
		.amdhsa_float_denorm_mode_32 3
		.amdhsa_float_denorm_mode_16_64 3
		.amdhsa_dx10_clamp 1
		.amdhsa_ieee_mode 1
		.amdhsa_fp16_overflow 0
		.amdhsa_tg_split 0
		.amdhsa_exception_fp_ieee_invalid_op 0
		.amdhsa_exception_fp_denorm_src 0
		.amdhsa_exception_fp_ieee_div_zero 0
		.amdhsa_exception_fp_ieee_overflow 0
		.amdhsa_exception_fp_ieee_underflow 0
		.amdhsa_exception_fp_ieee_inexact 0
		.amdhsa_exception_int_div_zero 0
	.end_amdhsa_kernel
	.section	.text._ZN9rocsolver6v33100L12restore_diagI19rocblas_complex_numIfEifPS3_EEvPT1_llT2_lT0_lS8_,"axG",@progbits,_ZN9rocsolver6v33100L12restore_diagI19rocblas_complex_numIfEifPS3_EEvPT1_llT2_lT0_lS8_,comdat
.Lfunc_end104:
	.size	_ZN9rocsolver6v33100L12restore_diagI19rocblas_complex_numIfEifPS3_EEvPT1_llT2_lT0_lS8_, .Lfunc_end104-_ZN9rocsolver6v33100L12restore_diagI19rocblas_complex_numIfEifPS3_EEvPT1_llT2_lT0_lS8_
                                        ; -- End function
	.section	.AMDGPU.csdata,"",@progbits
; Kernel info:
; codeLenInByte = 272
; NumSgprs: 20
; NumVgprs: 4
; NumAgprs: 0
; TotalNumVgprs: 4
; ScratchSize: 0
; MemoryBound: 0
; FloatMode: 240
; IeeeMode: 1
; LDSByteSize: 0 bytes/workgroup (compile time only)
; SGPRBlocks: 2
; VGPRBlocks: 0
; NumSGPRsForWavesPerEU: 20
; NumVGPRsForWavesPerEU: 4
; AccumOffset: 4
; Occupancy: 8
; WaveLimiterHint : 0
; COMPUTE_PGM_RSRC2:SCRATCH_EN: 0
; COMPUTE_PGM_RSRC2:USER_SGPR: 6
; COMPUTE_PGM_RSRC2:TRAP_HANDLER: 0
; COMPUTE_PGM_RSRC2:TGID_X_EN: 1
; COMPUTE_PGM_RSRC2:TGID_Y_EN: 1
; COMPUTE_PGM_RSRC2:TGID_Z_EN: 0
; COMPUTE_PGM_RSRC2:TIDIG_COMP_CNT: 1
; COMPUTE_PGM_RSRC3_GFX90A:ACCUM_OFFSET: 0
; COMPUTE_PGM_RSRC3_GFX90A:TG_SPLIT: 0
	.section	.text._ZN9rocsolver6v33100L14set_triangularI19rocblas_complex_numIfEPS3_TnNSt9enable_ifIX18rocblas_is_complexIT_EEiE4typeELi0EEEviiT0_iilPS6_lSA_il15rocblas_direct_15rocblas_storev_b,"axG",@progbits,_ZN9rocsolver6v33100L14set_triangularI19rocblas_complex_numIfEPS3_TnNSt9enable_ifIX18rocblas_is_complexIT_EEiE4typeELi0EEEviiT0_iilPS6_lSA_il15rocblas_direct_15rocblas_storev_b,comdat
	.globl	_ZN9rocsolver6v33100L14set_triangularI19rocblas_complex_numIfEPS3_TnNSt9enable_ifIX18rocblas_is_complexIT_EEiE4typeELi0EEEviiT0_iilPS6_lSA_il15rocblas_direct_15rocblas_storev_b ; -- Begin function _ZN9rocsolver6v33100L14set_triangularI19rocblas_complex_numIfEPS3_TnNSt9enable_ifIX18rocblas_is_complexIT_EEiE4typeELi0EEEviiT0_iilPS6_lSA_il15rocblas_direct_15rocblas_storev_b
	.p2align	8
	.type	_ZN9rocsolver6v33100L14set_triangularI19rocblas_complex_numIfEPS3_TnNSt9enable_ifIX18rocblas_is_complexIT_EEiE4typeELi0EEEviiT0_iilPS6_lSA_il15rocblas_direct_15rocblas_storev_b,@function
_ZN9rocsolver6v33100L14set_triangularI19rocblas_complex_numIfEPS3_TnNSt9enable_ifIX18rocblas_is_complexIT_EEiE4typeELi0EEEviiT0_iilPS6_lSA_il15rocblas_direct_15rocblas_storev_b: ; @_ZN9rocsolver6v33100L14set_triangularI19rocblas_complex_numIfEPS3_TnNSt9enable_ifIX18rocblas_is_complexIT_EEiE4typeELi0EEEviiT0_iilPS6_lSA_il15rocblas_direct_15rocblas_storev_b
; %bb.0:
	s_load_dword s0, s[4:5], 0x64
	s_load_dwordx2 s[20:21], s[4:5], 0x0
	v_and_b32_e32 v1, 0x3ff, v0
	v_bfe_u32 v0, v0, 10, 10
	s_waitcnt lgkmcnt(0)
	s_lshr_b32 s1, s0, 16
	s_and_b32 s0, s0, 0xffff
	s_mul_i32 s6, s6, s0
	s_mul_i32 s7, s7, s1
	v_add_u32_e32 v2, s6, v1
	v_add_u32_e32 v0, s7, v0
	v_max_u32_e32 v1, v2, v0
	v_cmp_gt_u32_e32 vcc, s21, v1
	s_and_saveexec_b64 s[0:1], vcc
	s_cbranch_execz .LBB105_36
; %bb.1:
	s_load_dwordx8 s[12:19], s[4:5], 0x18
	s_load_dword s22, s[4:5], 0x38
	s_load_dwordx2 s[0:1], s[4:5], 0x40
	v_cmp_ne_u32_e32 vcc, v0, v2
	s_waitcnt lgkmcnt(0)
	s_mul_i32 s3, s8, s17
	s_mul_hi_u32 s6, s8, s16
	s_mul_i32 s2, s8, s16
	s_add_i32 s3, s6, s3
	s_lshl_b64 s[2:3], s[2:3], 3
	s_add_u32 s16, s14, s2
	s_mul_i32 s1, s8, s1
	s_mul_hi_u32 s2, s8, s0
	s_addc_u32 s17, s15, s3
	s_add_i32 s1, s2, s1
	s_mul_i32 s0, s8, s0
	s_lshl_b64 s[0:1], s[0:1], 3
	s_add_u32 s14, s18, s0
	s_addc_u32 s15, s19, s1
	s_and_saveexec_b64 s[0:1], vcc
	s_xor_b64 s[10:11], exec, s[0:1]
	s_cbranch_execz .LBB105_34
; %bb.2:
	s_load_dwordx4 s[0:3], s[4:5], 0x8
	s_mul_i32 s9, s8, s13
	s_mul_hi_u32 s13, s8, s12
	s_add_i32 s9, s13, s9
	s_mul_i32 s8, s8, s12
	s_load_dwordx4 s[4:7], s[4:5], 0x48
	s_waitcnt lgkmcnt(0)
	s_ashr_i32 s19, s2, 31
	s_lshl_b64 s[8:9], s[8:9], 3
	s_mov_b32 s18, s2
	s_add_u32 s2, s0, s8
	s_addc_u32 s7, s1, s9
	s_lshl_b64 s[0:1], s[18:19], 3
	s_add_u32 s2, s2, s0
	s_addc_u32 s12, s7, s1
	s_bitcmp1_b32 s6, 0
	s_cselect_b64 s[0:1], -1, 0
	s_xor_b64 s[0:1], s[0:1], -1
	s_mov_b64 s[6:7], -1
	s_cmpk_lg_i32 s4, 0xab
	v_mov_b32_e32 v3, 0
	s_cbranch_scc0 .LBB105_18
; %bb.3:
	v_cmp_le_u32_e32 vcc, v0, v2
	s_and_saveexec_b64 s[6:7], vcc
	s_xor_b64 s[6:7], exec, s[6:7]
	s_cbranch_execz .LBB105_5
; %bb.4:
	v_mad_u64_u32 v[4:5], s[8:9], v2, s22, 0
	s_ashr_i32 s4, s22, 31
	v_mov_b32_e32 v6, v5
	v_mad_u64_u32 v[6:7], s[8:9], v2, s4, v[6:7]
	v_mov_b32_e32 v5, v6
	v_lshlrev_b64 v[4:5], 3, v[4:5]
	v_mov_b32_e32 v1, 0
	v_mov_b32_e32 v6, s15
	v_add_co_u32_e32 v7, vcc, s14, v4
	v_addc_co_u32_e32 v6, vcc, v6, v5, vcc
	v_lshlrev_b64 v[4:5], 3, v[0:1]
	v_add_co_u32_e32 v4, vcc, v7, v4
	v_addc_co_u32_e32 v5, vcc, v6, v5, vcc
	v_mov_b32_e32 v6, v1
	v_mov_b32_e32 v7, v1
	global_store_dwordx2 v[4:5], v[6:7], off
.LBB105_5:
	s_andn2_saveexec_b64 s[6:7], s[6:7]
	s_cbranch_execz .LBB105_17
; %bb.6:
	v_lshlrev_b64 v[4:5], 3, v[2:3]
	v_mov_b32_e32 v1, s17
	v_add_co_u32_e32 v4, vcc, s16, v4
	v_addc_co_u32_e32 v5, vcc, v1, v5, vcc
	global_load_dwordx2 v[4:5], v[4:5], off
	s_cmpk_lg_i32 s5, 0xb5
	s_mov_b64 s[8:9], -1
	s_cbranch_scc0 .LBB105_12
; %bb.7:
	v_mov_b32_e32 v1, 0
	s_andn2_b64 vcc, exec, s[0:1]
	v_lshlrev_b64 v[6:7], 3, v[0:1]
	s_cbranch_vccnz .LBB105_9
; %bb.8:
	s_sub_i32 s4, s20, s21
	v_add_u32_e32 v1, s4, v2
	v_mad_u64_u32 v[8:9], s[8:9], v1, s3, 0
	s_ashr_i32 s4, s3, 31
	v_mov_b32_e32 v10, v9
	v_mad_u64_u32 v[10:11], s[8:9], v1, s4, v[10:11]
	v_mov_b32_e32 v9, v10
	v_lshlrev_b64 v[8:9], 3, v[8:9]
	v_mov_b32_e32 v1, s12
	v_add_co_u32_e32 v8, vcc, s2, v8
	v_addc_co_u32_e32 v1, vcc, v1, v9, vcc
	v_add_co_u32_e32 v8, vcc, v8, v6
	v_addc_co_u32_e32 v9, vcc, v1, v7, vcc
	global_load_dwordx2 v[8:9], v[8:9], off
	v_mad_u64_u32 v[10:11], s[8:9], v2, s22, 0
	s_ashr_i32 s4, s22, 31
	v_mov_b32_e32 v14, v11
	v_mad_u64_u32 v[14:15], s[8:9], v2, s4, v[14:15]
	v_mov_b32_e32 v11, v14
	v_lshlrev_b64 v[10:11], 3, v[10:11]
	v_mov_b32_e32 v1, s15
	v_add_co_u32_e32 v10, vcc, s14, v10
	s_waitcnt vmcnt(1)
	v_mov_b32_e32 v12, v5
	v_addc_co_u32_e32 v1, vcc, v1, v11, vcc
	v_add_co_u32_e32 v10, vcc, v10, v6
	v_addc_co_u32_e32 v11, vcc, v1, v7, vcc
	s_mov_b64 s[8:9], 0
	s_waitcnt vmcnt(0)
	v_pk_mul_f32 v[12:13], v[12:13], v[8:9] op_sel_hi:[0,1] neg_lo:[1,0]
	v_pk_fma_f32 v[8:9], v[4:5], v[8:9], v[12:13] op_sel:[0,0,1] op_sel_hi:[0,1,0] neg_lo:[1,0,0] neg_hi:[1,0,0]
	global_store_dwordx2 v[10:11], v[8:9], off
.LBB105_9:
	s_andn2_b64 vcc, exec, s[8:9]
	s_cbranch_vccnz .LBB105_11
; %bb.10:
	v_mad_u64_u32 v[8:9], s[8:9], v2, s22, 0
	s_ashr_i32 s4, s22, 31
	v_mov_b32_e32 v10, v9
	v_mad_u64_u32 v[10:11], s[8:9], v2, s4, v[10:11]
	v_mov_b32_e32 v9, v10
	v_lshlrev_b64 v[8:9], 3, v[8:9]
	v_mov_b32_e32 v1, s15
	v_add_co_u32_e32 v8, vcc, s14, v8
	v_addc_co_u32_e32 v1, vcc, v1, v9, vcc
	v_add_co_u32_e32 v8, vcc, v8, v6
	s_sub_i32 s4, s20, s21
	v_addc_co_u32_e32 v9, vcc, v1, v7, vcc
	v_add_u32_e32 v1, s4, v2
	v_mad_u64_u32 v[10:11], s[8:9], v1, s3, 0
	s_ashr_i32 s4, s3, 31
	v_mov_b32_e32 v12, v11
	v_mad_u64_u32 v[12:13], s[8:9], v1, s4, v[12:13]
	v_mov_b32_e32 v11, v12
	v_lshlrev_b64 v[10:11], 3, v[10:11]
	v_mov_b32_e32 v1, s12
	v_add_co_u32_e32 v10, vcc, s2, v10
	v_addc_co_u32_e32 v1, vcc, v1, v11, vcc
	v_add_co_u32_e32 v6, vcc, v10, v6
	v_addc_co_u32_e32 v7, vcc, v1, v7, vcc
	global_load_dwordx2 v[10:11], v[8:9], off
	global_load_dwordx2 v[12:13], v[6:7], off
	s_waitcnt vmcnt(2)
	v_mov_b32_e32 v6, v5
	s_waitcnt vmcnt(0)
	v_pk_add_f32 v[10:11], v[12:13], v[10:11]
	v_pk_mul_f32 v[12:13], v[4:5], v[10:11] op_sel_hi:[0,1]
	v_pk_fma_f32 v[6:7], v[6:7], v[10:11], v[12:13] op_sel:[0,0,1] op_sel_hi:[0,1,0] neg_lo:[1,0,1] neg_hi:[0,0,1]
	v_mov_b32_e32 v10, v7
	v_mov_b32_e32 v11, v6
	global_store_dwordx2 v[8:9], v[10:11], off
.LBB105_11:
	s_mov_b64 s[8:9], 0
.LBB105_12:
	s_andn2_b64 vcc, exec, s[8:9]
	s_cbranch_vccnz .LBB105_17
; %bb.13:
	s_andn2_b64 vcc, exec, s[0:1]
	s_mov_b64 s[8:9], -1
	s_cbranch_vccnz .LBB105_15
; %bb.14:
	s_sub_i32 s4, s20, s21
	v_mad_u64_u32 v[8:9], s[8:9], v0, s3, 0
	v_add_u32_e32 v6, s4, v2
	s_ashr_i32 s4, s3, 31
	v_mov_b32_e32 v10, v9
	v_mad_u64_u32 v[10:11], s[8:9], v0, s4, v[10:11]
	v_mov_b32_e32 v9, v10
	v_lshlrev_b64 v[8:9], 3, v[8:9]
	v_mov_b32_e32 v7, 0
	v_mov_b32_e32 v1, s12
	v_add_co_u32_e32 v10, vcc, s2, v8
	v_addc_co_u32_e32 v1, vcc, v1, v9, vcc
	v_lshlrev_b64 v[8:9], 3, v[6:7]
	v_add_co_u32_e32 v8, vcc, v10, v8
	v_addc_co_u32_e32 v9, vcc, v1, v9, vcc
	global_load_dwordx2 v[8:9], v[8:9], off
	v_mad_u64_u32 v[10:11], s[8:9], v2, s22, 0
	s_ashr_i32 s4, s22, 31
	v_mov_b32_e32 v12, v11
	v_mad_u64_u32 v[12:13], s[8:9], v2, s4, v[12:13]
	v_mov_b32_e32 v11, v12
	v_mov_b32_e32 v1, v7
	v_lshlrev_b64 v[10:11], 3, v[10:11]
	v_mov_b32_e32 v16, s15
	v_lshlrev_b64 v[14:15], 3, v[0:1]
	v_add_co_u32_e32 v1, vcc, s14, v10
	v_addc_co_u32_e32 v7, vcc, v16, v11, vcc
	s_waitcnt vmcnt(1)
	v_mov_b32_e32 v6, v5
	v_add_co_u32_e32 v10, vcc, v1, v14
	v_addc_co_u32_e32 v11, vcc, v7, v15, vcc
	s_mov_b64 s[8:9], 0
	s_waitcnt vmcnt(0)
	v_pk_mul_f32 v[6:7], v[6:7], v[8:9] op_sel_hi:[0,1]
	v_pk_fma_f32 v[6:7], v[8:9], v[4:5], v[6:7] op_sel:[0,0,1] op_sel_hi:[1,0,0] neg_lo:[0,1,1] neg_hi:[0,0,1]
	global_store_dwordx2 v[10:11], v[6:7], off
.LBB105_15:
	s_andn2_b64 vcc, exec, s[8:9]
	s_cbranch_vccnz .LBB105_17
; %bb.16:
	v_mad_u64_u32 v[6:7], s[8:9], v2, s22, 0
	s_ashr_i32 s4, s22, 31
	v_mov_b32_e32 v8, v7
	v_mad_u64_u32 v[8:9], s[8:9], v2, s4, v[8:9]
	v_mov_b32_e32 v7, v8
	v_lshlrev_b64 v[6:7], 3, v[6:7]
	v_mov_b32_e32 v1, 0
	v_mov_b32_e32 v8, s15
	v_add_co_u32_e32 v9, vcc, s14, v6
	v_addc_co_u32_e32 v8, vcc, v8, v7, vcc
	v_lshlrev_b64 v[6:7], 3, v[0:1]
	v_add_co_u32_e32 v6, vcc, v9, v6
	s_sub_i32 s4, s20, s21
	v_mad_u64_u32 v[10:11], s[8:9], v0, s3, 0
	v_addc_co_u32_e32 v7, vcc, v8, v7, vcc
	v_add_u32_e32 v8, s4, v2
	s_ashr_i32 s4, s3, 31
	v_mov_b32_e32 v12, v11
	v_mad_u64_u32 v[12:13], s[8:9], v0, s4, v[12:13]
	v_mov_b32_e32 v11, v12
	v_lshlrev_b64 v[10:11], 3, v[10:11]
	v_mov_b32_e32 v9, v1
	v_mov_b32_e32 v1, s12
	v_add_co_u32_e32 v10, vcc, s2, v10
	v_addc_co_u32_e32 v1, vcc, v1, v11, vcc
	v_lshlrev_b64 v[8:9], 3, v[8:9]
	v_add_co_u32_e32 v8, vcc, v10, v8
	v_addc_co_u32_e32 v9, vcc, v1, v9, vcc
	global_load_dwordx2 v[10:11], v[6:7], off
	global_load_dwordx2 v[12:13], v[8:9], off
	s_waitcnt vmcnt(2)
	v_mov_b32_e32 v8, v5
	s_waitcnt vmcnt(0)
	v_pk_add_f32 v[14:15], v[10:11], v[12:13] op_sel:[1,1] op_sel_hi:[0,0] neg_lo:[0,1] neg_hi:[0,1]
	v_pk_add_f32 v[10:11], v[12:13], v[10:11] op_sel:[1,1] op_sel_hi:[0,0]
	v_mov_b32_e32 v15, v11
	v_mov_b32_e32 v10, v11
	;; [unrolled: 1-line block ×3, first 2 shown]
	v_pk_mul_f32 v[4:5], v[4:5], v[10:11] op_sel_hi:[0,1]
	v_pk_fma_f32 v[4:5], v[8:9], v[14:15], v[4:5] op_sel_hi:[0,1,1] neg_lo:[0,0,1] neg_hi:[1,0,1]
	global_store_dwordx2 v[6:7], v[4:5], off
.LBB105_17:
	s_or_b64 exec, exec, s[6:7]
	s_mov_b64 s[6:7], 0
.LBB105_18:
	s_andn2_b64 vcc, exec, s[6:7]
	s_cbranch_vccnz .LBB105_34
; %bb.19:
	v_cmp_ge_u32_e32 vcc, v0, v2
	s_and_saveexec_b64 s[6:7], vcc
	s_xor_b64 s[6:7], exec, s[6:7]
	s_cbranch_execz .LBB105_21
; %bb.20:
	s_waitcnt vmcnt(0)
	v_mad_u64_u32 v[4:5], s[8:9], v2, s22, 0
	s_ashr_i32 s4, s22, 31
	v_mov_b32_e32 v6, v5
	v_mad_u64_u32 v[2:3], s[8:9], v2, s4, v[6:7]
	v_mov_b32_e32 v5, v2
	v_lshlrev_b64 v[2:3], 3, v[4:5]
	v_mov_b32_e32 v1, 0
	v_mov_b32_e32 v4, s15
	v_add_co_u32_e32 v5, vcc, s14, v2
	v_addc_co_u32_e32 v4, vcc, v4, v3, vcc
	v_lshlrev_b64 v[2:3], 3, v[0:1]
	v_add_co_u32_e32 v2, vcc, v5, v2
	v_addc_co_u32_e32 v3, vcc, v4, v3, vcc
	v_mov_b32_e32 v0, v1
	global_store_dwordx2 v[2:3], v[0:1], off
                                        ; implicit-def: $vgpr2_vgpr3
                                        ; implicit-def: $vgpr0
.LBB105_21:
	s_andn2_saveexec_b64 s[6:7], s[6:7]
	s_cbranch_execz .LBB105_33
; %bb.22:
	v_lshlrev_b64 v[6:7], 3, v[2:3]
	v_mov_b32_e32 v1, s17
	s_waitcnt vmcnt(0)
	v_add_co_u32_e32 v4, vcc, s16, v6
	v_addc_co_u32_e32 v5, vcc, v1, v7, vcc
	global_load_dwordx2 v[4:5], v[4:5], off
	v_cndmask_b32_e64 v1, 0, 1, s[0:1]
	s_cmpk_lg_i32 s5, 0xb5
	s_mov_b64 s[4:5], -1
	v_cmp_ne_u32_e64 s[0:1], 1, v1
	s_cbranch_scc0 .LBB105_28
; %bb.23:
	v_mov_b32_e32 v1, 0
	s_and_b64 vcc, exec, s[0:1]
	v_lshlrev_b64 v[8:9], 3, v[0:1]
	s_cbranch_vccnz .LBB105_25
; %bb.24:
	v_mad_u64_u32 v[10:11], s[4:5], v2, s3, 0
	s_ashr_i32 s8, s3, 31
	v_mov_b32_e32 v12, v11
	v_mad_u64_u32 v[12:13], s[4:5], v2, s8, v[12:13]
	v_mov_b32_e32 v11, v12
	v_lshlrev_b64 v[10:11], 3, v[10:11]
	v_mov_b32_e32 v1, s12
	v_add_co_u32_e32 v3, vcc, s2, v10
	v_addc_co_u32_e32 v1, vcc, v1, v11, vcc
	v_add_co_u32_e32 v10, vcc, v3, v8
	v_addc_co_u32_e32 v11, vcc, v1, v9, vcc
	global_load_dwordx2 v[10:11], v[10:11], off
	v_mad_u64_u32 v[12:13], s[4:5], v2, s22, 0
	s_ashr_i32 s8, s22, 31
	v_mov_b32_e32 v16, v13
	v_mad_u64_u32 v[16:17], s[4:5], v2, s8, v[16:17]
	v_mov_b32_e32 v13, v16
	v_lshlrev_b64 v[12:13], 3, v[12:13]
	v_mov_b32_e32 v1, s15
	v_add_co_u32_e32 v3, vcc, s14, v12
	s_waitcnt vmcnt(1)
	v_mov_b32_e32 v14, v5
	v_addc_co_u32_e32 v1, vcc, v1, v13, vcc
	v_add_co_u32_e32 v12, vcc, v3, v8
	v_addc_co_u32_e32 v13, vcc, v1, v9, vcc
	s_mov_b64 s[4:5], 0
	s_waitcnt vmcnt(0)
	v_pk_mul_f32 v[14:15], v[14:15], v[10:11] op_sel_hi:[0,1] neg_lo:[1,0]
	v_pk_fma_f32 v[10:11], v[4:5], v[10:11], v[14:15] op_sel:[0,0,1] op_sel_hi:[0,1,0] neg_lo:[1,0,0] neg_hi:[1,0,0]
	global_store_dwordx2 v[12:13], v[10:11], off
.LBB105_25:
	s_andn2_b64 vcc, exec, s[4:5]
	s_cbranch_vccnz .LBB105_27
; %bb.26:
	v_mad_u64_u32 v[10:11], s[4:5], v2, s22, 0
	s_ashr_i32 s8, s22, 31
	v_mov_b32_e32 v12, v11
	v_mad_u64_u32 v[12:13], s[4:5], v2, s8, v[12:13]
	v_mov_b32_e32 v11, v12
	v_lshlrev_b64 v[10:11], 3, v[10:11]
	v_mad_u64_u32 v[12:13], s[4:5], v2, s3, 0
	v_mov_b32_e32 v1, s15
	v_add_co_u32_e32 v3, vcc, s14, v10
	s_ashr_i32 s8, s3, 31
	v_mov_b32_e32 v14, v13
	v_addc_co_u32_e32 v1, vcc, v1, v11, vcc
	v_mad_u64_u32 v[14:15], s[4:5], v2, s8, v[14:15]
	v_add_co_u32_e32 v10, vcc, v3, v8
	v_mov_b32_e32 v13, v14
	v_addc_co_u32_e32 v11, vcc, v1, v9, vcc
	v_lshlrev_b64 v[12:13], 3, v[12:13]
	v_mov_b32_e32 v1, s12
	v_add_co_u32_e32 v3, vcc, s2, v12
	v_addc_co_u32_e32 v1, vcc, v1, v13, vcc
	v_add_co_u32_e32 v8, vcc, v3, v8
	v_addc_co_u32_e32 v9, vcc, v1, v9, vcc
	global_load_dwordx2 v[12:13], v[10:11], off
	global_load_dwordx2 v[14:15], v[8:9], off
	s_waitcnt vmcnt(2)
	v_mov_b32_e32 v8, v5
	s_waitcnt vmcnt(0)
	v_pk_add_f32 v[12:13], v[14:15], v[12:13]
	v_pk_mul_f32 v[14:15], v[4:5], v[12:13] op_sel_hi:[0,1]
	v_pk_fma_f32 v[8:9], v[8:9], v[12:13], v[14:15] op_sel:[0,0,1] op_sel_hi:[0,1,0] neg_lo:[1,0,1] neg_hi:[0,0,1]
	v_mov_b32_e32 v12, v9
	v_mov_b32_e32 v13, v8
	global_store_dwordx2 v[10:11], v[12:13], off
.LBB105_27:
	s_mov_b64 s[4:5], 0
.LBB105_28:
	s_andn2_b64 vcc, exec, s[4:5]
	s_cbranch_vccnz .LBB105_33
; %bb.29:
	v_mov_b32_e32 v1, 0
	s_mov_b64 s[4:5], -1
	s_and_b64 vcc, exec, s[0:1]
	v_lshlrev_b64 v[8:9], 3, v[0:1]
	s_cbranch_vccnz .LBB105_31
; %bb.30:
	v_mad_u64_u32 v[10:11], s[0:1], v0, s3, 0
	s_ashr_i32 s4, s3, 31
	v_mov_b32_e32 v12, v11
	v_mad_u64_u32 v[12:13], s[0:1], v0, s4, v[12:13]
	v_mov_b32_e32 v11, v12
	v_lshlrev_b64 v[10:11], 3, v[10:11]
	v_mov_b32_e32 v1, s12
	v_add_co_u32_e32 v3, vcc, s2, v10
	v_addc_co_u32_e32 v1, vcc, v1, v11, vcc
	v_add_co_u32_e32 v10, vcc, v3, v6
	v_addc_co_u32_e32 v11, vcc, v1, v7, vcc
	global_load_dwordx2 v[10:11], v[10:11], off
	v_mad_u64_u32 v[12:13], s[0:1], v2, s22, 0
	s_ashr_i32 s4, s22, 31
	v_mov_b32_e32 v16, v13
	v_mad_u64_u32 v[16:17], s[0:1], v2, s4, v[16:17]
	v_mov_b32_e32 v13, v16
	v_lshlrev_b64 v[12:13], 3, v[12:13]
	v_mov_b32_e32 v1, s15
	v_add_co_u32_e32 v3, vcc, s14, v12
	s_waitcnt vmcnt(1)
	v_mov_b32_e32 v14, v5
	v_addc_co_u32_e32 v1, vcc, v1, v13, vcc
	v_add_co_u32_e32 v12, vcc, v3, v8
	v_addc_co_u32_e32 v13, vcc, v1, v9, vcc
	s_mov_b64 s[4:5], 0
	s_waitcnt vmcnt(0)
	v_pk_mul_f32 v[14:15], v[14:15], v[10:11] op_sel_hi:[0,1]
	v_pk_fma_f32 v[10:11], v[10:11], v[4:5], v[14:15] op_sel:[0,0,1] op_sel_hi:[1,0,0] neg_lo:[0,1,1] neg_hi:[0,0,1]
	global_store_dwordx2 v[12:13], v[10:11], off
.LBB105_31:
	s_andn2_b64 vcc, exec, s[4:5]
	s_cbranch_vccnz .LBB105_33
; %bb.32:
	v_mad_u64_u32 v[10:11], s[0:1], v2, s22, 0
	s_ashr_i32 s4, s22, 31
	v_mov_b32_e32 v12, v11
	v_mad_u64_u32 v[2:3], s[0:1], v2, s4, v[12:13]
	v_mov_b32_e32 v11, v2
	v_lshlrev_b64 v[2:3], 3, v[10:11]
	v_mov_b32_e32 v1, s15
	v_add_co_u32_e32 v2, vcc, s14, v2
	v_addc_co_u32_e32 v1, vcc, v1, v3, vcc
	v_add_co_u32_e32 v2, vcc, v2, v8
	v_addc_co_u32_e32 v3, vcc, v1, v9, vcc
	v_mad_u64_u32 v[8:9], s[0:1], v0, s3, 0
	s_ashr_i32 s4, s3, 31
	v_mov_b32_e32 v10, v9
	v_mad_u64_u32 v[0:1], s[0:1], v0, s4, v[10:11]
	v_mov_b32_e32 v9, v0
	v_lshlrev_b64 v[0:1], 3, v[8:9]
	v_mov_b32_e32 v8, s12
	v_add_co_u32_e32 v0, vcc, s2, v0
	v_addc_co_u32_e32 v1, vcc, v8, v1, vcc
	v_add_co_u32_e32 v0, vcc, v0, v6
	v_addc_co_u32_e32 v1, vcc, v1, v7, vcc
	global_load_dwordx2 v[6:7], v[2:3], off
	global_load_dwordx2 v[8:9], v[0:1], off
	s_waitcnt vmcnt(2)
	v_mov_b32_e32 v0, v5
	s_waitcnt vmcnt(0)
	v_pk_add_f32 v[10:11], v[6:7], v[8:9] op_sel:[1,1] op_sel_hi:[0,0] neg_lo:[0,1] neg_hi:[0,1]
	v_pk_add_f32 v[6:7], v[8:9], v[6:7] op_sel:[1,1] op_sel_hi:[0,0]
	v_mov_b32_e32 v11, v7
	v_mov_b32_e32 v6, v7
	;; [unrolled: 1-line block ×3, first 2 shown]
	v_pk_mul_f32 v[4:5], v[4:5], v[6:7] op_sel_hi:[0,1]
	v_pk_fma_f32 v[0:1], v[0:1], v[10:11], v[4:5] op_sel_hi:[0,1,1] neg_lo:[0,0,1] neg_hi:[1,0,1]
	global_store_dwordx2 v[2:3], v[0:1], off
.LBB105_33:
	s_or_b64 exec, exec, s[6:7]
                                        ; implicit-def: $vgpr2
.LBB105_34:
	s_andn2_saveexec_b64 s[0:1], s[10:11]
	s_cbranch_execz .LBB105_36
; %bb.35:
	v_mov_b32_e32 v3, 0
	v_lshlrev_b64 v[0:1], 3, v[2:3]
	v_mov_b32_e32 v3, s17
	s_waitcnt vmcnt(0)
	v_add_co_u32_e32 v4, vcc, s16, v0
	v_addc_co_u32_e32 v5, vcc, v3, v1, vcc
	global_load_dwordx2 v[4:5], v[4:5], off
	v_mad_u64_u32 v[6:7], s[0:1], v2, s22, 0
	s_ashr_i32 s2, s22, 31
	v_mov_b32_e32 v8, v7
	v_mad_u64_u32 v[2:3], s[0:1], v2, s2, v[8:9]
	v_mov_b32_e32 v7, v2
	v_lshlrev_b64 v[2:3], 3, v[6:7]
	v_mov_b32_e32 v6, s15
	v_add_co_u32_e32 v2, vcc, s14, v2
	v_addc_co_u32_e32 v3, vcc, v6, v3, vcc
	v_add_co_u32_e32 v0, vcc, v2, v0
	v_addc_co_u32_e32 v1, vcc, v3, v1, vcc
	s_waitcnt vmcnt(0)
	global_store_dwordx2 v[0:1], v[4:5], off
.LBB105_36:
	s_endpgm
	.section	.rodata,"a",@progbits
	.p2align	6, 0x0
	.amdhsa_kernel _ZN9rocsolver6v33100L14set_triangularI19rocblas_complex_numIfEPS3_TnNSt9enable_ifIX18rocblas_is_complexIT_EEiE4typeELi0EEEviiT0_iilPS6_lSA_il15rocblas_direct_15rocblas_storev_b
		.amdhsa_group_segment_fixed_size 0
		.amdhsa_private_segment_fixed_size 0
		.amdhsa_kernarg_size 344
		.amdhsa_user_sgpr_count 6
		.amdhsa_user_sgpr_private_segment_buffer 1
		.amdhsa_user_sgpr_dispatch_ptr 0
		.amdhsa_user_sgpr_queue_ptr 0
		.amdhsa_user_sgpr_kernarg_segment_ptr 1
		.amdhsa_user_sgpr_dispatch_id 0
		.amdhsa_user_sgpr_flat_scratch_init 0
		.amdhsa_user_sgpr_kernarg_preload_length 0
		.amdhsa_user_sgpr_kernarg_preload_offset 0
		.amdhsa_user_sgpr_private_segment_size 0
		.amdhsa_uses_dynamic_stack 0
		.amdhsa_system_sgpr_private_segment_wavefront_offset 0
		.amdhsa_system_sgpr_workgroup_id_x 1
		.amdhsa_system_sgpr_workgroup_id_y 1
		.amdhsa_system_sgpr_workgroup_id_z 1
		.amdhsa_system_sgpr_workgroup_info 0
		.amdhsa_system_vgpr_workitem_id 1
		.amdhsa_next_free_vgpr 18
		.amdhsa_next_free_sgpr 23
		.amdhsa_accum_offset 20
		.amdhsa_reserve_vcc 1
		.amdhsa_reserve_flat_scratch 0
		.amdhsa_float_round_mode_32 0
		.amdhsa_float_round_mode_16_64 0
		.amdhsa_float_denorm_mode_32 3
		.amdhsa_float_denorm_mode_16_64 3
		.amdhsa_dx10_clamp 1
		.amdhsa_ieee_mode 1
		.amdhsa_fp16_overflow 0
		.amdhsa_tg_split 0
		.amdhsa_exception_fp_ieee_invalid_op 0
		.amdhsa_exception_fp_denorm_src 0
		.amdhsa_exception_fp_ieee_div_zero 0
		.amdhsa_exception_fp_ieee_overflow 0
		.amdhsa_exception_fp_ieee_underflow 0
		.amdhsa_exception_fp_ieee_inexact 0
		.amdhsa_exception_int_div_zero 0
	.end_amdhsa_kernel
	.section	.text._ZN9rocsolver6v33100L14set_triangularI19rocblas_complex_numIfEPS3_TnNSt9enable_ifIX18rocblas_is_complexIT_EEiE4typeELi0EEEviiT0_iilPS6_lSA_il15rocblas_direct_15rocblas_storev_b,"axG",@progbits,_ZN9rocsolver6v33100L14set_triangularI19rocblas_complex_numIfEPS3_TnNSt9enable_ifIX18rocblas_is_complexIT_EEiE4typeELi0EEEviiT0_iilPS6_lSA_il15rocblas_direct_15rocblas_storev_b,comdat
.Lfunc_end105:
	.size	_ZN9rocsolver6v33100L14set_triangularI19rocblas_complex_numIfEPS3_TnNSt9enable_ifIX18rocblas_is_complexIT_EEiE4typeELi0EEEviiT0_iilPS6_lSA_il15rocblas_direct_15rocblas_storev_b, .Lfunc_end105-_ZN9rocsolver6v33100L14set_triangularI19rocblas_complex_numIfEPS3_TnNSt9enable_ifIX18rocblas_is_complexIT_EEiE4typeELi0EEEviiT0_iilPS6_lSA_il15rocblas_direct_15rocblas_storev_b
                                        ; -- End function
	.section	.AMDGPU.csdata,"",@progbits
; Kernel info:
; codeLenInByte = 2324
; NumSgprs: 27
; NumVgprs: 18
; NumAgprs: 0
; TotalNumVgprs: 18
; ScratchSize: 0
; MemoryBound: 0
; FloatMode: 240
; IeeeMode: 1
; LDSByteSize: 0 bytes/workgroup (compile time only)
; SGPRBlocks: 3
; VGPRBlocks: 2
; NumSGPRsForWavesPerEU: 27
; NumVGPRsForWavesPerEU: 18
; AccumOffset: 20
; Occupancy: 8
; WaveLimiterHint : 0
; COMPUTE_PGM_RSRC2:SCRATCH_EN: 0
; COMPUTE_PGM_RSRC2:USER_SGPR: 6
; COMPUTE_PGM_RSRC2:TRAP_HANDLER: 0
; COMPUTE_PGM_RSRC2:TGID_X_EN: 1
; COMPUTE_PGM_RSRC2:TGID_Y_EN: 1
; COMPUTE_PGM_RSRC2:TGID_Z_EN: 1
; COMPUTE_PGM_RSRC2:TIDIG_COMP_CNT: 1
; COMPUTE_PGM_RSRC3_GFX90A:ACCUM_OFFSET: 4
; COMPUTE_PGM_RSRC3_GFX90A:TG_SPLIT: 0
	.section	.text._ZN9rocsolver6v33100L7set_tauI19rocblas_complex_numIfEEEviPT_l,"axG",@progbits,_ZN9rocsolver6v33100L7set_tauI19rocblas_complex_numIfEEEviPT_l,comdat
	.globl	_ZN9rocsolver6v33100L7set_tauI19rocblas_complex_numIfEEEviPT_l ; -- Begin function _ZN9rocsolver6v33100L7set_tauI19rocblas_complex_numIfEEEviPT_l
	.p2align	8
	.type	_ZN9rocsolver6v33100L7set_tauI19rocblas_complex_numIfEEEviPT_l,@function
_ZN9rocsolver6v33100L7set_tauI19rocblas_complex_numIfEEEviPT_l: ; @_ZN9rocsolver6v33100L7set_tauI19rocblas_complex_numIfEEEviPT_l
; %bb.0:
	s_load_dword s0, s[4:5], 0x24
	s_load_dword s1, s[4:5], 0x0
	s_waitcnt lgkmcnt(0)
	s_and_b32 s0, s0, 0xffff
	s_mul_i32 s6, s6, s0
	v_add_u32_e32 v0, s6, v0
	v_cmp_gt_u32_e32 vcc, s1, v0
	s_and_saveexec_b64 s[0:1], vcc
	s_cbranch_execz .LBB106_2
; %bb.1:
	s_load_dwordx4 s[0:3], s[4:5], 0x8
	v_mov_b32_e32 v1, 0
	v_lshlrev_b64 v[0:1], 3, v[0:1]
	s_waitcnt lgkmcnt(0)
	s_mul_i32 s3, s7, s3
	s_mul_hi_u32 s4, s7, s2
	s_mul_i32 s2, s7, s2
	s_add_i32 s3, s4, s3
	s_lshl_b64 s[2:3], s[2:3], 3
	s_add_u32 s0, s0, s2
	s_addc_u32 s1, s1, s3
	v_mov_b32_e32 v2, s1
	v_add_co_u32_e32 v0, vcc, s0, v0
	v_addc_co_u32_e32 v1, vcc, v2, v1, vcc
	global_load_dwordx2 v[2:3], v[0:1], off
	s_waitcnt vmcnt(0)
	v_pk_add_f32 v[2:3], v[2:3], 0 neg_lo:[1,1] neg_hi:[1,1]
	global_store_dwordx2 v[0:1], v[2:3], off
.LBB106_2:
	s_endpgm
	.section	.rodata,"a",@progbits
	.p2align	6, 0x0
	.amdhsa_kernel _ZN9rocsolver6v33100L7set_tauI19rocblas_complex_numIfEEEviPT_l
		.amdhsa_group_segment_fixed_size 0
		.amdhsa_private_segment_fixed_size 0
		.amdhsa_kernarg_size 280
		.amdhsa_user_sgpr_count 6
		.amdhsa_user_sgpr_private_segment_buffer 1
		.amdhsa_user_sgpr_dispatch_ptr 0
		.amdhsa_user_sgpr_queue_ptr 0
		.amdhsa_user_sgpr_kernarg_segment_ptr 1
		.amdhsa_user_sgpr_dispatch_id 0
		.amdhsa_user_sgpr_flat_scratch_init 0
		.amdhsa_user_sgpr_kernarg_preload_length 0
		.amdhsa_user_sgpr_kernarg_preload_offset 0
		.amdhsa_user_sgpr_private_segment_size 0
		.amdhsa_uses_dynamic_stack 0
		.amdhsa_system_sgpr_private_segment_wavefront_offset 0
		.amdhsa_system_sgpr_workgroup_id_x 1
		.amdhsa_system_sgpr_workgroup_id_y 1
		.amdhsa_system_sgpr_workgroup_id_z 0
		.amdhsa_system_sgpr_workgroup_info 0
		.amdhsa_system_vgpr_workitem_id 0
		.amdhsa_next_free_vgpr 4
		.amdhsa_next_free_sgpr 8
		.amdhsa_accum_offset 4
		.amdhsa_reserve_vcc 1
		.amdhsa_reserve_flat_scratch 0
		.amdhsa_float_round_mode_32 0
		.amdhsa_float_round_mode_16_64 0
		.amdhsa_float_denorm_mode_32 3
		.amdhsa_float_denorm_mode_16_64 3
		.amdhsa_dx10_clamp 1
		.amdhsa_ieee_mode 1
		.amdhsa_fp16_overflow 0
		.amdhsa_tg_split 0
		.amdhsa_exception_fp_ieee_invalid_op 0
		.amdhsa_exception_fp_denorm_src 0
		.amdhsa_exception_fp_ieee_div_zero 0
		.amdhsa_exception_fp_ieee_overflow 0
		.amdhsa_exception_fp_ieee_underflow 0
		.amdhsa_exception_fp_ieee_inexact 0
		.amdhsa_exception_int_div_zero 0
	.end_amdhsa_kernel
	.section	.text._ZN9rocsolver6v33100L7set_tauI19rocblas_complex_numIfEEEviPT_l,"axG",@progbits,_ZN9rocsolver6v33100L7set_tauI19rocblas_complex_numIfEEEviPT_l,comdat
.Lfunc_end106:
	.size	_ZN9rocsolver6v33100L7set_tauI19rocblas_complex_numIfEEEviPT_l, .Lfunc_end106-_ZN9rocsolver6v33100L7set_tauI19rocblas_complex_numIfEEEviPT_l
                                        ; -- End function
	.section	.AMDGPU.csdata,"",@progbits
; Kernel info:
; codeLenInByte = 144
; NumSgprs: 12
; NumVgprs: 4
; NumAgprs: 0
; TotalNumVgprs: 4
; ScratchSize: 0
; MemoryBound: 0
; FloatMode: 240
; IeeeMode: 1
; LDSByteSize: 0 bytes/workgroup (compile time only)
; SGPRBlocks: 1
; VGPRBlocks: 0
; NumSGPRsForWavesPerEU: 12
; NumVGPRsForWavesPerEU: 4
; AccumOffset: 4
; Occupancy: 8
; WaveLimiterHint : 0
; COMPUTE_PGM_RSRC2:SCRATCH_EN: 0
; COMPUTE_PGM_RSRC2:USER_SGPR: 6
; COMPUTE_PGM_RSRC2:TRAP_HANDLER: 0
; COMPUTE_PGM_RSRC2:TGID_X_EN: 1
; COMPUTE_PGM_RSRC2:TGID_Y_EN: 1
; COMPUTE_PGM_RSRC2:TGID_Z_EN: 0
; COMPUTE_PGM_RSRC2:TIDIG_COMP_CNT: 0
; COMPUTE_PGM_RSRC3_GFX90A:ACCUM_OFFSET: 0
; COMPUTE_PGM_RSRC3_GFX90A:TG_SPLIT: 0
	.section	.text._ZN9rocsolver6v33100L20larft_kernel_forwardI19rocblas_complex_numIfEPS3_EEv15rocblas_storev_iiT0_iilPT_lS8_il,"axG",@progbits,_ZN9rocsolver6v33100L20larft_kernel_forwardI19rocblas_complex_numIfEPS3_EEv15rocblas_storev_iiT0_iilPT_lS8_il,comdat
	.globl	_ZN9rocsolver6v33100L20larft_kernel_forwardI19rocblas_complex_numIfEPS3_EEv15rocblas_storev_iiT0_iilPT_lS8_il ; -- Begin function _ZN9rocsolver6v33100L20larft_kernel_forwardI19rocblas_complex_numIfEPS3_EEv15rocblas_storev_iiT0_iilPT_lS8_il
	.p2align	8
	.type	_ZN9rocsolver6v33100L20larft_kernel_forwardI19rocblas_complex_numIfEPS3_EEv15rocblas_storev_iiT0_iilPT_lS8_il,@function
_ZN9rocsolver6v33100L20larft_kernel_forwardI19rocblas_complex_numIfEPS3_EEv15rocblas_storev_iiT0_iilPT_lS8_il: ; @_ZN9rocsolver6v33100L20larft_kernel_forwardI19rocblas_complex_numIfEPS3_EEv15rocblas_storev_iiT0_iilPT_lS8_il
; %bb.0:
	s_load_dword s2, s[4:5], 0x5c
	s_load_dword s33, s[4:5], 0x40
	s_load_dwordx2 s[0:1], s[4:5], 0x48
	s_load_dwordx4 s[16:19], s[4:5], 0x0
	s_load_dwordx8 s[8:15], s[4:5], 0x20
	s_waitcnt lgkmcnt(0)
	s_and_b32 s19, s2, 0xffff
	s_ashr_i32 s6, s7, 31
	s_mul_i32 s1, s7, s1
	s_mul_hi_u32 s2, s7, s0
	s_add_i32 s1, s2, s1
	s_mul_i32 s2, s6, s0
	s_add_i32 s1, s1, s2
	s_mul_i32 s0, s7, s0
	s_lshl_b64 s[0:1], s[0:1], 3
	s_add_u32 s36, s14, s0
	s_addc_u32 s37, s15, s1
	v_cmp_gt_i32_e64 s[0:1], s18, v0
	v_lshlrev_b32_e32 v1, 3, v0
	s_and_saveexec_b64 s[2:3], s[0:1]
	s_cbranch_execz .LBB107_5
; %bb.1:
	v_add_u32_e32 v2, 8, v1
	v_mul_lo_u32 v2, s18, v2
	s_lshl_b32 s22, s18, 3
	v_add3_u32 v6, v2, v1, 0
	s_add_i32 s23, s22, 8
	s_add_i32 s24, s33, 1
	v_mad_u64_u32 v[2:3], s[14:15], v0, s33, v[0:1]
	s_mul_i32 s23, s23, s19
	s_mul_i32 s24, s24, s19
	s_mov_b64 s[14:15], 0
	v_mov_b32_e32 v3, s37
	v_mov_b32_e32 v7, v0
.LBB107_2:                              ; =>This Loop Header: Depth=1
                                        ;     Child Loop BB107_3 Depth 2
	s_mov_b64 s[20:21], 0
	v_mov_b32_e32 v4, v2
	v_mov_b32_e32 v8, v6
	;; [unrolled: 1-line block ×3, first 2 shown]
.LBB107_3:                              ;   Parent Loop BB107_2 Depth=1
                                        ; =>  This Inner Loop Header: Depth=2
	v_ashrrev_i32_e32 v5, 31, v4
	v_lshlrev_b64 v[10:11], 3, v[4:5]
	v_add_co_u32_e32 v10, vcc, s36, v10
	v_addc_co_u32_e32 v11, vcc, v3, v11, vcc
	global_load_dwordx2 v[10:11], v[10:11], off
	v_add_u32_e32 v9, 1, v9
	v_cmp_le_i32_e32 vcc, s18, v9
	v_add_u32_e32 v4, s33, v4
	s_or_b64 s[20:21], vcc, s[20:21]
	s_waitcnt vmcnt(0)
	ds_write_b64 v8, v[10:11]
	v_add_u32_e32 v8, s22, v8
	s_andn2_b64 exec, exec, s[20:21]
	s_cbranch_execnz .LBB107_3
; %bb.4:                                ;   in Loop: Header=BB107_2 Depth=1
	s_or_b64 exec, exec, s[20:21]
	v_add_u32_e32 v7, s19, v7
	v_cmp_le_i32_e32 vcc, s18, v7
	v_add_u32_e32 v6, s23, v6
	s_or_b64 s[14:15], vcc, s[14:15]
	v_add_u32_e32 v2, s24, v2
	s_andn2_b64 exec, exec, s[14:15]
	s_cbranch_execnz .LBB107_2
.LBB107_5:
	s_or_b64 exec, exec, s[2:3]
	s_cmp_lt_i32 s18, 2
	s_waitcnt lgkmcnt(0)
	s_barrier
	s_cbranch_scc1 .LBB107_29
; %bb.6:
	s_load_dwordx4 s[20:23], s[4:5], 0x10
	s_mul_i32 s2, s7, s13
	s_mul_hi_u32 s3, s7, s12
	s_add_i32 s4, s3, s2
	s_mul_i32 s5, s6, s12
	s_add_i32 s5, s4, s5
	s_mul_i32 s4, s7, s12
	s_waitcnt lgkmcnt(0)
	s_ashr_i32 s3, s22, 31
	s_lshl_b64 s[4:5], s[4:5], 3
	s_mov_b32 s2, s22
	s_add_u32 s22, s10, s4
	s_addc_u32 s38, s11, s5
	s_lshl_b32 s39, s18, 3
	s_add_i32 s40, s39, 0
	s_cmpk_lg_i32 s16, 0xb5
	s_mul_i32 s4, s8, s6
	s_mul_hi_u32 s6, s8, s7
	s_cselect_b64 s[10:11], -1, 0
	s_add_i32 s4, s6, s4
	s_mul_i32 s6, s9, s7
	s_add_i32 s9, s4, s6
	s_mul_i32 s8, s8, s7
	s_lshl_b64 s[12:13], s[8:9], 3
	s_add_u32 s16, s12, 8
	s_addc_u32 s41, s13, 0
	s_lshl_b64 s[2:3], s[2:3], 3
	s_add_u32 s42, s20, s2
	s_addc_u32 s43, s21, s3
	s_ashr_i32 s9, s23, 31
	s_mov_b32 s8, s23
	s_lshl_b32 s6, s23, 1
	s_lshl_b64 s[8:9], s[8:9], 3
	s_lshl_b32 s44, s19, 3
	s_add_u32 s2, s12, s2
	s_addc_u32 s3, s13, s3
	s_add_u32 s2, s2, s20
	s_addc_u32 s3, s3, s21
	v_add_co_u32_e32 v2, vcc, s12, v1
	s_add_u32 s12, s2, 16
	v_add_u32_e32 v4, 8, v1
	s_mov_b32 s5, 0
	v_mov_b32_e32 v3, s13
	s_addc_u32 s13, s3, 0
	v_mul_lo_u32 v4, s18, v4
	s_add_i32 s47, s39, 8
	s_mov_b32 s4, 1
	v_addc_co_u32_e32 v3, vcc, 0, v3, vcc
	s_mov_b32 s45, s5
	v_mul_lo_u32 v10, v0, s23
	s_mul_i32 s46, s23, s19
	v_add3_u32 v11, v4, v1, 0
	s_mul_i32 s47, s47, s19
	v_add_u32_e32 v12, 0, v1
	s_mov_b32 s14, s23
	s_branch .LBB107_8
.LBB107_7:                              ;   in Loop: Header=BB107_8 Depth=1
	s_or_b64 exec, exec, s[2:3]
	s_add_i32 s4, s4, 1
	s_add_u32 s16, s16, 8
	s_addc_u32 s41, s41, 0
	s_add_i32 s6, s6, s23
	s_add_u32 s12, s12, 8
	s_addc_u32 s13, s13, 0
	s_add_i32 s14, s14, s23
	s_cmp_eq_u32 s4, s18
	s_waitcnt lgkmcnt(0)
	s_barrier
	s_cbranch_scc1 .LBB107_29
.LBB107_8:                              ; =>This Loop Header: Depth=1
                                        ;     Child Loop BB107_12 Depth 2
                                        ;       Child Loop BB107_14 Depth 3
                                        ;     Child Loop BB107_20 Depth 2
                                        ;       Child Loop BB107_22 Depth 3
	;; [unrolled: 2-line block ×3, first 2 shown]
	s_mul_i32 s2, s4, s18
	s_not_b32 s49, s4
	s_lshl_b32 s2, s2, 3
	s_add_i32 s49, s49, s17
	s_add_i32 s48, s40, s2
	s_mov_b64 s[20:21], -1
	s_and_b64 vcc, exec, s[10:11]
	v_cmp_gt_u32_e64 s[2:3], s4, v0
	s_cbranch_vccz .LBB107_16
; %bb.9:                                ;   in Loop: Header=BB107_8 Depth=1
	s_and_saveexec_b64 s[20:21], s[2:3]
	s_cbranch_execz .LBB107_15
; %bb.10:                               ;   in Loop: Header=BB107_8 Depth=1
	s_ashr_i32 s7, s6, 31
	s_lshl_b64 s[2:3], s[6:7], 3
	s_add_u32 s2, s42, s2
	s_addc_u32 s3, s43, s3
	s_cmp_gt_i32 s49, 0
	s_cselect_b64 s[24:25], -1, 0
	s_lshl_b64 s[26:27], s[4:5], 3
	s_add_u32 s26, s22, s26
	s_addc_u32 s27, s38, s27
	s_load_dwordx2 s[26:27], s[26:27], 0x0
	s_mov_b64 s[28:29], 0
	v_pk_mov_b32 v[4:5], v[2:3], v[2:3] op_sel:[0,1]
	v_mov_b32_e32 v8, v0
	s_waitcnt lgkmcnt(0)
	s_mov_b32 s30, s26
	s_mov_b32 s31, s26
	;; [unrolled: 1-line block ×3, first 2 shown]
	s_branch .LBB107_12
.LBB107_11:                             ;   in Loop: Header=BB107_12 Depth=2
	v_lshlrev_b32_e32 v9, 3, v8
	v_add_u32_e32 v13, s48, v9
	ds_read_b64 v[16:17], v13
	v_pk_mul_f32 v[14:15], v[6:7], s[26:27]
	v_pk_fma_f32 v[18:19], v[6:7], s[30:31], v[14:15] op_sel:[0,0,1] op_sel_hi:[1,1,0] neg_lo:[0,0,1] neg_hi:[0,0,1]
	v_pk_fma_f32 v[6:7], v[6:7], s[30:31], v[14:15] op_sel:[0,0,1] op_sel_hi:[1,1,0]
	v_mov_b32_e32 v19, v7
	v_add_u32_e32 v8, s19, v8
	v_add_u32_e32 v9, 0, v9
	s_waitcnt lgkmcnt(0)
	v_pk_add_f32 v[6:7], v[16:17], v[18:19]
	v_cmp_le_u32_e32 vcc, s4, v8
	ds_write_b64 v9, v[6:7]
	v_mov_b32_e32 v6, s45
	s_or_b64 s[28:29], vcc, s[28:29]
	v_add_co_u32_e32 v4, vcc, s44, v4
	v_addc_co_u32_e32 v5, vcc, v5, v6, vcc
	s_andn2_b64 exec, exec, s[28:29]
	s_cbranch_execz .LBB107_15
.LBB107_12:                             ;   Parent Loop BB107_8 Depth=1
                                        ; =>  This Loop Header: Depth=2
                                        ;       Child Loop BB107_14 Depth 3
	v_mov_b32_e32 v7, 0
	s_andn2_b64 vcc, exec, s[24:25]
	v_mov_b32_e32 v6, v7
	s_cbranch_vccnz .LBB107_11
; %bb.13:                               ;   in Loop: Header=BB107_12 Depth=2
	v_mov_b32_e32 v6, 0
	s_mov_b32 s7, 0
	s_mov_b64 s[34:35], s[2:3]
	v_mov_b32_e32 v7, v6
.LBB107_14:                             ;   Parent Loop BB107_8 Depth=1
                                        ;     Parent Loop BB107_12 Depth=2
                                        ; =>    This Inner Loop Header: Depth=3
	v_mov_b32_e32 v9, s35
	v_add_co_u32_e32 v14, vcc, s34, v4
	v_addc_co_u32_e32 v15, vcc, v9, v5, vcc
	global_load_dwordx2 v[14:15], v[14:15], off
	s_add_u32 s50, s34, s16
	s_addc_u32 s51, s35, s41
	s_load_dwordx2 s[50:51], s[50:51], 0x0
	s_add_i32 s7, s7, 1
	s_add_u32 s34, s34, s8
	s_addc_u32 s35, s35, s9
	s_cmp_ge_i32 s7, s49
	s_waitcnt vmcnt(0) lgkmcnt(0)
	v_pk_mul_f32 v[16:17], s[50:51], v[14:15] op_sel:[0,1]
	v_pk_fma_f32 v[18:19], s[50:51], v[14:15], v[16:17] op_sel:[0,0,1] op_sel_hi:[1,1,0]
	v_pk_fma_f32 v[14:15], s[50:51], v[14:15], v[16:17] op_sel:[0,0,1] op_sel_hi:[1,0,0] neg_lo:[1,0,0] neg_hi:[1,0,0]
	v_mov_b32_e32 v19, v15
	v_pk_add_f32 v[6:7], v[6:7], v[18:19]
	s_cbranch_scc0 .LBB107_14
	s_branch .LBB107_11
.LBB107_15:                             ;   in Loop: Header=BB107_8 Depth=1
	s_or_b64 exec, exec, s[20:21]
	s_mov_b64 s[20:21], 0
.LBB107_16:                             ;   in Loop: Header=BB107_8 Depth=1
	s_andn2_b64 vcc, exec, s[20:21]
	s_cbranch_vccnz .LBB107_24
; %bb.17:                               ;   in Loop: Header=BB107_8 Depth=1
	v_cmp_gt_u32_e32 vcc, s4, v0
	s_and_saveexec_b64 s[2:3], vcc
	s_cbranch_execz .LBB107_23
; %bb.18:                               ;   in Loop: Header=BB107_8 Depth=1
	s_ashr_i32 s15, s14, 31
	s_lshl_b64 s[20:21], s[14:15], 3
	s_cmp_gt_i32 s49, 0
	s_cselect_b64 s[24:25], -1, 0
	s_lshl_b64 s[26:27], s[4:5], 3
	s_add_u32 s26, s22, s26
	s_addc_u32 s27, s38, s27
	s_load_dwordx2 s[26:27], s[26:27], 0x0
	s_mov_b64 s[28:29], 0
	v_mov_b32_e32 v4, v10
	v_mov_b32_e32 v13, v0
	s_waitcnt lgkmcnt(0)
	s_mov_b32 s30, s26
	s_mov_b32 s31, s26
	;; [unrolled: 1-line block ×3, first 2 shown]
	s_branch .LBB107_20
.LBB107_19:                             ;   in Loop: Header=BB107_20 Depth=2
	v_lshlrev_b32_e32 v5, 3, v13
	v_add_u32_e32 v14, s48, v5
	ds_read_b64 v[14:15], v14
	v_pk_mul_f32 v[8:9], v[6:7], s[26:27]
	v_pk_fma_f32 v[16:17], v[6:7], s[30:31], v[8:9] op_sel:[0,0,1] op_sel_hi:[1,1,0] neg_lo:[0,0,1] neg_hi:[0,0,1]
	v_pk_fma_f32 v[6:7], v[6:7], s[30:31], v[8:9] op_sel:[0,0,1] op_sel_hi:[1,1,0]
	v_add_u32_e32 v13, s19, v13
	v_mov_b32_e32 v17, v7
	v_cmp_le_u32_e32 vcc, s4, v13
	v_add_u32_e32 v5, 0, v5
	s_waitcnt lgkmcnt(0)
	v_pk_add_f32 v[6:7], v[14:15], v[16:17]
	s_or_b64 s[28:29], vcc, s[28:29]
	v_add_u32_e32 v4, s46, v4
	ds_write_b64 v5, v[6:7]
	s_andn2_b64 exec, exec, s[28:29]
	s_cbranch_execz .LBB107_23
.LBB107_20:                             ;   Parent Loop BB107_8 Depth=1
                                        ; =>  This Loop Header: Depth=2
                                        ;       Child Loop BB107_22 Depth 3
	v_mov_b32_e32 v7, 0
	s_andn2_b64 vcc, exec, s[24:25]
	v_mov_b32_e32 v6, v7
	s_cbranch_vccnz .LBB107_19
; %bb.21:                               ;   in Loop: Header=BB107_20 Depth=2
	v_ashrrev_i32_e32 v5, 31, v4
	v_mov_b32_e32 v6, 0
	v_lshlrev_b64 v[8:9], 3, v[4:5]
	s_mov_b32 s7, 0
	s_mov_b64 s[34:35], s[12:13]
	v_mov_b32_e32 v7, v6
.LBB107_22:                             ;   Parent Loop BB107_8 Depth=1
                                        ;     Parent Loop BB107_20 Depth=2
                                        ; =>    This Inner Loop Header: Depth=3
	v_mov_b32_e32 v5, s35
	v_add_co_u32_e32 v14, vcc, s34, v8
	v_addc_co_u32_e32 v15, vcc, v5, v9, vcc
	global_load_dwordx2 v[14:15], v[14:15], off
	s_add_u32 s50, s34, s20
	s_addc_u32 s51, s35, s21
	s_load_dwordx2 s[50:51], s[50:51], 0x0
	s_add_i32 s7, s7, 1
	s_add_u32 s34, s34, 8
	s_addc_u32 s35, s35, 0
	s_cmp_ge_i32 s7, s49
	s_waitcnt vmcnt(0) lgkmcnt(0)
	v_pk_mul_f32 v[16:17], v[14:15], s[50:51] op_sel:[1,0]
	v_pk_fma_f32 v[18:19], v[14:15], s[50:51], v[16:17] op_sel:[0,0,1] op_sel_hi:[1,1,0]
	v_pk_fma_f32 v[14:15], v[14:15], s[50:51], v[16:17] op_sel:[0,0,1] op_sel_hi:[0,1,0] neg_lo:[0,0,1] neg_hi:[0,0,1]
	v_mov_b32_e32 v19, v15
	v_pk_add_f32 v[6:7], v[6:7], v[18:19]
	s_cbranch_scc0 .LBB107_22
	s_branch .LBB107_19
.LBB107_23:                             ;   in Loop: Header=BB107_8 Depth=1
	s_or_b64 exec, exec, s[2:3]
.LBB107_24:                             ;   in Loop: Header=BB107_8 Depth=1
	v_cmp_gt_u32_e32 vcc, s4, v0
	s_waitcnt lgkmcnt(0)
	s_barrier
	s_and_saveexec_b64 s[2:3], vcc
	s_cbranch_execz .LBB107_7
; %bb.25:                               ;   in Loop: Header=BB107_8 Depth=1
	s_mov_b64 s[20:21], 0
	v_mov_b32_e32 v6, v12
	v_mov_b32_e32 v7, v11
	;; [unrolled: 1-line block ×3, first 2 shown]
.LBB107_26:                             ;   Parent Loop BB107_8 Depth=1
                                        ; =>  This Loop Header: Depth=2
                                        ;       Child Loop BB107_27 Depth 3
	v_mov_b32_e32 v4, 0
	s_mov_b64 s[24:25], 0
	v_mov_b32_e32 v9, v6
	v_mov_b32_e32 v13, v7
	;; [unrolled: 1-line block ×4, first 2 shown]
.LBB107_27:                             ;   Parent Loop BB107_8 Depth=1
                                        ;     Parent Loop BB107_26 Depth=2
                                        ; =>    This Inner Loop Header: Depth=3
	ds_read_b64 v[16:17], v13
	ds_read_b64 v[18:19], v9
	v_add_u32_e32 v14, 1, v14
	v_cmp_le_u32_e32 vcc, s4, v14
	v_add_u32_e32 v13, s39, v13
	v_add_u32_e32 v9, 8, v9
	s_waitcnt lgkmcnt(0)
	v_pk_mul_f32 v[20:21], v[18:19], v[16:17] op_sel:[0,1]
	v_pk_fma_f32 v[22:23], v[18:19], v[16:17], v[20:21] op_sel:[0,0,1] op_sel_hi:[1,1,0] neg_lo:[0,0,1] neg_hi:[0,0,1]
	v_pk_fma_f32 v[16:17], v[18:19], v[16:17], v[20:21] op_sel:[0,0,1] op_sel_hi:[1,0,0]
	v_mov_b32_e32 v23, v17
	s_or_b64 s[24:25], vcc, s[24:25]
	v_pk_add_f32 v[4:5], v[4:5], v[22:23]
	s_andn2_b64 exec, exec, s[24:25]
	s_cbranch_execnz .LBB107_27
; %bb.28:                               ;   in Loop: Header=BB107_26 Depth=2
	s_or_b64 exec, exec, s[24:25]
	v_lshl_add_u32 v9, v8, 3, s48
	v_add_u32_e32 v8, s19, v8
	v_cmp_le_u32_e32 vcc, s4, v8
	v_add_u32_e32 v7, s47, v7
	s_or_b64 s[20:21], vcc, s[20:21]
	v_add_u32_e32 v6, s44, v6
	ds_write_b64 v9, v[4:5]
	s_andn2_b64 exec, exec, s[20:21]
	s_cbranch_execnz .LBB107_26
	s_branch .LBB107_7
.LBB107_29:
	s_and_saveexec_b64 s[2:3], s[0:1]
	s_cbranch_execz .LBB107_34
; %bb.30:
	v_mad_u64_u32 v[2:3], s[0:1], v0, s33, v[0:1]
	v_add_u32_e32 v3, 8, v1
	s_lshl_b32 s7, s18, 3
	s_add_i32 s6, s33, 1
	v_mul_lo_u32 v3, s18, v3
	s_add_i32 s8, s7, 8
	s_mul_i32 s6, s6, s19
	v_add3_u32 v1, v3, v1, 0
	s_mul_i32 s8, s8, s19
	s_mov_b64 s[2:3], 0
	v_mov_b32_e32 v3, s37
.LBB107_31:                             ; =>This Loop Header: Depth=1
                                        ;     Child Loop BB107_32 Depth 2
	s_mov_b64 s[4:5], 0
	v_mov_b32_e32 v6, v1
	v_mov_b32_e32 v4, v2
	v_mov_b32_e32 v7, v0
.LBB107_32:                             ;   Parent Loop BB107_31 Depth=1
                                        ; =>  This Inner Loop Header: Depth=2
	ds_read_b64 v[8:9], v6
	v_ashrrev_i32_e32 v5, 31, v4
	v_add_u32_e32 v7, 1, v7
	v_lshlrev_b64 v[10:11], 3, v[4:5]
	v_cmp_le_i32_e32 vcc, s18, v7
	v_add_co_u32_e64 v10, s[0:1], s36, v10
	v_add_u32_e32 v6, s7, v6
	v_add_u32_e32 v4, s33, v4
	v_addc_co_u32_e64 v11, s[0:1], v3, v11, s[0:1]
	s_or_b64 s[4:5], vcc, s[4:5]
	s_waitcnt lgkmcnt(0)
	global_store_dwordx2 v[10:11], v[8:9], off
	s_andn2_b64 exec, exec, s[4:5]
	s_cbranch_execnz .LBB107_32
; %bb.33:                               ;   in Loop: Header=BB107_31 Depth=1
	s_or_b64 exec, exec, s[4:5]
	v_add_u32_e32 v0, s19, v0
	v_cmp_le_i32_e32 vcc, s18, v0
	v_add_u32_e32 v2, s6, v2
	s_or_b64 s[2:3], vcc, s[2:3]
	v_add_u32_e32 v1, s8, v1
	s_andn2_b64 exec, exec, s[2:3]
	s_cbranch_execnz .LBB107_31
.LBB107_34:
	s_endpgm
	.section	.rodata,"a",@progbits
	.p2align	6, 0x0
	.amdhsa_kernel _ZN9rocsolver6v33100L20larft_kernel_forwardI19rocblas_complex_numIfEPS3_EEv15rocblas_storev_iiT0_iilPT_lS8_il
		.amdhsa_group_segment_fixed_size 0
		.amdhsa_private_segment_fixed_size 0
		.amdhsa_kernarg_size 336
		.amdhsa_user_sgpr_count 6
		.amdhsa_user_sgpr_private_segment_buffer 1
		.amdhsa_user_sgpr_dispatch_ptr 0
		.amdhsa_user_sgpr_queue_ptr 0
		.amdhsa_user_sgpr_kernarg_segment_ptr 1
		.amdhsa_user_sgpr_dispatch_id 0
		.amdhsa_user_sgpr_flat_scratch_init 0
		.amdhsa_user_sgpr_kernarg_preload_length 0
		.amdhsa_user_sgpr_kernarg_preload_offset 0
		.amdhsa_user_sgpr_private_segment_size 0
		.amdhsa_uses_dynamic_stack 0
		.amdhsa_system_sgpr_private_segment_wavefront_offset 0
		.amdhsa_system_sgpr_workgroup_id_x 1
		.amdhsa_system_sgpr_workgroup_id_y 1
		.amdhsa_system_sgpr_workgroup_id_z 0
		.amdhsa_system_sgpr_workgroup_info 0
		.amdhsa_system_vgpr_workitem_id 0
		.amdhsa_next_free_vgpr 24
		.amdhsa_next_free_sgpr 52
		.amdhsa_accum_offset 24
		.amdhsa_reserve_vcc 1
		.amdhsa_reserve_flat_scratch 0
		.amdhsa_float_round_mode_32 0
		.amdhsa_float_round_mode_16_64 0
		.amdhsa_float_denorm_mode_32 3
		.amdhsa_float_denorm_mode_16_64 3
		.amdhsa_dx10_clamp 1
		.amdhsa_ieee_mode 1
		.amdhsa_fp16_overflow 0
		.amdhsa_tg_split 0
		.amdhsa_exception_fp_ieee_invalid_op 0
		.amdhsa_exception_fp_denorm_src 0
		.amdhsa_exception_fp_ieee_div_zero 0
		.amdhsa_exception_fp_ieee_overflow 0
		.amdhsa_exception_fp_ieee_underflow 0
		.amdhsa_exception_fp_ieee_inexact 0
		.amdhsa_exception_int_div_zero 0
	.end_amdhsa_kernel
	.section	.text._ZN9rocsolver6v33100L20larft_kernel_forwardI19rocblas_complex_numIfEPS3_EEv15rocblas_storev_iiT0_iilPT_lS8_il,"axG",@progbits,_ZN9rocsolver6v33100L20larft_kernel_forwardI19rocblas_complex_numIfEPS3_EEv15rocblas_storev_iiT0_iilPT_lS8_il,comdat
.Lfunc_end107:
	.size	_ZN9rocsolver6v33100L20larft_kernel_forwardI19rocblas_complex_numIfEPS3_EEv15rocblas_storev_iiT0_iilPT_lS8_il, .Lfunc_end107-_ZN9rocsolver6v33100L20larft_kernel_forwardI19rocblas_complex_numIfEPS3_EEv15rocblas_storev_iiT0_iilPT_lS8_il
                                        ; -- End function
	.section	.AMDGPU.csdata,"",@progbits
; Kernel info:
; codeLenInByte = 1680
; NumSgprs: 56
; NumVgprs: 24
; NumAgprs: 0
; TotalNumVgprs: 24
; ScratchSize: 0
; MemoryBound: 0
; FloatMode: 240
; IeeeMode: 1
; LDSByteSize: 0 bytes/workgroup (compile time only)
; SGPRBlocks: 6
; VGPRBlocks: 2
; NumSGPRsForWavesPerEU: 56
; NumVGPRsForWavesPerEU: 24
; AccumOffset: 24
; Occupancy: 8
; WaveLimiterHint : 0
; COMPUTE_PGM_RSRC2:SCRATCH_EN: 0
; COMPUTE_PGM_RSRC2:USER_SGPR: 6
; COMPUTE_PGM_RSRC2:TRAP_HANDLER: 0
; COMPUTE_PGM_RSRC2:TGID_X_EN: 1
; COMPUTE_PGM_RSRC2:TGID_Y_EN: 1
; COMPUTE_PGM_RSRC2:TGID_Z_EN: 0
; COMPUTE_PGM_RSRC2:TIDIG_COMP_CNT: 0
; COMPUTE_PGM_RSRC3_GFX90A:ACCUM_OFFSET: 5
; COMPUTE_PGM_RSRC3_GFX90A:TG_SPLIT: 0
	.section	.text._ZN9rocsolver6v33100L21larft_kernel_backwardI19rocblas_complex_numIfEPS3_EEv15rocblas_storev_iiT0_iilPT_lS8_il,"axG",@progbits,_ZN9rocsolver6v33100L21larft_kernel_backwardI19rocblas_complex_numIfEPS3_EEv15rocblas_storev_iiT0_iilPT_lS8_il,comdat
	.globl	_ZN9rocsolver6v33100L21larft_kernel_backwardI19rocblas_complex_numIfEPS3_EEv15rocblas_storev_iiT0_iilPT_lS8_il ; -- Begin function _ZN9rocsolver6v33100L21larft_kernel_backwardI19rocblas_complex_numIfEPS3_EEv15rocblas_storev_iiT0_iilPT_lS8_il
	.p2align	8
	.type	_ZN9rocsolver6v33100L21larft_kernel_backwardI19rocblas_complex_numIfEPS3_EEv15rocblas_storev_iiT0_iilPT_lS8_il,@function
_ZN9rocsolver6v33100L21larft_kernel_backwardI19rocblas_complex_numIfEPS3_EEv15rocblas_storev_iiT0_iilPT_lS8_il: ; @_ZN9rocsolver6v33100L21larft_kernel_backwardI19rocblas_complex_numIfEPS3_EEv15rocblas_storev_iiT0_iilPT_lS8_il
; %bb.0:
	s_load_dword s2, s[4:5], 0x5c
	s_load_dword s30, s[4:5], 0x40
	s_load_dwordx2 s[0:1], s[4:5], 0x48
	s_load_dwordx4 s[16:19], s[4:5], 0x0
	s_load_dwordx8 s[8:15], s[4:5], 0x20
	s_waitcnt lgkmcnt(0)
	s_and_b32 s19, s2, 0xffff
	s_ashr_i32 s6, s7, 31
	s_mul_i32 s1, s7, s1
	s_mul_hi_u32 s2, s7, s0
	s_add_i32 s1, s2, s1
	s_mul_i32 s2, s6, s0
	s_add_i32 s1, s1, s2
	s_mul_i32 s0, s7, s0
	s_lshl_b64 s[0:1], s[0:1], 3
	s_add_u32 s31, s14, s0
	s_addc_u32 s33, s15, s1
	v_cmp_gt_i32_e64 s[0:1], s18, v0
	v_add_u32_e32 v1, 1, v0
	s_and_saveexec_b64 s[2:3], s[0:1]
	s_cbranch_execz .LBB108_5
; %bb.1:
	s_lshl_b32 s22, s18, 3
	s_add_i32 s14, s22, 0
	v_add_u32_e32 v4, 1, v0
	v_lshl_add_u32 v5, v0, 3, s14
	s_lshl_b32 s23, s19, 3
	s_mov_b64 s[14:15], 0
	v_mov_b32_e32 v6, s33
	v_mov_b32_e32 v7, v0
.LBB108_2:                              ; =>This Loop Header: Depth=1
                                        ;     Child Loop BB108_3 Depth 2
	s_mov_b64 s[20:21], 0
	v_mov_b32_e32 v2, v7
	v_mov_b32_e32 v8, v5
	s_mov_b32 s24, 0
.LBB108_3:                              ;   Parent Loop BB108_2 Depth=1
                                        ; =>  This Inner Loop Header: Depth=2
	v_ashrrev_i32_e32 v3, 31, v2
	v_lshlrev_b64 v[10:11], 3, v[2:3]
	v_add_co_u32_e32 v10, vcc, s31, v10
	v_addc_co_u32_e32 v11, vcc, v6, v11, vcc
	global_load_dwordx2 v[10:11], v[10:11], off
	s_add_i32 s24, s24, 1
	v_cmp_eq_u32_e32 vcc, s24, v4
	v_add_u32_e32 v2, s30, v2
	s_or_b64 s[20:21], vcc, s[20:21]
	s_waitcnt vmcnt(0)
	ds_write_b64 v8, v[10:11]
	v_add_u32_e32 v8, s22, v8
	s_andn2_b64 exec, exec, s[20:21]
	s_cbranch_execnz .LBB108_3
; %bb.4:                                ;   in Loop: Header=BB108_2 Depth=1
	s_or_b64 exec, exec, s[20:21]
	v_add_u32_e32 v7, s19, v7
	v_cmp_le_i32_e32 vcc, s18, v7
	v_add_u32_e32 v4, s19, v4
	s_or_b64 s[14:15], vcc, s[14:15]
	v_add_u32_e32 v5, s23, v5
	s_andn2_b64 exec, exec, s[14:15]
	s_cbranch_execnz .LBB108_2
.LBB108_5:
	s_or_b64 exec, exec, s[2:3]
	s_cmp_lt_i32 s18, 2
	s_waitcnt lgkmcnt(0)
	s_barrier
	s_cbranch_scc1 .LBB108_29
; %bb.6:
	s_load_dwordx4 s[20:23], s[4:5], 0x10
	s_mul_i32 s2, s7, s13
	s_mul_hi_u32 s3, s7, s12
	s_add_i32 s4, s3, s2
	s_mul_i32 s5, s6, s12
	s_add_i32 s5, s4, s5
	s_mul_i32 s4, s7, s12
	s_waitcnt lgkmcnt(0)
	s_ashr_i32 s3, s22, 31
	s_lshl_b64 s[4:5], s[4:5], 3
	s_mov_b32 s2, s22
	s_add_u32 s22, s10, s4
	s_addc_u32 s34, s11, s5
	s_lshl_b32 s35, s18, 3
	s_add_i32 s36, s35, 0
	s_add_i32 s4, s18, -2
	s_sub_i32 s37, s17, s18
	s_cmpk_lg_i32 s16, 0xb5
	s_mul_i32 s6, s8, s6
	s_mul_hi_u32 s12, s8, s7
	s_cselect_b64 s[10:11], -1, 0
	s_add_i32 s6, s12, s6
	s_mul_i32 s9, s9, s7
	s_add_i32 s9, s6, s9
	s_mul_i32 s8, s8, s7
	s_lshl_b64 s[6:7], s[8:9], 3
	s_lshl_b64 s[2:3], s[2:3], 3
	s_mov_b32 s5, 0
	s_add_u32 s8, s6, s2
	s_addc_u32 s9, s7, s3
	s_lshl_b64 s[2:3], s[4:5], 3
	s_add_u32 s6, s8, s2
	s_addc_u32 s7, s9, s3
	s_add_u32 s38, s20, s6
	s_addc_u32 s39, s21, s7
	s_ashr_i32 s7, s23, 31
	s_mov_b32 s6, s23
	s_lshl_b64 s[6:7], s[6:7], 3
	s_add_u32 s40, s20, s8
	s_addc_u32 s41, s21, s9
	s_add_u32 s2, s40, s2
	s_addc_u32 s3, s41, s3
	s_lshl_b32 s42, s19, 3
	v_lshlrev_b32_e32 v4, 3, v0
	s_add_u32 s44, s40, 4
	v_add_co_u32_e32 v3, vcc, s2, v4
	s_addc_u32 s45, s41, 0
	s_add_i32 s2, s18, -1
	v_mov_b32_e32 v2, s3
	s_mul_i32 s12, s23, s2
	s_add_i32 s2, s35, 8
	v_addc_co_u32_e32 v5, vcc, 0, v2, vcc
	s_mul_i32 s2, s18, s2
	v_add_co_u32_e32 v2, vcc, 8, v3
	s_add_i32 s2, s2, 0
	v_addc_co_u32_e32 v3, vcc, 0, v5, vcc
	s_mov_b32 s43, s5
	s_mul_i32 s8, s23, s4
	v_mul_lo_u32 v10, v0, s23
	s_mul_i32 s46, s23, s19
	v_add3_u32 v11, s2, v4, -8
	s_xor_b32 s47, s35, -8
	s_branch .LBB108_8
.LBB108_7:                              ;   in Loop: Header=BB108_8 Depth=1
	s_or_b64 exec, exec, s[2:3]
	s_add_i32 s2, s4, -1
	s_add_u32 s38, s38, -8
	s_addc_u32 s39, s39, -1
	v_add_co_u32_e32 v2, vcc, -8, v2
	s_sub_i32 s8, s8, s23
	s_sub_i32 s12, s12, s23
	v_addc_co_u32_e32 v3, vcc, -1, v3, vcc
	v_add_u32_e32 v11, s47, v11
	s_cmp_lt_i32 s4, 1
	s_mov_b32 s4, s2
	s_waitcnt lgkmcnt(0)
	s_barrier
	s_cbranch_scc1 .LBB108_29
.LBB108_8:                              ; =>This Loop Header: Depth=1
                                        ;     Child Loop BB108_12 Depth 2
                                        ;       Child Loop BB108_14 Depth 3
                                        ;     Child Loop BB108_20 Depth 2
                                        ;       Child Loop BB108_22 Depth 3
	;; [unrolled: 2-line block ×3, first 2 shown]
	s_lshl_b32 s2, s4, 3
	s_not_b32 s48, s4
	s_add_i32 s49, s36, s2
	s_mul_i32 s2, s4, s18
	s_add_i32 s48, s48, s18
	s_lshl_b32 s2, s2, 3
	s_add_i32 s50, s4, s37
	s_add_i32 s49, s49, s2
	s_mov_b64 s[14:15], -1
	s_and_b64 vcc, exec, s[10:11]
	v_cmp_gt_i32_e64 s[2:3], s48, v0
	s_cbranch_vccz .LBB108_16
; %bb.9:                                ;   in Loop: Header=BB108_8 Depth=1
	s_and_saveexec_b64 s[14:15], s[2:3]
	s_cbranch_execz .LBB108_15
; %bb.10:                               ;   in Loop: Header=BB108_8 Depth=1
	s_cmp_gt_i32 s50, 0
	s_cselect_b64 s[2:3], -1, 0
	s_lshl_b64 s[16:17], s[4:5], 3
	s_add_u32 s16, s22, s16
	s_addc_u32 s17, s34, s17
	s_load_dwordx2 s[16:17], s[16:17], 0x0
	s_add_i32 s9, s49, 8
	s_mov_b64 s[24:25], 0
	v_pk_mov_b32 v[4:5], v[2:3], v[2:3] op_sel:[0,1]
	v_mov_b32_e32 v8, v0
	s_waitcnt lgkmcnt(0)
	s_mov_b32 s20, s16
	s_mov_b32 s21, s16
	s_mov_b32 s16, s17
	s_branch .LBB108_12
.LBB108_11:                             ;   in Loop: Header=BB108_12 Depth=2
	v_lshlrev_b32_e32 v9, 3, v8
	v_add_u32_e32 v14, s9, v9
	ds_read_b64 v[14:15], v14
	v_pk_mul_f32 v[12:13], v[6:7], s[16:17]
	v_pk_fma_f32 v[16:17], v[6:7], s[20:21], v[12:13] op_sel:[0,0,1] op_sel_hi:[1,1,0] neg_lo:[0,0,1] neg_hi:[0,0,1]
	v_pk_fma_f32 v[6:7], v[6:7], s[20:21], v[12:13] op_sel:[0,0,1] op_sel_hi:[1,1,0]
	v_mov_b32_e32 v17, v7
	v_add_u32_e32 v8, s19, v8
	v_add_u32_e32 v9, 0, v9
	s_waitcnt lgkmcnt(0)
	v_pk_add_f32 v[6:7], v[14:15], v[16:17]
	v_cmp_le_i32_e32 vcc, s48, v8
	ds_write_b64 v9, v[6:7]
	v_mov_b32_e32 v6, s43
	s_or_b64 s[24:25], vcc, s[24:25]
	v_add_co_u32_e32 v4, vcc, s42, v4
	v_addc_co_u32_e32 v5, vcc, v5, v6, vcc
	s_andn2_b64 exec, exec, s[24:25]
	s_cbranch_execz .LBB108_15
.LBB108_12:                             ;   Parent Loop BB108_8 Depth=1
                                        ; =>  This Loop Header: Depth=2
                                        ;       Child Loop BB108_14 Depth 3
	v_mov_b32_e32 v7, 0
	s_andn2_b64 vcc, exec, s[2:3]
	v_mov_b32_e32 v6, v7
	s_cbranch_vccnz .LBB108_11
; %bb.13:                               ;   in Loop: Header=BB108_12 Depth=2
	v_mov_b32_e32 v6, 0
	s_mov_b32 s13, 0
	s_mov_b64 s[26:27], 0
	v_mov_b32_e32 v7, v6
.LBB108_14:                             ;   Parent Loop BB108_8 Depth=1
                                        ;     Parent Loop BB108_12 Depth=2
                                        ; =>    This Inner Loop Header: Depth=3
	v_mov_b32_e32 v9, s27
	v_add_co_u32_e32 v12, vcc, s26, v4
	v_addc_co_u32_e32 v13, vcc, v5, v9, vcc
	global_load_dwordx2 v[12:13], v[12:13], off
	s_add_u32 s28, s38, s26
	s_addc_u32 s29, s39, s27
	s_load_dwordx2 s[28:29], s[28:29], 0x0
	s_add_i32 s13, s13, 1
	s_add_u32 s26, s26, s6
	s_addc_u32 s27, s27, s7
	s_cmp_ge_i32 s13, s50
	s_waitcnt vmcnt(0) lgkmcnt(0)
	v_pk_mul_f32 v[14:15], s[28:29], v[12:13] op_sel:[0,1]
	v_pk_fma_f32 v[16:17], s[28:29], v[12:13], v[14:15] op_sel:[0,0,1] op_sel_hi:[1,1,0]
	v_pk_fma_f32 v[12:13], s[28:29], v[12:13], v[14:15] op_sel:[0,0,1] op_sel_hi:[1,0,0] neg_lo:[1,0,0] neg_hi:[1,0,0]
	v_mov_b32_e32 v17, v13
	v_pk_add_f32 v[6:7], v[6:7], v[16:17]
	s_cbranch_scc0 .LBB108_14
	s_branch .LBB108_11
.LBB108_15:                             ;   in Loop: Header=BB108_8 Depth=1
	s_or_b64 exec, exec, s[14:15]
	s_mov_b64 s[14:15], 0
.LBB108_16:                             ;   in Loop: Header=BB108_8 Depth=1
	s_andn2_b64 vcc, exec, s[14:15]
	s_cbranch_vccnz .LBB108_24
; %bb.17:                               ;   in Loop: Header=BB108_8 Depth=1
	v_cmp_gt_i32_e32 vcc, s48, v0
	s_and_saveexec_b64 s[2:3], vcc
	s_cbranch_execz .LBB108_23
; %bb.18:                               ;   in Loop: Header=BB108_8 Depth=1
	s_ashr_i32 s9, s8, 31
	s_lshl_b64 s[14:15], s[8:9], 3
	s_add_u32 s14, s40, s14
	s_addc_u32 s15, s41, s15
	s_ashr_i32 s13, s12, 31
	s_lshl_b64 s[26:27], s[12:13], 3
	s_cmp_gt_i32 s50, 0
	s_cselect_b64 s[16:17], -1, 0
	s_lshl_b64 s[20:21], s[4:5], 3
	s_add_u32 s20, s22, s20
	s_addc_u32 s21, s34, s21
	s_load_dwordx2 s[20:21], s[20:21], 0x0
	s_add_i32 s9, s49, 8
	s_add_u32 s13, s44, s26
	s_addc_u32 s51, s45, s27
	s_mov_b64 s[26:27], 0
	s_waitcnt lgkmcnt(0)
	s_mov_b32 s24, s20
	s_mov_b32 s25, s20
	;; [unrolled: 1-line block ×3, first 2 shown]
	v_mov_b32_e32 v4, v10
	v_mov_b32_e32 v12, v0
	s_branch .LBB108_20
.LBB108_19:                             ;   in Loop: Header=BB108_20 Depth=2
	v_lshlrev_b32_e32 v5, 3, v12
	v_add_u32_e32 v13, s9, v5
	ds_read_b64 v[14:15], v13
	v_pk_mul_f32 v[8:9], v[6:7], s[20:21]
	v_pk_fma_f32 v[16:17], v[6:7], s[24:25], v[8:9] op_sel:[0,0,1] op_sel_hi:[1,1,0] neg_lo:[0,0,1] neg_hi:[0,0,1]
	v_pk_fma_f32 v[6:7], v[6:7], s[24:25], v[8:9] op_sel:[0,0,1] op_sel_hi:[1,1,0]
	v_add_u32_e32 v12, s19, v12
	v_mov_b32_e32 v17, v7
	v_cmp_le_i32_e32 vcc, s48, v12
	v_add_u32_e32 v5, 0, v5
	s_waitcnt lgkmcnt(0)
	v_pk_add_f32 v[6:7], v[14:15], v[16:17]
	s_or_b64 s[26:27], vcc, s[26:27]
	v_add_u32_e32 v4, s46, v4
	ds_write_b64 v5, v[6:7]
	s_andn2_b64 exec, exec, s[26:27]
	s_cbranch_execz .LBB108_23
.LBB108_20:                             ;   Parent Loop BB108_8 Depth=1
                                        ; =>  This Loop Header: Depth=2
                                        ;       Child Loop BB108_22 Depth 3
	v_mov_b32_e32 v7, 0
	s_andn2_b64 vcc, exec, s[16:17]
	v_mov_b32_e32 v6, v7
	s_cbranch_vccnz .LBB108_19
; %bb.21:                               ;   in Loop: Header=BB108_20 Depth=2
	v_ashrrev_i32_e32 v5, 31, v4
	v_lshlrev_b64 v[6:7], 3, v[4:5]
	v_mov_b32_e32 v5, s51
	v_add_co_u32_e32 v8, vcc, s13, v6
	v_mov_b32_e32 v6, 0
	v_addc_co_u32_e32 v9, vcc, v5, v7, vcc
	s_mov_b32 s52, 0
	s_mov_b64 s[28:29], s[14:15]
	v_mov_b32_e32 v7, v6
.LBB108_22:                             ;   Parent Loop BB108_8 Depth=1
                                        ;     Parent Loop BB108_20 Depth=2
                                        ; =>    This Inner Loop Header: Depth=3
	global_load_dwordx2 v[14:15], v[8:9], off offset:-4
	s_load_dwordx2 s[54:55], s[28:29], 0x0
	s_add_i32 s52, s52, 1
	s_add_u32 s28, s28, 8
	v_add_co_u32_e32 v8, vcc, 8, v8
	s_addc_u32 s29, s29, 0
	v_addc_co_u32_e32 v9, vcc, 0, v9, vcc
	s_cmp_ge_i32 s52, s50
	s_waitcnt vmcnt(0) lgkmcnt(0)
	v_pk_mul_f32 v[16:17], v[14:15], s[54:55] op_sel:[1,0]
	v_pk_fma_f32 v[18:19], v[14:15], s[54:55], v[16:17] op_sel:[0,0,1] op_sel_hi:[1,1,0]
	v_pk_fma_f32 v[14:15], v[14:15], s[54:55], v[16:17] op_sel:[0,0,1] op_sel_hi:[0,1,0] neg_lo:[0,0,1] neg_hi:[0,0,1]
	v_mov_b32_e32 v19, v15
	v_pk_add_f32 v[6:7], v[6:7], v[18:19]
	s_cbranch_scc0 .LBB108_22
	s_branch .LBB108_19
.LBB108_23:                             ;   in Loop: Header=BB108_8 Depth=1
	s_or_b64 exec, exec, s[2:3]
.LBB108_24:                             ;   in Loop: Header=BB108_8 Depth=1
	v_cmp_gt_i32_e32 vcc, s48, v0
	s_waitcnt lgkmcnt(0)
	s_barrier
	s_and_saveexec_b64 s[2:3], vcc
	s_cbranch_execz .LBB108_7
; %bb.25:                               ;   in Loop: Header=BB108_8 Depth=1
	s_add_i32 s49, s49, 8
	s_mov_b64 s[14:15], 0
	v_mov_b32_e32 v6, v11
	v_mov_b32_e32 v7, v0
.LBB108_26:                             ;   Parent Loop BB108_8 Depth=1
                                        ; =>  This Loop Header: Depth=2
                                        ;       Child Loop BB108_27 Depth 3
	v_mov_b32_e32 v4, 0
	s_mov_b32 s9, 0
	s_mov_b32 s13, -1
	s_mov_b64 s[16:17], 0
	v_mov_b32_e32 v8, v6
	v_mov_b32_e32 v5, v4
.LBB108_27:                             ;   Parent Loop BB108_8 Depth=1
                                        ;     Parent Loop BB108_26 Depth=2
                                        ; =>    This Inner Loop Header: Depth=3
	v_mov_b32_e32 v9, s9
	ds_read_b64 v[12:13], v8
	ds_read_b64 v[14:15], v9
	s_add_i32 s13, s13, 1
	s_add_i32 s9, s9, 8
	v_cmp_eq_u32_e32 vcc, s13, v7
	v_add_u32_e32 v8, s35, v8
	s_waitcnt lgkmcnt(0)
	v_pk_mul_f32 v[16:17], v[14:15], v[12:13] op_sel:[0,1]
	v_pk_fma_f32 v[18:19], v[14:15], v[12:13], v[16:17] op_sel:[0,0,1] op_sel_hi:[1,1,0] neg_lo:[0,0,1] neg_hi:[0,0,1]
	v_pk_fma_f32 v[12:13], v[14:15], v[12:13], v[16:17] op_sel:[0,0,1] op_sel_hi:[1,0,0]
	v_mov_b32_e32 v19, v13
	s_or_b64 s[16:17], vcc, s[16:17]
	v_pk_add_f32 v[4:5], v[4:5], v[18:19]
	s_andn2_b64 exec, exec, s[16:17]
	s_cbranch_execnz .LBB108_27
; %bb.28:                               ;   in Loop: Header=BB108_26 Depth=2
	s_or_b64 exec, exec, s[16:17]
	v_lshl_add_u32 v8, v7, 3, s49
	v_add_u32_e32 v7, s19, v7
	v_cmp_le_i32_e32 vcc, s48, v7
	s_or_b64 s[14:15], vcc, s[14:15]
	v_add_u32_e32 v6, s42, v6
	ds_write_b64 v8, v[4:5]
	s_andn2_b64 exec, exec, s[14:15]
	s_cbranch_execnz .LBB108_26
	s_branch .LBB108_7
.LBB108_29:
	s_and_saveexec_b64 s[2:3], s[0:1]
	s_cbranch_execz .LBB108_34
; %bb.30:
	s_lshl_b32 s6, s18, 3
	s_add_i32 s0, s6, 0
	v_lshl_add_u32 v4, v0, 3, s0
	s_lshl_b32 s7, s19, 3
	s_mov_b64 s[2:3], 0
	v_mov_b32_e32 v5, s33
.LBB108_31:                             ; =>This Loop Header: Depth=1
                                        ;     Child Loop BB108_32 Depth 2
	s_mov_b64 s[4:5], 0
	v_mov_b32_e32 v6, v4
	v_mov_b32_e32 v2, v0
	s_mov_b32 s8, 0
.LBB108_32:                             ;   Parent Loop BB108_31 Depth=1
                                        ; =>  This Inner Loop Header: Depth=2
	ds_read_b64 v[8:9], v6
	v_ashrrev_i32_e32 v3, 31, v2
	s_add_i32 s8, s8, 1
	v_lshlrev_b64 v[10:11], 3, v[2:3]
	v_cmp_eq_u32_e32 vcc, s8, v1
	v_add_co_u32_e64 v10, s[0:1], s31, v10
	v_add_u32_e32 v6, s6, v6
	v_add_u32_e32 v2, s30, v2
	v_addc_co_u32_e64 v11, s[0:1], v5, v11, s[0:1]
	s_or_b64 s[4:5], vcc, s[4:5]
	s_waitcnt lgkmcnt(0)
	global_store_dwordx2 v[10:11], v[8:9], off
	s_andn2_b64 exec, exec, s[4:5]
	s_cbranch_execnz .LBB108_32
; %bb.33:                               ;   in Loop: Header=BB108_31 Depth=1
	s_or_b64 exec, exec, s[4:5]
	v_add_u32_e32 v0, s19, v0
	v_cmp_le_i32_e32 vcc, s18, v0
	v_add_u32_e32 v1, s19, v1
	s_or_b64 s[2:3], vcc, s[2:3]
	v_add_u32_e32 v4, s7, v4
	s_andn2_b64 exec, exec, s[2:3]
	s_cbranch_execnz .LBB108_31
.LBB108_34:
	s_endpgm
	.section	.rodata,"a",@progbits
	.p2align	6, 0x0
	.amdhsa_kernel _ZN9rocsolver6v33100L21larft_kernel_backwardI19rocblas_complex_numIfEPS3_EEv15rocblas_storev_iiT0_iilPT_lS8_il
		.amdhsa_group_segment_fixed_size 0
		.amdhsa_private_segment_fixed_size 0
		.amdhsa_kernarg_size 336
		.amdhsa_user_sgpr_count 6
		.amdhsa_user_sgpr_private_segment_buffer 1
		.amdhsa_user_sgpr_dispatch_ptr 0
		.amdhsa_user_sgpr_queue_ptr 0
		.amdhsa_user_sgpr_kernarg_segment_ptr 1
		.amdhsa_user_sgpr_dispatch_id 0
		.amdhsa_user_sgpr_flat_scratch_init 0
		.amdhsa_user_sgpr_kernarg_preload_length 0
		.amdhsa_user_sgpr_kernarg_preload_offset 0
		.amdhsa_user_sgpr_private_segment_size 0
		.amdhsa_uses_dynamic_stack 0
		.amdhsa_system_sgpr_private_segment_wavefront_offset 0
		.amdhsa_system_sgpr_workgroup_id_x 1
		.amdhsa_system_sgpr_workgroup_id_y 1
		.amdhsa_system_sgpr_workgroup_id_z 0
		.amdhsa_system_sgpr_workgroup_info 0
		.amdhsa_system_vgpr_workitem_id 0
		.amdhsa_next_free_vgpr 20
		.amdhsa_next_free_sgpr 56
		.amdhsa_accum_offset 20
		.amdhsa_reserve_vcc 1
		.amdhsa_reserve_flat_scratch 0
		.amdhsa_float_round_mode_32 0
		.amdhsa_float_round_mode_16_64 0
		.amdhsa_float_denorm_mode_32 3
		.amdhsa_float_denorm_mode_16_64 3
		.amdhsa_dx10_clamp 1
		.amdhsa_ieee_mode 1
		.amdhsa_fp16_overflow 0
		.amdhsa_tg_split 0
		.amdhsa_exception_fp_ieee_invalid_op 0
		.amdhsa_exception_fp_denorm_src 0
		.amdhsa_exception_fp_ieee_div_zero 0
		.amdhsa_exception_fp_ieee_overflow 0
		.amdhsa_exception_fp_ieee_underflow 0
		.amdhsa_exception_fp_ieee_inexact 0
		.amdhsa_exception_int_div_zero 0
	.end_amdhsa_kernel
	.section	.text._ZN9rocsolver6v33100L21larft_kernel_backwardI19rocblas_complex_numIfEPS3_EEv15rocblas_storev_iiT0_iilPT_lS8_il,"axG",@progbits,_ZN9rocsolver6v33100L21larft_kernel_backwardI19rocblas_complex_numIfEPS3_EEv15rocblas_storev_iiT0_iilPT_lS8_il,comdat
.Lfunc_end108:
	.size	_ZN9rocsolver6v33100L21larft_kernel_backwardI19rocblas_complex_numIfEPS3_EEv15rocblas_storev_iiT0_iilPT_lS8_il, .Lfunc_end108-_ZN9rocsolver6v33100L21larft_kernel_backwardI19rocblas_complex_numIfEPS3_EEv15rocblas_storev_iiT0_iilPT_lS8_il
                                        ; -- End function
	.section	.AMDGPU.csdata,"",@progbits
; Kernel info:
; codeLenInByte = 1688
; NumSgprs: 60
; NumVgprs: 20
; NumAgprs: 0
; TotalNumVgprs: 20
; ScratchSize: 0
; MemoryBound: 0
; FloatMode: 240
; IeeeMode: 1
; LDSByteSize: 0 bytes/workgroup (compile time only)
; SGPRBlocks: 7
; VGPRBlocks: 2
; NumSGPRsForWavesPerEU: 60
; NumVGPRsForWavesPerEU: 20
; AccumOffset: 20
; Occupancy: 8
; WaveLimiterHint : 0
; COMPUTE_PGM_RSRC2:SCRATCH_EN: 0
; COMPUTE_PGM_RSRC2:USER_SGPR: 6
; COMPUTE_PGM_RSRC2:TRAP_HANDLER: 0
; COMPUTE_PGM_RSRC2:TGID_X_EN: 1
; COMPUTE_PGM_RSRC2:TGID_Y_EN: 1
; COMPUTE_PGM_RSRC2:TGID_Z_EN: 0
; COMPUTE_PGM_RSRC2:TIDIG_COMP_CNT: 0
; COMPUTE_PGM_RSRC3_GFX90A:ACCUM_OFFSET: 4
; COMPUTE_PGM_RSRC3_GFX90A:TG_SPLIT: 0
	.section	.text._ZN9rocsolver6v33100L9copymatA1I19rocblas_complex_numIfEPS3_EEviiT0_iilPT_,"axG",@progbits,_ZN9rocsolver6v33100L9copymatA1I19rocblas_complex_numIfEPS3_EEviiT0_iilPT_,comdat
	.globl	_ZN9rocsolver6v33100L9copymatA1I19rocblas_complex_numIfEPS3_EEviiT0_iilPT_ ; -- Begin function _ZN9rocsolver6v33100L9copymatA1I19rocblas_complex_numIfEPS3_EEviiT0_iilPT_
	.p2align	8
	.type	_ZN9rocsolver6v33100L9copymatA1I19rocblas_complex_numIfEPS3_EEviiT0_iilPT_,@function
_ZN9rocsolver6v33100L9copymatA1I19rocblas_complex_numIfEPS3_EEviiT0_iilPT_: ; @_ZN9rocsolver6v33100L9copymatA1I19rocblas_complex_numIfEPS3_EEviiT0_iilPT_
; %bb.0:
	s_load_dword s0, s[4:5], 0x34
	s_load_dwordx2 s[2:3], s[4:5], 0x0
	v_and_b32_e32 v1, 0x3ff, v0
	v_bfe_u32 v0, v0, 10, 10
	s_waitcnt lgkmcnt(0)
	s_lshr_b32 s1, s0, 16
	s_and_b32 s0, s0, 0xffff
	s_mul_i32 s6, s6, s0
	s_mul_i32 s7, s7, s1
	v_add_u32_e32 v1, s6, v1
	v_add_u32_e32 v0, s7, v0
	v_cmp_gt_u32_e32 vcc, s2, v0
	v_cmp_gt_u32_e64 s[0:1], s3, v1
	s_and_b64 s[0:1], s[0:1], vcc
	s_and_saveexec_b64 s[6:7], s[0:1]
	s_cbranch_execz .LBB109_2
; %bb.1:
	s_ashr_i32 s0, s2, 31
	s_load_dwordx8 s[12:19], s[4:5], 0x8
	s_mul_hi_u32 s4, s2, s8
	s_mul_i32 s0, s0, s8
	s_ashr_i32 s1, s3, 31
	s_add_i32 s0, s4, s0
	s_mul_i32 s4, s2, s8
	s_mul_i32 s1, s4, s1
	s_mul_hi_u32 s5, s4, s3
	s_add_i32 s1, s5, s1
	s_mul_i32 s0, s0, s3
	s_add_i32 s1, s1, s0
	s_mul_i32 s0, s4, s3
	s_lshl_b64 s[0:1], s[0:1], 3
	s_waitcnt lgkmcnt(0)
	s_add_u32 s3, s18, s0
	s_mul_i32 s4, s8, s17
	s_mul_hi_u32 s5, s8, s16
	s_addc_u32 s6, s19, s1
	s_add_i32 s5, s5, s4
	s_mul_i32 s4, s8, s16
	s_ashr_i32 s1, s14, 31
	s_lshl_b64 s[4:5], s[4:5], 3
	s_mov_b32 s0, s14
	s_add_u32 s4, s12, s4
	s_addc_u32 s5, s13, s5
	s_lshl_b64 s[0:1], s[0:1], 3
	s_add_u32 s4, s4, s0
	s_addc_u32 s5, s5, s1
	v_mad_u64_u32 v[2:3], s[0:1], v1, s15, v[0:1]
	v_mov_b32_e32 v3, 0
	v_lshlrev_b64 v[4:5], 3, v[2:3]
	v_mov_b32_e32 v2, s5
	v_add_co_u32_e32 v4, vcc, s4, v4
	v_addc_co_u32_e32 v5, vcc, v2, v5, vcc
	global_load_dwordx2 v[4:5], v[4:5], off
	v_mad_u64_u32 v[0:1], s[0:1], v1, s2, v[0:1]
	v_mov_b32_e32 v1, v3
	v_lshlrev_b64 v[0:1], 3, v[0:1]
	v_mov_b32_e32 v2, s6
	v_add_co_u32_e32 v0, vcc, s3, v0
	v_addc_co_u32_e32 v1, vcc, v2, v1, vcc
	s_waitcnt vmcnt(0)
	global_store_dwordx2 v[0:1], v[4:5], off
.LBB109_2:
	s_endpgm
	.section	.rodata,"a",@progbits
	.p2align	6, 0x0
	.amdhsa_kernel _ZN9rocsolver6v33100L9copymatA1I19rocblas_complex_numIfEPS3_EEviiT0_iilPT_
		.amdhsa_group_segment_fixed_size 0
		.amdhsa_private_segment_fixed_size 0
		.amdhsa_kernarg_size 296
		.amdhsa_user_sgpr_count 6
		.amdhsa_user_sgpr_private_segment_buffer 1
		.amdhsa_user_sgpr_dispatch_ptr 0
		.amdhsa_user_sgpr_queue_ptr 0
		.amdhsa_user_sgpr_kernarg_segment_ptr 1
		.amdhsa_user_sgpr_dispatch_id 0
		.amdhsa_user_sgpr_flat_scratch_init 0
		.amdhsa_user_sgpr_kernarg_preload_length 0
		.amdhsa_user_sgpr_kernarg_preload_offset 0
		.amdhsa_user_sgpr_private_segment_size 0
		.amdhsa_uses_dynamic_stack 0
		.amdhsa_system_sgpr_private_segment_wavefront_offset 0
		.amdhsa_system_sgpr_workgroup_id_x 1
		.amdhsa_system_sgpr_workgroup_id_y 1
		.amdhsa_system_sgpr_workgroup_id_z 1
		.amdhsa_system_sgpr_workgroup_info 0
		.amdhsa_system_vgpr_workitem_id 1
		.amdhsa_next_free_vgpr 6
		.amdhsa_next_free_sgpr 20
		.amdhsa_accum_offset 8
		.amdhsa_reserve_vcc 1
		.amdhsa_reserve_flat_scratch 0
		.amdhsa_float_round_mode_32 0
		.amdhsa_float_round_mode_16_64 0
		.amdhsa_float_denorm_mode_32 3
		.amdhsa_float_denorm_mode_16_64 3
		.amdhsa_dx10_clamp 1
		.amdhsa_ieee_mode 1
		.amdhsa_fp16_overflow 0
		.amdhsa_tg_split 0
		.amdhsa_exception_fp_ieee_invalid_op 0
		.amdhsa_exception_fp_denorm_src 0
		.amdhsa_exception_fp_ieee_div_zero 0
		.amdhsa_exception_fp_ieee_overflow 0
		.amdhsa_exception_fp_ieee_underflow 0
		.amdhsa_exception_fp_ieee_inexact 0
		.amdhsa_exception_int_div_zero 0
	.end_amdhsa_kernel
	.section	.text._ZN9rocsolver6v33100L9copymatA1I19rocblas_complex_numIfEPS3_EEviiT0_iilPT_,"axG",@progbits,_ZN9rocsolver6v33100L9copymatA1I19rocblas_complex_numIfEPS3_EEviiT0_iilPT_,comdat
.Lfunc_end109:
	.size	_ZN9rocsolver6v33100L9copymatA1I19rocblas_complex_numIfEPS3_EEviiT0_iilPT_, .Lfunc_end109-_ZN9rocsolver6v33100L9copymatA1I19rocblas_complex_numIfEPS3_EEviiT0_iilPT_
                                        ; -- End function
	.section	.AMDGPU.csdata,"",@progbits
; Kernel info:
; codeLenInByte = 296
; NumSgprs: 24
; NumVgprs: 6
; NumAgprs: 0
; TotalNumVgprs: 6
; ScratchSize: 0
; MemoryBound: 0
; FloatMode: 240
; IeeeMode: 1
; LDSByteSize: 0 bytes/workgroup (compile time only)
; SGPRBlocks: 2
; VGPRBlocks: 0
; NumSGPRsForWavesPerEU: 24
; NumVGPRsForWavesPerEU: 6
; AccumOffset: 8
; Occupancy: 8
; WaveLimiterHint : 0
; COMPUTE_PGM_RSRC2:SCRATCH_EN: 0
; COMPUTE_PGM_RSRC2:USER_SGPR: 6
; COMPUTE_PGM_RSRC2:TRAP_HANDLER: 0
; COMPUTE_PGM_RSRC2:TGID_X_EN: 1
; COMPUTE_PGM_RSRC2:TGID_Y_EN: 1
; COMPUTE_PGM_RSRC2:TGID_Z_EN: 1
; COMPUTE_PGM_RSRC2:TIDIG_COMP_CNT: 1
; COMPUTE_PGM_RSRC3_GFX90A:ACCUM_OFFSET: 1
; COMPUTE_PGM_RSRC3_GFX90A:TG_SPLIT: 0
	.section	.text._ZN9rocsolver6v33100L8addmatA1I19rocblas_complex_numIfEPS3_EEviiT0_iilPT_,"axG",@progbits,_ZN9rocsolver6v33100L8addmatA1I19rocblas_complex_numIfEPS3_EEviiT0_iilPT_,comdat
	.globl	_ZN9rocsolver6v33100L8addmatA1I19rocblas_complex_numIfEPS3_EEviiT0_iilPT_ ; -- Begin function _ZN9rocsolver6v33100L8addmatA1I19rocblas_complex_numIfEPS3_EEviiT0_iilPT_
	.p2align	8
	.type	_ZN9rocsolver6v33100L8addmatA1I19rocblas_complex_numIfEPS3_EEviiT0_iilPT_,@function
_ZN9rocsolver6v33100L8addmatA1I19rocblas_complex_numIfEPS3_EEviiT0_iilPT_: ; @_ZN9rocsolver6v33100L8addmatA1I19rocblas_complex_numIfEPS3_EEviiT0_iilPT_
; %bb.0:
	s_load_dword s0, s[4:5], 0x34
	s_load_dwordx2 s[10:11], s[4:5], 0x0
	v_and_b32_e32 v1, 0x3ff, v0
	v_bfe_u32 v0, v0, 10, 10
	s_waitcnt lgkmcnt(0)
	s_lshr_b32 s1, s0, 16
	s_and_b32 s0, s0, 0xffff
	s_mul_i32 s6, s6, s0
	s_mul_i32 s7, s7, s1
	v_add_u32_e32 v1, s6, v1
	v_add_u32_e32 v0, s7, v0
	v_cmp_gt_u32_e32 vcc, s10, v0
	v_cmp_gt_u32_e64 s[0:1], s11, v1
	s_and_b64 s[0:1], s[0:1], vcc
	s_and_saveexec_b64 s[2:3], s[0:1]
	s_cbranch_execz .LBB110_2
; %bb.1:
	s_ashr_i32 s9, s10, 31
	s_load_dwordx8 s[0:7], s[4:5], 0x8
	s_ashr_i32 s12, s11, 31
	s_mul_hi_u32 s13, s10, s8
	s_mul_i32 s9, s9, s8
	s_mul_i32 s14, s10, s8
	s_add_i32 s9, s13, s9
	s_mul_i32 s12, s14, s12
	s_mul_hi_u32 s13, s14, s11
	s_add_i32 s12, s13, s12
	s_mul_i32 s9, s9, s11
	s_add_i32 s13, s12, s9
	s_mul_i32 s12, s14, s11
	s_lshl_b64 s[12:13], s[12:13], 3
	s_waitcnt lgkmcnt(0)
	s_add_u32 s9, s6, s12
	s_addc_u32 s11, s7, s13
	s_ashr_i32 s7, s2, 31
	s_mov_b32 s6, s2
	s_mul_i32 s2, s8, s5
	s_mul_hi_u32 s5, s8, s4
	s_add_i32 s5, s5, s2
	s_mul_i32 s4, s8, s4
	s_lshl_b64 s[4:5], s[4:5], 3
	s_add_u32 s2, s0, s4
	s_addc_u32 s4, s1, s5
	s_lshl_b64 s[0:1], s[6:7], 3
	s_add_u32 s2, s2, s0
	s_addc_u32 s4, s4, s1
	v_mad_u64_u32 v[2:3], s[0:1], v1, s10, v[0:1]
	v_mov_b32_e32 v3, 0
	v_lshlrev_b64 v[4:5], 3, v[2:3]
	v_mad_u64_u32 v[0:1], s[0:1], v1, s3, v[0:1]
	v_mov_b32_e32 v2, s11
	v_add_co_u32_e32 v4, vcc, s9, v4
	v_mov_b32_e32 v1, v3
	v_addc_co_u32_e32 v5, vcc, v2, v5, vcc
	v_lshlrev_b64 v[0:1], 3, v[0:1]
	v_mov_b32_e32 v2, s4
	v_add_co_u32_e32 v0, vcc, s2, v0
	v_addc_co_u32_e32 v1, vcc, v2, v1, vcc
	global_load_dwordx2 v[2:3], v[4:5], off
	global_load_dwordx2 v[6:7], v[0:1], off
	s_waitcnt vmcnt(0)
	v_pk_add_f32 v[2:3], v[6:7], v[2:3] neg_lo:[0,1] neg_hi:[0,1]
	global_store_dwordx2 v[0:1], v[2:3], off
.LBB110_2:
	s_endpgm
	.section	.rodata,"a",@progbits
	.p2align	6, 0x0
	.amdhsa_kernel _ZN9rocsolver6v33100L8addmatA1I19rocblas_complex_numIfEPS3_EEviiT0_iilPT_
		.amdhsa_group_segment_fixed_size 0
		.amdhsa_private_segment_fixed_size 0
		.amdhsa_kernarg_size 296
		.amdhsa_user_sgpr_count 6
		.amdhsa_user_sgpr_private_segment_buffer 1
		.amdhsa_user_sgpr_dispatch_ptr 0
		.amdhsa_user_sgpr_queue_ptr 0
		.amdhsa_user_sgpr_kernarg_segment_ptr 1
		.amdhsa_user_sgpr_dispatch_id 0
		.amdhsa_user_sgpr_flat_scratch_init 0
		.amdhsa_user_sgpr_kernarg_preload_length 0
		.amdhsa_user_sgpr_kernarg_preload_offset 0
		.amdhsa_user_sgpr_private_segment_size 0
		.amdhsa_uses_dynamic_stack 0
		.amdhsa_system_sgpr_private_segment_wavefront_offset 0
		.amdhsa_system_sgpr_workgroup_id_x 1
		.amdhsa_system_sgpr_workgroup_id_y 1
		.amdhsa_system_sgpr_workgroup_id_z 1
		.amdhsa_system_sgpr_workgroup_info 0
		.amdhsa_system_vgpr_workitem_id 1
		.amdhsa_next_free_vgpr 8
		.amdhsa_next_free_sgpr 15
		.amdhsa_accum_offset 8
		.amdhsa_reserve_vcc 1
		.amdhsa_reserve_flat_scratch 0
		.amdhsa_float_round_mode_32 0
		.amdhsa_float_round_mode_16_64 0
		.amdhsa_float_denorm_mode_32 3
		.amdhsa_float_denorm_mode_16_64 3
		.amdhsa_dx10_clamp 1
		.amdhsa_ieee_mode 1
		.amdhsa_fp16_overflow 0
		.amdhsa_tg_split 0
		.amdhsa_exception_fp_ieee_invalid_op 0
		.amdhsa_exception_fp_denorm_src 0
		.amdhsa_exception_fp_ieee_div_zero 0
		.amdhsa_exception_fp_ieee_overflow 0
		.amdhsa_exception_fp_ieee_underflow 0
		.amdhsa_exception_fp_ieee_inexact 0
		.amdhsa_exception_int_div_zero 0
	.end_amdhsa_kernel
	.section	.text._ZN9rocsolver6v33100L8addmatA1I19rocblas_complex_numIfEPS3_EEviiT0_iilPT_,"axG",@progbits,_ZN9rocsolver6v33100L8addmatA1I19rocblas_complex_numIfEPS3_EEviiT0_iilPT_,comdat
.Lfunc_end110:
	.size	_ZN9rocsolver6v33100L8addmatA1I19rocblas_complex_numIfEPS3_EEviiT0_iilPT_, .Lfunc_end110-_ZN9rocsolver6v33100L8addmatA1I19rocblas_complex_numIfEPS3_EEviiT0_iilPT_
                                        ; -- End function
	.section	.AMDGPU.csdata,"",@progbits
; Kernel info:
; codeLenInByte = 312
; NumSgprs: 19
; NumVgprs: 8
; NumAgprs: 0
; TotalNumVgprs: 8
; ScratchSize: 0
; MemoryBound: 0
; FloatMode: 240
; IeeeMode: 1
; LDSByteSize: 0 bytes/workgroup (compile time only)
; SGPRBlocks: 2
; VGPRBlocks: 0
; NumSGPRsForWavesPerEU: 19
; NumVGPRsForWavesPerEU: 8
; AccumOffset: 8
; Occupancy: 8
; WaveLimiterHint : 0
; COMPUTE_PGM_RSRC2:SCRATCH_EN: 0
; COMPUTE_PGM_RSRC2:USER_SGPR: 6
; COMPUTE_PGM_RSRC2:TRAP_HANDLER: 0
; COMPUTE_PGM_RSRC2:TGID_X_EN: 1
; COMPUTE_PGM_RSRC2:TGID_Y_EN: 1
; COMPUTE_PGM_RSRC2:TGID_Z_EN: 1
; COMPUTE_PGM_RSRC2:TIDIG_COMP_CNT: 1
; COMPUTE_PGM_RSRC3_GFX90A:ACCUM_OFFSET: 1
; COMPUTE_PGM_RSRC3_GFX90A:TG_SPLIT: 0
	.section	.text._ZN9rocsolver6v33100L15gesvdj_finalizeI19rocblas_complex_numIfEfEEviPT0_lPT_ilS7_il,"axG",@progbits,_ZN9rocsolver6v33100L15gesvdj_finalizeI19rocblas_complex_numIfEfEEviPT0_lPT_ilS7_il,comdat
	.globl	_ZN9rocsolver6v33100L15gesvdj_finalizeI19rocblas_complex_numIfEfEEviPT0_lPT_ilS7_il ; -- Begin function _ZN9rocsolver6v33100L15gesvdj_finalizeI19rocblas_complex_numIfEfEEviPT0_lPT_ilS7_il
	.p2align	8
	.type	_ZN9rocsolver6v33100L15gesvdj_finalizeI19rocblas_complex_numIfEfEEviPT0_lPT_ilS7_il,@function
_ZN9rocsolver6v33100L15gesvdj_finalizeI19rocblas_complex_numIfEfEEviPT0_lPT_ilS7_il: ; @_ZN9rocsolver6v33100L15gesvdj_finalizeI19rocblas_complex_numIfEfEEviPT0_lPT_ilS7_il
; %bb.0:
	s_load_dword s0, s[4:5], 0x54
	s_load_dword s8, s[4:5], 0x0
	s_mov_b32 s2, 0
	s_waitcnt lgkmcnt(0)
	s_and_b32 s0, s0, 0xffff
	s_mul_i32 s6, s6, s0
	v_add_u32_e32 v0, s6, v0
	v_max_i32_e32 v1, 0, v0
	v_cmp_gt_i32_e32 vcc, s8, v1
	s_and_saveexec_b64 s[0:1], vcc
	s_cbranch_execz .LBB111_7
; %bb.1:
	s_load_dwordx4 s[12:15], s[4:5], 0x8
	s_load_dwordx2 s[0:1], s[4:5], 0x18
	s_load_dword s3, s[4:5], 0x20
	s_load_dwordx4 s[16:19], s[4:5], 0x28
	s_load_dword s9, s[4:5], 0x38
	s_load_dwordx2 s[20:21], s[4:5], 0x40
	s_ashr_i32 s6, s7, 31
	s_waitcnt lgkmcnt(0)
	s_mul_i32 s4, s7, s15
	s_mul_hi_u32 s5, s7, s14
	s_add_i32 s4, s5, s4
	s_mul_i32 s5, s6, s14
	s_add_i32 s5, s4, s5
	s_mul_i32 s4, s7, s14
	s_lshl_b64 s[4:5], s[4:5], 2
	s_add_u32 s4, s12, s4
	s_mul_i32 s10, s7, s17
	s_mul_hi_u32 s11, s7, s16
	s_addc_u32 s5, s13, s5
	s_add_i32 s10, s11, s10
	s_mul_i32 s11, s6, s16
	s_add_i32 s11, s10, s11
	s_mul_i32 s10, s7, s16
	s_lshl_b64 s[10:11], s[10:11], 3
	s_add_u32 s10, s0, s10
	s_addc_u32 s11, s1, s11
	s_mul_i32 s0, s7, s21
	s_mul_hi_u32 s1, s7, s20
	s_add_i32 s0, s1, s0
	s_mul_i32 s6, s6, s20
	s_add_i32 s1, s0, s6
	s_mul_i32 s0, s7, s20
	s_lshl_b64 s[0:1], s[0:1], 3
	s_add_u32 s12, s18, s0
	s_addc_u32 s13, s19, s1
	s_add_i32 s14, s3, 1
	v_cmp_eq_u32_e64 s[0:1], 0, v0
	v_mov_b32_e32 v2, 0
	s_branch .LBB111_3
.LBB111_2:                              ;   in Loop: Header=BB111_3 Depth=1
	s_add_i32 s8, s8, -1
	s_add_i32 s2, s2, s14
	s_add_u32 s4, s4, 4
	s_addc_u32 s5, s5, 0
	s_cmp_lg_u32 s8, 0
	v_add_u32_e32 v0, s9, v0
	s_cbranch_scc0 .LBB111_7
.LBB111_3:                              ; =>This Inner Loop Header: Depth=1
	s_ashr_i32 s3, s2, 31
	s_lshl_b64 s[6:7], s[2:3], 3
	s_add_u32 s6, s10, s6
	s_addc_u32 s7, s11, s7
	global_load_dword v1, v2, s[6:7]
	s_and_saveexec_b64 s[6:7], s[0:1]
	s_cbranch_execz .LBB111_5
; %bb.4:                                ;   in Loop: Header=BB111_3 Depth=1
	s_waitcnt vmcnt(0)
	v_and_b32_e32 v3, 0x7fffffff, v1
	global_store_dword v2, v3, s[4:5]
.LBB111_5:                              ;   in Loop: Header=BB111_3 Depth=1
	s_or_b64 exec, exec, s[6:7]
	s_waitcnt vmcnt(0)
	v_cmp_ngt_f32_e32 vcc, 0, v1
	s_cbranch_vccnz .LBB111_2
; %bb.6:                                ;   in Loop: Header=BB111_3 Depth=1
	v_ashrrev_i32_e32 v1, 31, v0
	v_lshlrev_b64 v[4:5], 3, v[0:1]
	v_mov_b32_e32 v1, s13
	v_add_co_u32_e32 v4, vcc, s12, v4
	v_addc_co_u32_e32 v5, vcc, v1, v5, vcc
	global_load_dwordx2 v[6:7], v[4:5], off
	s_waitcnt vmcnt(0)
	v_pk_add_f32 v[6:7], v[6:7], 0 neg_lo:[1,1] neg_hi:[1,1]
	global_store_dwordx2 v[4:5], v[6:7], off
	s_branch .LBB111_2
.LBB111_7:
	s_endpgm
	.section	.rodata,"a",@progbits
	.p2align	6, 0x0
	.amdhsa_kernel _ZN9rocsolver6v33100L15gesvdj_finalizeI19rocblas_complex_numIfEfEEviPT0_lPT_ilS7_il
		.amdhsa_group_segment_fixed_size 0
		.amdhsa_private_segment_fixed_size 0
		.amdhsa_kernarg_size 328
		.amdhsa_user_sgpr_count 6
		.amdhsa_user_sgpr_private_segment_buffer 1
		.amdhsa_user_sgpr_dispatch_ptr 0
		.amdhsa_user_sgpr_queue_ptr 0
		.amdhsa_user_sgpr_kernarg_segment_ptr 1
		.amdhsa_user_sgpr_dispatch_id 0
		.amdhsa_user_sgpr_flat_scratch_init 0
		.amdhsa_user_sgpr_kernarg_preload_length 0
		.amdhsa_user_sgpr_kernarg_preload_offset 0
		.amdhsa_user_sgpr_private_segment_size 0
		.amdhsa_uses_dynamic_stack 0
		.amdhsa_system_sgpr_private_segment_wavefront_offset 0
		.amdhsa_system_sgpr_workgroup_id_x 1
		.amdhsa_system_sgpr_workgroup_id_y 1
		.amdhsa_system_sgpr_workgroup_id_z 0
		.amdhsa_system_sgpr_workgroup_info 0
		.amdhsa_system_vgpr_workitem_id 0
		.amdhsa_next_free_vgpr 8
		.amdhsa_next_free_sgpr 22
		.amdhsa_accum_offset 8
		.amdhsa_reserve_vcc 1
		.amdhsa_reserve_flat_scratch 0
		.amdhsa_float_round_mode_32 0
		.amdhsa_float_round_mode_16_64 0
		.amdhsa_float_denorm_mode_32 3
		.amdhsa_float_denorm_mode_16_64 3
		.amdhsa_dx10_clamp 1
		.amdhsa_ieee_mode 1
		.amdhsa_fp16_overflow 0
		.amdhsa_tg_split 0
		.amdhsa_exception_fp_ieee_invalid_op 0
		.amdhsa_exception_fp_denorm_src 0
		.amdhsa_exception_fp_ieee_div_zero 0
		.amdhsa_exception_fp_ieee_overflow 0
		.amdhsa_exception_fp_ieee_underflow 0
		.amdhsa_exception_fp_ieee_inexact 0
		.amdhsa_exception_int_div_zero 0
	.end_amdhsa_kernel
	.section	.text._ZN9rocsolver6v33100L15gesvdj_finalizeI19rocblas_complex_numIfEfEEviPT0_lPT_ilS7_il,"axG",@progbits,_ZN9rocsolver6v33100L15gesvdj_finalizeI19rocblas_complex_numIfEfEEviPT0_lPT_ilS7_il,comdat
.Lfunc_end111:
	.size	_ZN9rocsolver6v33100L15gesvdj_finalizeI19rocblas_complex_numIfEfEEviPT0_lPT_ilS7_il, .Lfunc_end111-_ZN9rocsolver6v33100L15gesvdj_finalizeI19rocblas_complex_numIfEfEEviPT0_lPT_ilS7_il
                                        ; -- End function
	.section	.AMDGPU.csdata,"",@progbits
; Kernel info:
; codeLenInByte = 396
; NumSgprs: 26
; NumVgprs: 8
; NumAgprs: 0
; TotalNumVgprs: 8
; ScratchSize: 0
; MemoryBound: 0
; FloatMode: 240
; IeeeMode: 1
; LDSByteSize: 0 bytes/workgroup (compile time only)
; SGPRBlocks: 3
; VGPRBlocks: 0
; NumSGPRsForWavesPerEU: 26
; NumVGPRsForWavesPerEU: 8
; AccumOffset: 8
; Occupancy: 8
; WaveLimiterHint : 0
; COMPUTE_PGM_RSRC2:SCRATCH_EN: 0
; COMPUTE_PGM_RSRC2:USER_SGPR: 6
; COMPUTE_PGM_RSRC2:TRAP_HANDLER: 0
; COMPUTE_PGM_RSRC2:TGID_X_EN: 1
; COMPUTE_PGM_RSRC2:TGID_Y_EN: 1
; COMPUTE_PGM_RSRC2:TGID_Z_EN: 0
; COMPUTE_PGM_RSRC2:TIDIG_COMP_CNT: 0
; COMPUTE_PGM_RSRC3_GFX90A:ACCUM_OFFSET: 1
; COMPUTE_PGM_RSRC3_GFX90A:TG_SPLIT: 0
	.section	.text._ZN9rocsolver6v33100L16org2r_init_identI19rocblas_complex_numIfEPS3_EEviiiT0_iil,"axG",@progbits,_ZN9rocsolver6v33100L16org2r_init_identI19rocblas_complex_numIfEPS3_EEviiiT0_iil,comdat
	.globl	_ZN9rocsolver6v33100L16org2r_init_identI19rocblas_complex_numIfEPS3_EEviiiT0_iil ; -- Begin function _ZN9rocsolver6v33100L16org2r_init_identI19rocblas_complex_numIfEPS3_EEviiiT0_iil
	.p2align	8
	.type	_ZN9rocsolver6v33100L16org2r_init_identI19rocblas_complex_numIfEPS3_EEviiiT0_iil,@function
_ZN9rocsolver6v33100L16org2r_init_identI19rocblas_complex_numIfEPS3_EEviiiT0_iil: ; @_ZN9rocsolver6v33100L16org2r_init_identI19rocblas_complex_numIfEPS3_EEviiiT0_iil
; %bb.0:
	s_load_dword s0, s[4:5], 0x34
	s_load_dwordx4 s[12:15], s[4:5], 0x0
	v_bfe_u32 v1, v0, 10, 10
	v_and_b32_e32 v0, 0x3ff, v0
	s_waitcnt lgkmcnt(0)
	s_lshr_b32 s1, s0, 16
	s_and_b32 s0, s0, 0xffff
	s_mul_i32 s7, s7, s1
	s_mul_i32 s6, s6, s0
	v_add_u32_e32 v2, s7, v1
	v_add_u32_e32 v4, s6, v0
	v_cmp_gt_u32_e32 vcc, s12, v4
	v_cmp_gt_u32_e64 s[0:1], s13, v2
	s_and_b64 s[0:1], vcc, s[0:1]
	s_and_saveexec_b64 s[2:3], s[0:1]
	s_cbranch_execz .LBB112_5
; %bb.1:
	s_load_dwordx4 s[0:3], s[4:5], 0x10
	s_load_dwordx2 s[6:7], s[4:5], 0x20
	v_cmp_ne_u32_e32 vcc, v4, v2
                                        ; implicit-def: $vgpr0_vgpr1
	s_waitcnt lgkmcnt(0)
	s_ashr_i32 s5, s2, 31
	s_mov_b32 s4, s2
	s_mul_i32 s2, s8, s7
	s_mul_hi_u32 s7, s8, s6
	s_add_i32 s7, s7, s2
	s_mul_i32 s6, s8, s6
	s_lshl_b64 s[6:7], s[6:7], 3
	s_add_u32 s2, s0, s6
	s_addc_u32 s6, s1, s7
	s_lshl_b64 s[0:1], s[4:5], 3
	s_add_u32 s2, s2, s0
	s_addc_u32 s10, s6, s1
	s_mov_b64 s[4:5], 0
	s_and_saveexec_b64 s[0:1], vcc
	s_xor_b64 s[0:1], exec, s[0:1]
	s_cbranch_execnz .LBB112_6
; %bb.2:
	s_andn2_saveexec_b64 s[0:1], s[0:1]
	s_cbranch_execnz .LBB112_13
.LBB112_3:
	s_or_b64 exec, exec, s[0:1]
	s_and_b64 exec, exec, s[4:5]
	s_cbranch_execz .LBB112_5
.LBB112_4:
	v_mov_b32_e32 v2, 0
	global_store_dword v[0:1], v2, off
.LBB112_5:
	s_endpgm
.LBB112_6:
	v_cmp_le_u32_e32 vcc, v2, v4
                                        ; implicit-def: $vgpr0_vgpr1
	s_and_saveexec_b64 s[6:7], vcc
	s_xor_b64 s[6:7], exec, s[6:7]
	s_cbranch_execz .LBB112_10
; %bb.7:
	v_cmp_le_u32_e32 vcc, s14, v2
                                        ; implicit-def: $vgpr0_vgpr1
	s_and_saveexec_b64 s[8:9], vcc
	s_xor_b64 s[8:9], exec, s[8:9]
	s_cbranch_execz .LBB112_9
; %bb.8:
	v_mad_u64_u32 v[2:3], s[12:13], v2, s3, v[4:5]
	v_mov_b32_e32 v3, 0
	v_lshlrev_b64 v[0:1], 3, v[2:3]
	v_mov_b32_e32 v2, s10
	v_add_co_u32_e32 v4, vcc, s2, v0
	v_addc_co_u32_e32 v5, vcc, v2, v1, vcc
	v_add_co_u32_e32 v0, vcc, 4, v4
	s_mov_b64 s[4:5], exec
	v_addc_co_u32_e32 v1, vcc, 0, v5, vcc
	global_store_dword v[4:5], v3, off
.LBB112_9:
	s_or_b64 exec, exec, s[8:9]
	s_and_b64 s[4:5], s[4:5], exec
                                        ; implicit-def: $vgpr4
                                        ; implicit-def: $vgpr2
.LBB112_10:
	s_andn2_saveexec_b64 s[6:7], s[6:7]
	s_cbranch_execz .LBB112_12
; %bb.11:
	v_mad_u64_u32 v[0:1], s[8:9], v2, s3, v[4:5]
	v_mov_b32_e32 v1, 0
	v_lshlrev_b64 v[2:3], 3, v[0:1]
	v_mov_b32_e32 v0, s10
	v_add_co_u32_e32 v2, vcc, s2, v2
	v_addc_co_u32_e32 v3, vcc, v0, v3, vcc
	v_add_co_u32_e32 v0, vcc, 4, v2
	global_store_dword v[2:3], v1, off
	v_addc_co_u32_e32 v1, vcc, 0, v3, vcc
	s_or_b64 s[4:5], s[4:5], exec
.LBB112_12:
	s_or_b64 exec, exec, s[6:7]
	s_and_b64 s[4:5], s[4:5], exec
                                        ; implicit-def: $vgpr2
	s_andn2_saveexec_b64 s[0:1], s[0:1]
	s_cbranch_execz .LBB112_3
.LBB112_13:
	v_mad_u64_u32 v[0:1], s[6:7], v2, s3, v[2:3]
	v_mov_b32_e32 v1, 0
	v_lshlrev_b64 v[0:1], 3, v[0:1]
	v_mov_b32_e32 v2, s10
	v_add_co_u32_e32 v0, vcc, s2, v0
	v_addc_co_u32_e32 v1, vcc, v2, v1, vcc
	v_mov_b32_e32 v2, 1.0
	global_store_dword v[0:1], v2, off
	v_add_co_u32_e32 v0, vcc, 4, v0
	v_addc_co_u32_e32 v1, vcc, 0, v1, vcc
	s_or_b64 s[4:5], s[4:5], exec
	s_or_b64 exec, exec, s[0:1]
	s_and_b64 exec, exec, s[4:5]
	s_cbranch_execnz .LBB112_4
	s_branch .LBB112_5
	.section	.rodata,"a",@progbits
	.p2align	6, 0x0
	.amdhsa_kernel _ZN9rocsolver6v33100L16org2r_init_identI19rocblas_complex_numIfEPS3_EEviiiT0_iil
		.amdhsa_group_segment_fixed_size 0
		.amdhsa_private_segment_fixed_size 0
		.amdhsa_kernarg_size 296
		.amdhsa_user_sgpr_count 6
		.amdhsa_user_sgpr_private_segment_buffer 1
		.amdhsa_user_sgpr_dispatch_ptr 0
		.amdhsa_user_sgpr_queue_ptr 0
		.amdhsa_user_sgpr_kernarg_segment_ptr 1
		.amdhsa_user_sgpr_dispatch_id 0
		.amdhsa_user_sgpr_flat_scratch_init 0
		.amdhsa_user_sgpr_kernarg_preload_length 0
		.amdhsa_user_sgpr_kernarg_preload_offset 0
		.amdhsa_user_sgpr_private_segment_size 0
		.amdhsa_uses_dynamic_stack 0
		.amdhsa_system_sgpr_private_segment_wavefront_offset 0
		.amdhsa_system_sgpr_workgroup_id_x 1
		.amdhsa_system_sgpr_workgroup_id_y 1
		.amdhsa_system_sgpr_workgroup_id_z 1
		.amdhsa_system_sgpr_workgroup_info 0
		.amdhsa_system_vgpr_workitem_id 1
		.amdhsa_next_free_vgpr 6
		.amdhsa_next_free_sgpr 16
		.amdhsa_accum_offset 8
		.amdhsa_reserve_vcc 1
		.amdhsa_reserve_flat_scratch 0
		.amdhsa_float_round_mode_32 0
		.amdhsa_float_round_mode_16_64 0
		.amdhsa_float_denorm_mode_32 3
		.amdhsa_float_denorm_mode_16_64 3
		.amdhsa_dx10_clamp 1
		.amdhsa_ieee_mode 1
		.amdhsa_fp16_overflow 0
		.amdhsa_tg_split 0
		.amdhsa_exception_fp_ieee_invalid_op 0
		.amdhsa_exception_fp_denorm_src 0
		.amdhsa_exception_fp_ieee_div_zero 0
		.amdhsa_exception_fp_ieee_overflow 0
		.amdhsa_exception_fp_ieee_underflow 0
		.amdhsa_exception_fp_ieee_inexact 0
		.amdhsa_exception_int_div_zero 0
	.end_amdhsa_kernel
	.section	.text._ZN9rocsolver6v33100L16org2r_init_identI19rocblas_complex_numIfEPS3_EEviiiT0_iil,"axG",@progbits,_ZN9rocsolver6v33100L16org2r_init_identI19rocblas_complex_numIfEPS3_EEviiiT0_iil,comdat
.Lfunc_end112:
	.size	_ZN9rocsolver6v33100L16org2r_init_identI19rocblas_complex_numIfEPS3_EEviiiT0_iil, .Lfunc_end112-_ZN9rocsolver6v33100L16org2r_init_identI19rocblas_complex_numIfEPS3_EEviiiT0_iil
                                        ; -- End function
	.section	.AMDGPU.csdata,"",@progbits
; Kernel info:
; codeLenInByte = 452
; NumSgprs: 20
; NumVgprs: 6
; NumAgprs: 0
; TotalNumVgprs: 6
; ScratchSize: 0
; MemoryBound: 0
; FloatMode: 240
; IeeeMode: 1
; LDSByteSize: 0 bytes/workgroup (compile time only)
; SGPRBlocks: 2
; VGPRBlocks: 0
; NumSGPRsForWavesPerEU: 20
; NumVGPRsForWavesPerEU: 6
; AccumOffset: 8
; Occupancy: 8
; WaveLimiterHint : 0
; COMPUTE_PGM_RSRC2:SCRATCH_EN: 0
; COMPUTE_PGM_RSRC2:USER_SGPR: 6
; COMPUTE_PGM_RSRC2:TRAP_HANDLER: 0
; COMPUTE_PGM_RSRC2:TGID_X_EN: 1
; COMPUTE_PGM_RSRC2:TGID_Y_EN: 1
; COMPUTE_PGM_RSRC2:TGID_Z_EN: 1
; COMPUTE_PGM_RSRC2:TIDIG_COMP_CNT: 1
; COMPUTE_PGM_RSRC3_GFX90A:ACCUM_OFFSET: 1
; COMPUTE_PGM_RSRC3_GFX90A:TG_SPLIT: 0
	.section	.text._ZN9rocsolver6v33100L12subtract_tauI19rocblas_complex_numIfEPS3_EEviiT0_iilPT_l,"axG",@progbits,_ZN9rocsolver6v33100L12subtract_tauI19rocblas_complex_numIfEPS3_EEviiT0_iilPT_l,comdat
	.globl	_ZN9rocsolver6v33100L12subtract_tauI19rocblas_complex_numIfEPS3_EEviiT0_iilPT_l ; -- Begin function _ZN9rocsolver6v33100L12subtract_tauI19rocblas_complex_numIfEPS3_EEviiT0_iilPT_l
	.p2align	8
	.type	_ZN9rocsolver6v33100L12subtract_tauI19rocblas_complex_numIfEPS3_EEviiT0_iilPT_l,@function
_ZN9rocsolver6v33100L12subtract_tauI19rocblas_complex_numIfEPS3_EEviiT0_iilPT_l: ; @_ZN9rocsolver6v33100L12subtract_tauI19rocblas_complex_numIfEPS3_EEviiT0_iilPT_l
; %bb.0:
	s_load_dwordx2 s[12:13], s[4:5], 0x10
	s_load_dwordx4 s[0:3], s[4:5], 0x18
	s_load_dwordx4 s[8:11], s[4:5], 0x0
	s_load_dwordx2 s[14:15], s[4:5], 0x28
	v_mov_b32_e32 v2, 0
	s_waitcnt lgkmcnt(0)
	s_ashr_i32 s5, s12, 31
	s_mul_i32 s1, s6, s1
	s_mul_hi_u32 s7, s6, s0
	s_add_i32 s1, s7, s1
	s_mul_i32 s0, s6, s0
	s_lshl_b64 s[0:1], s[0:1], 3
	s_mov_b32 s4, s12
	s_add_u32 s7, s10, s0
	s_addc_u32 s10, s11, s1
	s_lshl_b64 s[0:1], s[4:5], 3
	s_add_u32 s4, s7, s0
	s_addc_u32 s5, s10, s1
	s_mul_i32 s0, s6, s15
	s_mul_hi_u32 s1, s6, s14
	s_add_i32 s1, s1, s0
	s_mul_i32 s0, s6, s14
	s_lshl_b64 s[0:1], s[0:1], 3
	s_add_u32 s0, s2, s0
	s_addc_u32 s1, s3, s1
	s_load_dwordx2 s[2:3], s[0:1], 0x0
	s_waitcnt lgkmcnt(0)
	s_xor_b32 s3, s3, 0x80000000
	s_xor_b32 s6, s2, 0x80000000
	v_mov_b32_e32 v0, s6
	v_mov_b32_e32 v1, s3
	global_store_dwordx2 v2, v[0:1], s[0:1]
	s_mul_i32 s0, s13, s9
	s_add_i32 s0, s0, s8
	s_ashr_i32 s1, s0, 31
	s_lshl_b64 s[0:1], s[0:1], 3
	s_add_u32 s0, s4, s0
	v_sub_f32_e64 v0, 1.0, s2
	s_addc_u32 s1, s5, s1
	global_store_dwordx2 v2, v[0:1], s[0:1]
	s_endpgm
	.section	.rodata,"a",@progbits
	.p2align	6, 0x0
	.amdhsa_kernel _ZN9rocsolver6v33100L12subtract_tauI19rocblas_complex_numIfEPS3_EEviiT0_iilPT_l
		.amdhsa_group_segment_fixed_size 0
		.amdhsa_private_segment_fixed_size 0
		.amdhsa_kernarg_size 48
		.amdhsa_user_sgpr_count 6
		.amdhsa_user_sgpr_private_segment_buffer 1
		.amdhsa_user_sgpr_dispatch_ptr 0
		.amdhsa_user_sgpr_queue_ptr 0
		.amdhsa_user_sgpr_kernarg_segment_ptr 1
		.amdhsa_user_sgpr_dispatch_id 0
		.amdhsa_user_sgpr_flat_scratch_init 0
		.amdhsa_user_sgpr_kernarg_preload_length 0
		.amdhsa_user_sgpr_kernarg_preload_offset 0
		.amdhsa_user_sgpr_private_segment_size 0
		.amdhsa_uses_dynamic_stack 0
		.amdhsa_system_sgpr_private_segment_wavefront_offset 0
		.amdhsa_system_sgpr_workgroup_id_x 1
		.amdhsa_system_sgpr_workgroup_id_y 0
		.amdhsa_system_sgpr_workgroup_id_z 0
		.amdhsa_system_sgpr_workgroup_info 0
		.amdhsa_system_vgpr_workitem_id 0
		.amdhsa_next_free_vgpr 3
		.amdhsa_next_free_sgpr 16
		.amdhsa_accum_offset 4
		.amdhsa_reserve_vcc 0
		.amdhsa_reserve_flat_scratch 0
		.amdhsa_float_round_mode_32 0
		.amdhsa_float_round_mode_16_64 0
		.amdhsa_float_denorm_mode_32 3
		.amdhsa_float_denorm_mode_16_64 3
		.amdhsa_dx10_clamp 1
		.amdhsa_ieee_mode 1
		.amdhsa_fp16_overflow 0
		.amdhsa_tg_split 0
		.amdhsa_exception_fp_ieee_invalid_op 0
		.amdhsa_exception_fp_denorm_src 0
		.amdhsa_exception_fp_ieee_div_zero 0
		.amdhsa_exception_fp_ieee_overflow 0
		.amdhsa_exception_fp_ieee_underflow 0
		.amdhsa_exception_fp_ieee_inexact 0
		.amdhsa_exception_int_div_zero 0
	.end_amdhsa_kernel
	.section	.text._ZN9rocsolver6v33100L12subtract_tauI19rocblas_complex_numIfEPS3_EEviiT0_iilPT_l,"axG",@progbits,_ZN9rocsolver6v33100L12subtract_tauI19rocblas_complex_numIfEPS3_EEviiT0_iilPT_l,comdat
.Lfunc_end113:
	.size	_ZN9rocsolver6v33100L12subtract_tauI19rocblas_complex_numIfEPS3_EEviiT0_iilPT_l, .Lfunc_end113-_ZN9rocsolver6v33100L12subtract_tauI19rocblas_complex_numIfEPS3_EEviiT0_iilPT_l
                                        ; -- End function
	.section	.AMDGPU.csdata,"",@progbits
; Kernel info:
; codeLenInByte = 204
; NumSgprs: 20
; NumVgprs: 3
; NumAgprs: 0
; TotalNumVgprs: 3
; ScratchSize: 0
; MemoryBound: 0
; FloatMode: 240
; IeeeMode: 1
; LDSByteSize: 0 bytes/workgroup (compile time only)
; SGPRBlocks: 2
; VGPRBlocks: 0
; NumSGPRsForWavesPerEU: 20
; NumVGPRsForWavesPerEU: 3
; AccumOffset: 4
; Occupancy: 8
; WaveLimiterHint : 0
; COMPUTE_PGM_RSRC2:SCRATCH_EN: 0
; COMPUTE_PGM_RSRC2:USER_SGPR: 6
; COMPUTE_PGM_RSRC2:TRAP_HANDLER: 0
; COMPUTE_PGM_RSRC2:TGID_X_EN: 1
; COMPUTE_PGM_RSRC2:TGID_Y_EN: 0
; COMPUTE_PGM_RSRC2:TGID_Z_EN: 0
; COMPUTE_PGM_RSRC2:TIDIG_COMP_CNT: 0
; COMPUTE_PGM_RSRC3_GFX90A:ACCUM_OFFSET: 0
; COMPUTE_PGM_RSRC3_GFX90A:TG_SPLIT: 0
	.section	.text._ZN9rocsolver6v33100L6restauI19rocblas_complex_numIfEEEviPT_l,"axG",@progbits,_ZN9rocsolver6v33100L6restauI19rocblas_complex_numIfEEEviPT_l,comdat
	.globl	_ZN9rocsolver6v33100L6restauI19rocblas_complex_numIfEEEviPT_l ; -- Begin function _ZN9rocsolver6v33100L6restauI19rocblas_complex_numIfEEEviPT_l
	.p2align	8
	.type	_ZN9rocsolver6v33100L6restauI19rocblas_complex_numIfEEEviPT_l,@function
_ZN9rocsolver6v33100L6restauI19rocblas_complex_numIfEEEviPT_l: ; @_ZN9rocsolver6v33100L6restauI19rocblas_complex_numIfEEEviPT_l
; %bb.0:
	s_load_dword s0, s[4:5], 0x24
	s_load_dword s1, s[4:5], 0x0
	s_waitcnt lgkmcnt(0)
	s_and_b32 s0, s0, 0xffff
	s_mul_i32 s6, s6, s0
	v_add_u32_e32 v0, s6, v0
	v_cmp_gt_u32_e32 vcc, s1, v0
	s_and_saveexec_b64 s[0:1], vcc
	s_cbranch_execz .LBB114_2
; %bb.1:
	s_load_dwordx4 s[0:3], s[4:5], 0x8
	v_mov_b32_e32 v1, 0
	v_lshlrev_b64 v[0:1], 3, v[0:1]
	s_waitcnt lgkmcnt(0)
	s_mul_i32 s3, s7, s3
	s_mul_hi_u32 s4, s7, s2
	s_mul_i32 s2, s7, s2
	s_add_i32 s3, s4, s3
	s_lshl_b64 s[2:3], s[2:3], 3
	s_add_u32 s0, s0, s2
	s_addc_u32 s1, s1, s3
	v_mov_b32_e32 v2, s1
	v_add_co_u32_e32 v0, vcc, s0, v0
	v_addc_co_u32_e32 v1, vcc, v2, v1, vcc
	global_load_dwordx2 v[2:3], v[0:1], off
	s_waitcnt vmcnt(0)
	v_pk_add_f32 v[2:3], v[2:3], 0 neg_lo:[1,1] neg_hi:[1,1]
	global_store_dwordx2 v[0:1], v[2:3], off
.LBB114_2:
	s_endpgm
	.section	.rodata,"a",@progbits
	.p2align	6, 0x0
	.amdhsa_kernel _ZN9rocsolver6v33100L6restauI19rocblas_complex_numIfEEEviPT_l
		.amdhsa_group_segment_fixed_size 0
		.amdhsa_private_segment_fixed_size 0
		.amdhsa_kernarg_size 280
		.amdhsa_user_sgpr_count 6
		.amdhsa_user_sgpr_private_segment_buffer 1
		.amdhsa_user_sgpr_dispatch_ptr 0
		.amdhsa_user_sgpr_queue_ptr 0
		.amdhsa_user_sgpr_kernarg_segment_ptr 1
		.amdhsa_user_sgpr_dispatch_id 0
		.amdhsa_user_sgpr_flat_scratch_init 0
		.amdhsa_user_sgpr_kernarg_preload_length 0
		.amdhsa_user_sgpr_kernarg_preload_offset 0
		.amdhsa_user_sgpr_private_segment_size 0
		.amdhsa_uses_dynamic_stack 0
		.amdhsa_system_sgpr_private_segment_wavefront_offset 0
		.amdhsa_system_sgpr_workgroup_id_x 1
		.amdhsa_system_sgpr_workgroup_id_y 1
		.amdhsa_system_sgpr_workgroup_id_z 0
		.amdhsa_system_sgpr_workgroup_info 0
		.amdhsa_system_vgpr_workitem_id 0
		.amdhsa_next_free_vgpr 4
		.amdhsa_next_free_sgpr 8
		.amdhsa_accum_offset 4
		.amdhsa_reserve_vcc 1
		.amdhsa_reserve_flat_scratch 0
		.amdhsa_float_round_mode_32 0
		.amdhsa_float_round_mode_16_64 0
		.amdhsa_float_denorm_mode_32 3
		.amdhsa_float_denorm_mode_16_64 3
		.amdhsa_dx10_clamp 1
		.amdhsa_ieee_mode 1
		.amdhsa_fp16_overflow 0
		.amdhsa_tg_split 0
		.amdhsa_exception_fp_ieee_invalid_op 0
		.amdhsa_exception_fp_denorm_src 0
		.amdhsa_exception_fp_ieee_div_zero 0
		.amdhsa_exception_fp_ieee_overflow 0
		.amdhsa_exception_fp_ieee_underflow 0
		.amdhsa_exception_fp_ieee_inexact 0
		.amdhsa_exception_int_div_zero 0
	.end_amdhsa_kernel
	.section	.text._ZN9rocsolver6v33100L6restauI19rocblas_complex_numIfEEEviPT_l,"axG",@progbits,_ZN9rocsolver6v33100L6restauI19rocblas_complex_numIfEEEviPT_l,comdat
.Lfunc_end114:
	.size	_ZN9rocsolver6v33100L6restauI19rocblas_complex_numIfEEEviPT_l, .Lfunc_end114-_ZN9rocsolver6v33100L6restauI19rocblas_complex_numIfEEEviPT_l
                                        ; -- End function
	.section	.AMDGPU.csdata,"",@progbits
; Kernel info:
; codeLenInByte = 144
; NumSgprs: 12
; NumVgprs: 4
; NumAgprs: 0
; TotalNumVgprs: 4
; ScratchSize: 0
; MemoryBound: 0
; FloatMode: 240
; IeeeMode: 1
; LDSByteSize: 0 bytes/workgroup (compile time only)
; SGPRBlocks: 1
; VGPRBlocks: 0
; NumSGPRsForWavesPerEU: 12
; NumVGPRsForWavesPerEU: 4
; AccumOffset: 4
; Occupancy: 8
; WaveLimiterHint : 0
; COMPUTE_PGM_RSRC2:SCRATCH_EN: 0
; COMPUTE_PGM_RSRC2:USER_SGPR: 6
; COMPUTE_PGM_RSRC2:TRAP_HANDLER: 0
; COMPUTE_PGM_RSRC2:TGID_X_EN: 1
; COMPUTE_PGM_RSRC2:TGID_Y_EN: 1
; COMPUTE_PGM_RSRC2:TGID_Z_EN: 0
; COMPUTE_PGM_RSRC2:TIDIG_COMP_CNT: 0
; COMPUTE_PGM_RSRC3_GFX90A:ACCUM_OFFSET: 0
; COMPUTE_PGM_RSRC3_GFX90A:TG_SPLIT: 0
	.section	.text._ZN9rocsolver6v33100L8set_zeroI19rocblas_complex_numIfEPS3_EEviiT0_iil13rocblas_fill_,"axG",@progbits,_ZN9rocsolver6v33100L8set_zeroI19rocblas_complex_numIfEPS3_EEviiT0_iil13rocblas_fill_,comdat
	.globl	_ZN9rocsolver6v33100L8set_zeroI19rocblas_complex_numIfEPS3_EEviiT0_iil13rocblas_fill_ ; -- Begin function _ZN9rocsolver6v33100L8set_zeroI19rocblas_complex_numIfEPS3_EEviiT0_iil13rocblas_fill_
	.p2align	8
	.type	_ZN9rocsolver6v33100L8set_zeroI19rocblas_complex_numIfEPS3_EEviiT0_iil13rocblas_fill_,@function
_ZN9rocsolver6v33100L8set_zeroI19rocblas_complex_numIfEPS3_EEviiT0_iil13rocblas_fill_: ; @_ZN9rocsolver6v33100L8set_zeroI19rocblas_complex_numIfEPS3_EEviiT0_iil13rocblas_fill_
; %bb.0:
	s_load_dword s2, s[4:5], 0x34
	s_load_dwordx2 s[0:1], s[4:5], 0x0
	v_and_b32_e32 v1, 0x3ff, v0
	v_bfe_u32 v0, v0, 10, 10
	s_waitcnt lgkmcnt(0)
	s_lshr_b32 s3, s2, 16
	s_and_b32 s2, s2, 0xffff
	s_mul_i32 s6, s6, s2
	s_mul_i32 s7, s7, s3
	v_add_u32_e32 v2, s6, v1
	v_add_u32_e32 v0, s7, v0
	v_cmp_gt_u32_e32 vcc, s0, v2
	v_cmp_gt_u32_e64 s[0:1], s1, v0
	s_and_b64 s[0:1], vcc, s[0:1]
	s_and_saveexec_b64 s[2:3], s[0:1]
	s_cbranch_execz .LBB115_12
; %bb.1:
	s_load_dword s6, s[4:5], 0x20
	s_waitcnt lgkmcnt(0)
	s_cmpk_lt_i32 s6, 0x7a
	s_cbranch_scc1 .LBB115_4
; %bb.2:
	s_cmpk_gt_i32 s6, 0x7a
	s_cbranch_scc0 .LBB115_5
; %bb.3:
	s_cmpk_eq_i32 s6, 0x7b
	s_cselect_b64 s[0:1], -1, 0
	s_cbranch_execz .LBB115_6
	s_branch .LBB115_7
.LBB115_4:
	s_mov_b64 s[0:1], 0
	s_cbranch_execnz .LBB115_8
	s_branch .LBB115_10
.LBB115_5:
	s_mov_b64 s[0:1], 0
.LBB115_6:
	v_cmp_gt_u32_e32 vcc, v0, v2
	s_andn2_b64 s[0:1], s[0:1], exec
	s_and_b64 s[2:3], vcc, exec
	s_or_b64 s[0:1], s[0:1], s[2:3]
.LBB115_7:
	s_branch .LBB115_10
.LBB115_8:
	s_cmpk_eq_i32 s6, 0x79
	s_cbranch_scc0 .LBB115_10
; %bb.9:
	v_cmp_gt_u32_e32 vcc, v2, v0
	s_andn2_b64 s[0:1], s[0:1], exec
	s_and_b64 s[2:3], vcc, exec
	s_or_b64 s[0:1], s[0:1], s[2:3]
.LBB115_10:
	s_and_b64 exec, exec, s[0:1]
	s_cbranch_execz .LBB115_12
; %bb.11:
	s_load_dwordx4 s[0:3], s[4:5], 0x8
	s_load_dwordx2 s[6:7], s[4:5], 0x18
	s_waitcnt lgkmcnt(0)
	s_ashr_i32 s5, s2, 31
	s_mov_b32 s4, s2
	s_mul_i32 s2, s8, s7
	s_mul_hi_u32 s7, s8, s6
	s_add_i32 s7, s7, s2
	s_mul_i32 s6, s8, s6
	s_lshl_b64 s[6:7], s[6:7], 3
	s_add_u32 s2, s0, s6
	s_addc_u32 s6, s1, s7
	s_lshl_b64 s[0:1], s[4:5], 3
	s_add_u32 s2, s2, s0
	s_addc_u32 s4, s6, s1
	v_mad_u64_u32 v[0:1], s[0:1], v0, s3, v[2:3]
	v_mov_b32_e32 v1, 0
	v_lshlrev_b64 v[2:3], 3, v[0:1]
	v_mov_b32_e32 v0, s4
	v_add_co_u32_e32 v2, vcc, s2, v2
	v_addc_co_u32_e32 v3, vcc, v0, v3, vcc
	v_mov_b32_e32 v0, v1
	global_store_dwordx2 v[2:3], v[0:1], off
.LBB115_12:
	s_endpgm
	.section	.rodata,"a",@progbits
	.p2align	6, 0x0
	.amdhsa_kernel _ZN9rocsolver6v33100L8set_zeroI19rocblas_complex_numIfEPS3_EEviiT0_iil13rocblas_fill_
		.amdhsa_group_segment_fixed_size 0
		.amdhsa_private_segment_fixed_size 0
		.amdhsa_kernarg_size 296
		.amdhsa_user_sgpr_count 6
		.amdhsa_user_sgpr_private_segment_buffer 1
		.amdhsa_user_sgpr_dispatch_ptr 0
		.amdhsa_user_sgpr_queue_ptr 0
		.amdhsa_user_sgpr_kernarg_segment_ptr 1
		.amdhsa_user_sgpr_dispatch_id 0
		.amdhsa_user_sgpr_flat_scratch_init 0
		.amdhsa_user_sgpr_kernarg_preload_length 0
		.amdhsa_user_sgpr_kernarg_preload_offset 0
		.amdhsa_user_sgpr_private_segment_size 0
		.amdhsa_uses_dynamic_stack 0
		.amdhsa_system_sgpr_private_segment_wavefront_offset 0
		.amdhsa_system_sgpr_workgroup_id_x 1
		.amdhsa_system_sgpr_workgroup_id_y 1
		.amdhsa_system_sgpr_workgroup_id_z 1
		.amdhsa_system_sgpr_workgroup_info 0
		.amdhsa_system_vgpr_workitem_id 1
		.amdhsa_next_free_vgpr 4
		.amdhsa_next_free_sgpr 9
		.amdhsa_accum_offset 4
		.amdhsa_reserve_vcc 1
		.amdhsa_reserve_flat_scratch 0
		.amdhsa_float_round_mode_32 0
		.amdhsa_float_round_mode_16_64 0
		.amdhsa_float_denorm_mode_32 3
		.amdhsa_float_denorm_mode_16_64 3
		.amdhsa_dx10_clamp 1
		.amdhsa_ieee_mode 1
		.amdhsa_fp16_overflow 0
		.amdhsa_tg_split 0
		.amdhsa_exception_fp_ieee_invalid_op 0
		.amdhsa_exception_fp_denorm_src 0
		.amdhsa_exception_fp_ieee_div_zero 0
		.amdhsa_exception_fp_ieee_overflow 0
		.amdhsa_exception_fp_ieee_underflow 0
		.amdhsa_exception_fp_ieee_inexact 0
		.amdhsa_exception_int_div_zero 0
	.end_amdhsa_kernel
	.section	.text._ZN9rocsolver6v33100L8set_zeroI19rocblas_complex_numIfEPS3_EEviiT0_iil13rocblas_fill_,"axG",@progbits,_ZN9rocsolver6v33100L8set_zeroI19rocblas_complex_numIfEPS3_EEviiT0_iil13rocblas_fill_,comdat
.Lfunc_end115:
	.size	_ZN9rocsolver6v33100L8set_zeroI19rocblas_complex_numIfEPS3_EEviiT0_iil13rocblas_fill_, .Lfunc_end115-_ZN9rocsolver6v33100L8set_zeroI19rocblas_complex_numIfEPS3_EEviiT0_iil13rocblas_fill_
                                        ; -- End function
	.section	.AMDGPU.csdata,"",@progbits
; Kernel info:
; codeLenInByte = 316
; NumSgprs: 13
; NumVgprs: 4
; NumAgprs: 0
; TotalNumVgprs: 4
; ScratchSize: 0
; MemoryBound: 0
; FloatMode: 240
; IeeeMode: 1
; LDSByteSize: 0 bytes/workgroup (compile time only)
; SGPRBlocks: 1
; VGPRBlocks: 0
; NumSGPRsForWavesPerEU: 13
; NumVGPRsForWavesPerEU: 4
; AccumOffset: 4
; Occupancy: 8
; WaveLimiterHint : 0
; COMPUTE_PGM_RSRC2:SCRATCH_EN: 0
; COMPUTE_PGM_RSRC2:USER_SGPR: 6
; COMPUTE_PGM_RSRC2:TRAP_HANDLER: 0
; COMPUTE_PGM_RSRC2:TGID_X_EN: 1
; COMPUTE_PGM_RSRC2:TGID_Y_EN: 1
; COMPUTE_PGM_RSRC2:TGID_Z_EN: 1
; COMPUTE_PGM_RSRC2:TIDIG_COMP_CNT: 1
; COMPUTE_PGM_RSRC3_GFX90A:ACCUM_OFFSET: 0
; COMPUTE_PGM_RSRC3_GFX90A:TG_SPLIT: 0
	.section	.text._ZN9rocsolver6v33100L6iota_nI19rocblas_complex_numIdEEEvPT_jS4_,"axG",@progbits,_ZN9rocsolver6v33100L6iota_nI19rocblas_complex_numIdEEEvPT_jS4_,comdat
	.globl	_ZN9rocsolver6v33100L6iota_nI19rocblas_complex_numIdEEEvPT_jS4_ ; -- Begin function _ZN9rocsolver6v33100L6iota_nI19rocblas_complex_numIdEEEvPT_jS4_
	.p2align	8
	.type	_ZN9rocsolver6v33100L6iota_nI19rocblas_complex_numIdEEEvPT_jS4_,@function
_ZN9rocsolver6v33100L6iota_nI19rocblas_complex_numIdEEEvPT_jS4_: ; @_ZN9rocsolver6v33100L6iota_nI19rocblas_complex_numIdEEEvPT_jS4_
; %bb.0:
	s_load_dword s0, s[4:5], 0x8
	s_waitcnt lgkmcnt(0)
	v_cmp_gt_u32_e32 vcc, s0, v0
	s_and_saveexec_b64 s[0:1], vcc
	s_cbranch_execz .LBB116_2
; %bb.1:
	s_load_dwordx4 s[0:3], s[4:5], 0x10
	s_load_dwordx2 s[6:7], s[4:5], 0x0
	v_lshlrev_b32_e32 v4, 4, v0
	v_cvt_f64_u32_e32 v[0:1], v0
	s_waitcnt lgkmcnt(0)
	v_add_f64 v[2:3], s[2:3], 0
	v_add_f64 v[0:1], s[0:1], v[0:1]
	global_store_dwordx4 v4, v[0:3], s[6:7]
.LBB116_2:
	s_endpgm
	.section	.rodata,"a",@progbits
	.p2align	6, 0x0
	.amdhsa_kernel _ZN9rocsolver6v33100L6iota_nI19rocblas_complex_numIdEEEvPT_jS4_
		.amdhsa_group_segment_fixed_size 0
		.amdhsa_private_segment_fixed_size 0
		.amdhsa_kernarg_size 32
		.amdhsa_user_sgpr_count 6
		.amdhsa_user_sgpr_private_segment_buffer 1
		.amdhsa_user_sgpr_dispatch_ptr 0
		.amdhsa_user_sgpr_queue_ptr 0
		.amdhsa_user_sgpr_kernarg_segment_ptr 1
		.amdhsa_user_sgpr_dispatch_id 0
		.amdhsa_user_sgpr_flat_scratch_init 0
		.amdhsa_user_sgpr_kernarg_preload_length 0
		.amdhsa_user_sgpr_kernarg_preload_offset 0
		.amdhsa_user_sgpr_private_segment_size 0
		.amdhsa_uses_dynamic_stack 0
		.amdhsa_system_sgpr_private_segment_wavefront_offset 0
		.amdhsa_system_sgpr_workgroup_id_x 1
		.amdhsa_system_sgpr_workgroup_id_y 0
		.amdhsa_system_sgpr_workgroup_id_z 0
		.amdhsa_system_sgpr_workgroup_info 0
		.amdhsa_system_vgpr_workitem_id 0
		.amdhsa_next_free_vgpr 5
		.amdhsa_next_free_sgpr 8
		.amdhsa_accum_offset 8
		.amdhsa_reserve_vcc 1
		.amdhsa_reserve_flat_scratch 0
		.amdhsa_float_round_mode_32 0
		.amdhsa_float_round_mode_16_64 0
		.amdhsa_float_denorm_mode_32 3
		.amdhsa_float_denorm_mode_16_64 3
		.amdhsa_dx10_clamp 1
		.amdhsa_ieee_mode 1
		.amdhsa_fp16_overflow 0
		.amdhsa_tg_split 0
		.amdhsa_exception_fp_ieee_invalid_op 0
		.amdhsa_exception_fp_denorm_src 0
		.amdhsa_exception_fp_ieee_div_zero 0
		.amdhsa_exception_fp_ieee_overflow 0
		.amdhsa_exception_fp_ieee_underflow 0
		.amdhsa_exception_fp_ieee_inexact 0
		.amdhsa_exception_int_div_zero 0
	.end_amdhsa_kernel
	.section	.text._ZN9rocsolver6v33100L6iota_nI19rocblas_complex_numIdEEEvPT_jS4_,"axG",@progbits,_ZN9rocsolver6v33100L6iota_nI19rocblas_complex_numIdEEEvPT_jS4_,comdat
.Lfunc_end116:
	.size	_ZN9rocsolver6v33100L6iota_nI19rocblas_complex_numIdEEEvPT_jS4_, .Lfunc_end116-_ZN9rocsolver6v33100L6iota_nI19rocblas_complex_numIdEEEvPT_jS4_
                                        ; -- End function
	.section	.AMDGPU.csdata,"",@progbits
; Kernel info:
; codeLenInByte = 80
; NumSgprs: 12
; NumVgprs: 5
; NumAgprs: 0
; TotalNumVgprs: 5
; ScratchSize: 0
; MemoryBound: 0
; FloatMode: 240
; IeeeMode: 1
; LDSByteSize: 0 bytes/workgroup (compile time only)
; SGPRBlocks: 1
; VGPRBlocks: 0
; NumSGPRsForWavesPerEU: 12
; NumVGPRsForWavesPerEU: 5
; AccumOffset: 8
; Occupancy: 8
; WaveLimiterHint : 0
; COMPUTE_PGM_RSRC2:SCRATCH_EN: 0
; COMPUTE_PGM_RSRC2:USER_SGPR: 6
; COMPUTE_PGM_RSRC2:TRAP_HANDLER: 0
; COMPUTE_PGM_RSRC2:TGID_X_EN: 1
; COMPUTE_PGM_RSRC2:TGID_Y_EN: 0
; COMPUTE_PGM_RSRC2:TGID_Z_EN: 0
; COMPUTE_PGM_RSRC2:TIDIG_COMP_CNT: 0
; COMPUTE_PGM_RSRC3_GFX90A:ACCUM_OFFSET: 1
; COMPUTE_PGM_RSRC3_GFX90A:TG_SPLIT: 0
	.section	.text._ZN9rocsolver6v33100L16syev_scalar_caseI19rocblas_complex_numIdEdPS3_TnNSt9enable_ifIX18rocblas_is_complexIT_EEiE4typeELi0EEEv14rocblas_evect_T1_lPT0_li,"axG",@progbits,_ZN9rocsolver6v33100L16syev_scalar_caseI19rocblas_complex_numIdEdPS3_TnNSt9enable_ifIX18rocblas_is_complexIT_EEiE4typeELi0EEEv14rocblas_evect_T1_lPT0_li,comdat
	.globl	_ZN9rocsolver6v33100L16syev_scalar_caseI19rocblas_complex_numIdEdPS3_TnNSt9enable_ifIX18rocblas_is_complexIT_EEiE4typeELi0EEEv14rocblas_evect_T1_lPT0_li ; -- Begin function _ZN9rocsolver6v33100L16syev_scalar_caseI19rocblas_complex_numIdEdPS3_TnNSt9enable_ifIX18rocblas_is_complexIT_EEiE4typeELi0EEEv14rocblas_evect_T1_lPT0_li
	.p2align	8
	.type	_ZN9rocsolver6v33100L16syev_scalar_caseI19rocblas_complex_numIdEdPS3_TnNSt9enable_ifIX18rocblas_is_complexIT_EEiE4typeELi0EEEv14rocblas_evect_T1_lPT0_li,@function
_ZN9rocsolver6v33100L16syev_scalar_caseI19rocblas_complex_numIdEdPS3_TnNSt9enable_ifIX18rocblas_is_complexIT_EEiE4typeELi0EEEv14rocblas_evect_T1_lPT0_li: ; @_ZN9rocsolver6v33100L16syev_scalar_caseI19rocblas_complex_numIdEdPS3_TnNSt9enable_ifIX18rocblas_is_complexIT_EEiE4typeELi0EEEv14rocblas_evect_T1_lPT0_li
; %bb.0:
	s_load_dword s0, s[4:5], 0x3c
	s_load_dword s1, s[4:5], 0x28
	s_waitcnt lgkmcnt(0)
	s_and_b32 s0, s0, 0xffff
	s_mul_i32 s6, s6, s0
	v_add_u32_e32 v2, s6, v0
	v_cmp_gt_i32_e32 vcc, s1, v2
	s_and_saveexec_b64 s[0:1], vcc
	s_cbranch_execz .LBB117_3
; %bb.1:
	s_load_dwordx8 s[8:15], s[4:5], 0x8
	v_ashrrev_i32_e32 v3, 31, v2
	s_load_dword s2, s[4:5], 0x0
	s_waitcnt lgkmcnt(0)
	v_mul_lo_u32 v4, v2, s11
	v_mul_lo_u32 v5, v3, s10
	v_mad_u64_u32 v[0:1], s[0:1], v2, s10, 0
	v_add3_u32 v1, v1, v4, v5
	v_lshlrev_b64 v[0:1], 4, v[0:1]
	v_mov_b32_e32 v4, s9
	v_add_co_u32_e32 v0, vcc, s8, v0
	v_addc_co_u32_e32 v1, vcc, v4, v1, vcc
	global_load_dwordx2 v[4:5], v[0:1], off
	v_mul_lo_u32 v6, v2, s15
	v_mul_lo_u32 v7, v3, s14
	v_mad_u64_u32 v[2:3], s[0:1], v2, s14, 0
	v_add3_u32 v3, v3, v6, v7
	v_lshlrev_b64 v[2:3], 3, v[2:3]
	v_mov_b32_e32 v6, s13
	v_add_co_u32_e32 v2, vcc, s12, v2
	v_addc_co_u32_e32 v3, vcc, v6, v3, vcc
	s_cmpk_lg_i32 s2, 0xd3
	s_waitcnt vmcnt(0)
	global_store_dwordx2 v[2:3], v[4:5], off
	s_cbranch_scc1 .LBB117_3
; %bb.2:
	v_mov_b32_e32 v2, 0
	v_mov_b32_e32 v3, 0x3ff00000
	;; [unrolled: 1-line block ×4, first 2 shown]
	global_store_dwordx4 v[0:1], v[2:5], off
.LBB117_3:
	s_endpgm
	.section	.rodata,"a",@progbits
	.p2align	6, 0x0
	.amdhsa_kernel _ZN9rocsolver6v33100L16syev_scalar_caseI19rocblas_complex_numIdEdPS3_TnNSt9enable_ifIX18rocblas_is_complexIT_EEiE4typeELi0EEEv14rocblas_evect_T1_lPT0_li
		.amdhsa_group_segment_fixed_size 0
		.amdhsa_private_segment_fixed_size 0
		.amdhsa_kernarg_size 304
		.amdhsa_user_sgpr_count 6
		.amdhsa_user_sgpr_private_segment_buffer 1
		.amdhsa_user_sgpr_dispatch_ptr 0
		.amdhsa_user_sgpr_queue_ptr 0
		.amdhsa_user_sgpr_kernarg_segment_ptr 1
		.amdhsa_user_sgpr_dispatch_id 0
		.amdhsa_user_sgpr_flat_scratch_init 0
		.amdhsa_user_sgpr_kernarg_preload_length 0
		.amdhsa_user_sgpr_kernarg_preload_offset 0
		.amdhsa_user_sgpr_private_segment_size 0
		.amdhsa_uses_dynamic_stack 0
		.amdhsa_system_sgpr_private_segment_wavefront_offset 0
		.amdhsa_system_sgpr_workgroup_id_x 1
		.amdhsa_system_sgpr_workgroup_id_y 0
		.amdhsa_system_sgpr_workgroup_id_z 0
		.amdhsa_system_sgpr_workgroup_info 0
		.amdhsa_system_vgpr_workitem_id 0
		.amdhsa_next_free_vgpr 8
		.amdhsa_next_free_sgpr 16
		.amdhsa_accum_offset 8
		.amdhsa_reserve_vcc 1
		.amdhsa_reserve_flat_scratch 0
		.amdhsa_float_round_mode_32 0
		.amdhsa_float_round_mode_16_64 0
		.amdhsa_float_denorm_mode_32 3
		.amdhsa_float_denorm_mode_16_64 3
		.amdhsa_dx10_clamp 1
		.amdhsa_ieee_mode 1
		.amdhsa_fp16_overflow 0
		.amdhsa_tg_split 0
		.amdhsa_exception_fp_ieee_invalid_op 0
		.amdhsa_exception_fp_denorm_src 0
		.amdhsa_exception_fp_ieee_div_zero 0
		.amdhsa_exception_fp_ieee_overflow 0
		.amdhsa_exception_fp_ieee_underflow 0
		.amdhsa_exception_fp_ieee_inexact 0
		.amdhsa_exception_int_div_zero 0
	.end_amdhsa_kernel
	.section	.text._ZN9rocsolver6v33100L16syev_scalar_caseI19rocblas_complex_numIdEdPS3_TnNSt9enable_ifIX18rocblas_is_complexIT_EEiE4typeELi0EEEv14rocblas_evect_T1_lPT0_li,"axG",@progbits,_ZN9rocsolver6v33100L16syev_scalar_caseI19rocblas_complex_numIdEdPS3_TnNSt9enable_ifIX18rocblas_is_complexIT_EEiE4typeELi0EEEv14rocblas_evect_T1_lPT0_li,comdat
.Lfunc_end117:
	.size	_ZN9rocsolver6v33100L16syev_scalar_caseI19rocblas_complex_numIdEdPS3_TnNSt9enable_ifIX18rocblas_is_complexIT_EEiE4typeELi0EEEv14rocblas_evect_T1_lPT0_li, .Lfunc_end117-_ZN9rocsolver6v33100L16syev_scalar_caseI19rocblas_complex_numIdEdPS3_TnNSt9enable_ifIX18rocblas_is_complexIT_EEiE4typeELi0EEEv14rocblas_evect_T1_lPT0_li
                                        ; -- End function
	.section	.AMDGPU.csdata,"",@progbits
; Kernel info:
; codeLenInByte = 236
; NumSgprs: 20
; NumVgprs: 8
; NumAgprs: 0
; TotalNumVgprs: 8
; ScratchSize: 0
; MemoryBound: 0
; FloatMode: 240
; IeeeMode: 1
; LDSByteSize: 0 bytes/workgroup (compile time only)
; SGPRBlocks: 2
; VGPRBlocks: 0
; NumSGPRsForWavesPerEU: 20
; NumVGPRsForWavesPerEU: 8
; AccumOffset: 8
; Occupancy: 8
; WaveLimiterHint : 0
; COMPUTE_PGM_RSRC2:SCRATCH_EN: 0
; COMPUTE_PGM_RSRC2:USER_SGPR: 6
; COMPUTE_PGM_RSRC2:TRAP_HANDLER: 0
; COMPUTE_PGM_RSRC2:TGID_X_EN: 1
; COMPUTE_PGM_RSRC2:TGID_Y_EN: 0
; COMPUTE_PGM_RSRC2:TGID_Z_EN: 0
; COMPUTE_PGM_RSRC2:TIDIG_COMP_CNT: 0
; COMPUTE_PGM_RSRC3_GFX90A:ACCUM_OFFSET: 1
; COMPUTE_PGM_RSRC3_GFX90A:TG_SPLIT: 0
	.section	.text._ZN9rocsolver6v33100L18syevj_small_kernelI19rocblas_complex_numIdEdPS3_EEv14rocblas_esort_14rocblas_evect_13rocblas_fill_iT1_iilT0_S9_PS9_iPiSA_lSB_PT_,"axG",@progbits,_ZN9rocsolver6v33100L18syevj_small_kernelI19rocblas_complex_numIdEdPS3_EEv14rocblas_esort_14rocblas_evect_13rocblas_fill_iT1_iilT0_S9_PS9_iPiSA_lSB_PT_,comdat
	.globl	_ZN9rocsolver6v33100L18syevj_small_kernelI19rocblas_complex_numIdEdPS3_EEv14rocblas_esort_14rocblas_evect_13rocblas_fill_iT1_iilT0_S9_PS9_iPiSA_lSB_PT_ ; -- Begin function _ZN9rocsolver6v33100L18syevj_small_kernelI19rocblas_complex_numIdEdPS3_EEv14rocblas_esort_14rocblas_evect_13rocblas_fill_iT1_iilT0_S9_PS9_iPiSA_lSB_PT_
	.p2align	8
	.type	_ZN9rocsolver6v33100L18syevj_small_kernelI19rocblas_complex_numIdEdPS3_EEv14rocblas_esort_14rocblas_evect_13rocblas_fill_iT1_iilT0_S9_PS9_iPiSA_lSB_PT_,@function
_ZN9rocsolver6v33100L18syevj_small_kernelI19rocblas_complex_numIdEdPS3_EEv14rocblas_esort_14rocblas_evect_13rocblas_fill_iT1_iilT0_S9_PS9_iPiSA_lSB_PT_: ; @_ZN9rocsolver6v33100L18syevj_small_kernelI19rocblas_complex_numIdEdPS3_EEv14rocblas_esort_14rocblas_evect_13rocblas_fill_iT1_iilT0_S9_PS9_iPiSA_lSB_PT_
; %bb.0:
	s_load_dwordx8 s[20:27], s[4:5], 0x0
	s_load_dwordx8 s[12:19], s[4:5], 0x20
	s_load_dwordx2 s[66:67], s[4:5], 0x68
	s_add_u32 s0, s0, s10
	s_addc_u32 s1, s1, 0
	s_waitcnt lgkmcnt(0)
	s_lshr_b32 s6, s23, 31
	s_add_i32 s6, s23, s6
	s_and_b32 s6, s6, -2
	s_sub_i32 s70, s23, s6
	s_mov_b32 s50, s9
	s_add_i32 s70, s70, s23
	s_ashr_i32 s51, s9, 31
	s_mul_i32 s8, s9, s13
	s_mul_hi_u32 s9, s9, s12
	s_lshr_b32 s6, s70, 31
	s_add_i32 s8, s9, s8
	s_mul_i32 s9, s51, s12
	s_add_i32 s6, s70, s6
	s_add_i32 s9, s8, s9
	s_mul_i32 s8, s50, s12
	s_ashr_i32 s44, s6, 1
	s_ashr_i32 s7, s26, 31
	s_lshl_b64 s[8:9], s[8:9], 4
	s_mov_b32 s6, s26
	s_add_u32 s10, s24, s8
	s_addc_u32 s11, s25, s9
	s_lshl_b64 s[28:29], s[6:7], 4
	s_mul_i32 s6, s50, s23
	s_add_u32 s34, s10, s28
	s_mul_i32 s6, s6, s23
	s_addc_u32 s35, s11, s29
	s_ashr_i32 s7, s6, 31
	s_lshl_b64 s[68:69], s[6:7], 4
	s_add_u32 s48, s66, s68
	s_addc_u32 s49, s67, s69
	s_min_i32 s33, s44, 0x100
	s_abs_i32 s6, s33
	v_cvt_f32_u32_e32 v1, s6
	s_sub_i32 s7, 0, s6
	s_ashr_i32 s71, s33, 31
	s_load_dwordx8 s[36:43], s[4:5], 0x48
	v_rcp_iflag_f32_e32 v1, v1
	v_mul_f32_e32 v1, 0x4f7ffffe, v1
	v_cvt_u32_f32_e32 v1, v1
	v_readfirstlane_b32 s10, v1
	s_mul_i32 s7, s7, s10
	s_mul_hi_u32 s7, s10, s7
	s_add_i32 s10, s10, s7
	s_lshr_b32 s7, s10, 22
	s_mul_i32 s11, s7, s6
	v_mul_hi_u32 v1, v0, s10
	s_sub_i32 s11, 0x400, s11
	v_mul_lo_u32 v2, v1, s6
	s_add_i32 s12, s7, 1
	s_sub_i32 s13, s11, s6
	v_sub_u32_e32 v2, v0, v2
	s_cmp_ge_u32 s11, s6
	v_add_u32_e32 v3, 1, v1
	v_cmp_le_u32_e32 vcc, s6, v2
	s_cselect_b32 s7, s12, s7
	v_cndmask_b32_e32 v1, v1, v3, vcc
	v_subrev_u32_e32 v3, s6, v2
	s_cselect_b32 s11, s13, s11
	s_add_i32 s12, s7, 1
	v_cndmask_b32_e32 v2, v2, v3, vcc
	s_cmp_ge_u32 s11, s6
	v_add_u32_e32 v3, 1, v1
	v_cmp_le_u32_e32 vcc, s6, v2
	s_cselect_b32 s7, s12, s7
	v_cndmask_b32_e32 v1, v1, v3, vcc
	s_xor_b32 s7, s7, s71
	v_xor_b32_e32 v32, s71, v1
	s_sub_i32 s46, s7, s71
	v_subrev_u32_e32 v14, s71, v32
	s_min_i32 s26, s44, s46
	v_mul_lo_u32 v1, v14, s33
	s_lshl_b32 s73, s26, 3
	v_sub_u32_e32 v33, v0, v1
	s_add_i32 s72, s73, 0
	v_cmp_eq_u32_e64 s[12:13], 0, v33
	s_and_saveexec_b64 s[52:53], s[12:13]
	s_cbranch_execz .LBB118_32
; %bb.1:
	s_cmpk_eq_i32 s22, 0x79
	v_cmp_gt_i32_e64 s[6:7], s23, v14
	s_cbranch_scc1 .LBB118_13
; %bb.2:
	v_pk_mov_b32 v[16:17], 0, 0
	s_mov_b64 s[10:11], 0
	v_pk_mov_b32 v[18:19], v[16:17], v[16:17] op_sel:[0,1]
	s_and_saveexec_b64 s[54:55], s[6:7]
	s_cbranch_execz .LBB118_15
; %bb.3:
	s_cmpk_lg_i32 s21, 0xd5
	s_cselect_b64 s[30:31], -1, 0
	s_add_u32 s8, s8, s28
	s_addc_u32 s9, s9, s29
	v_ashrrev_i32_e32 v15, 31, v14
	s_add_u32 s8, s24, s8
	v_lshlrev_b64 v[2:3], 4, v[14:15]
	s_addc_u32 s9, s25, s9
	v_mov_b32_e32 v4, s9
	v_add_co_u32_e32 v5, vcc, s8, v2
	v_addc_co_u32_e32 v4, vcc, v4, v3, vcc
	v_add_co_u32_e32 v20, vcc, 8, v5
	s_ashr_i32 s47, s46, 31
	v_addc_co_u32_e32 v21, vcc, 0, v4, vcc
	s_ashr_i32 s45, s44, 31
	v_pk_mov_b32 v[4:5], s[46:47], s[46:47] op_sel:[0,1]
	v_cmp_lt_i64_e32 vcc, s[44:45], v[4:5]
	s_and_b64 s[8:9], vcc, exec
	s_cselect_b32 s9, s45, s47
	s_cselect_b32 s8, s44, s46
	s_lshl_b64 s[24:25], s[8:9], 4
	s_ashr_i32 s9, s27, 31
	s_mov_b32 s8, s27
	s_lshl_b64 s[56:57], s[8:9], 4
	s_add_u32 s8, s66, s68
	s_addc_u32 s9, s67, s69
	s_add_u32 s45, s8, 8
	s_addc_u32 s8, s9, 0
	v_mov_b32_e32 v15, s8
	v_add_co_u32_e32 v24, vcc, s45, v2
	s_ashr_i32 s9, s23, 31
	s_mov_b32 s8, s23
	v_pk_mov_b32 v[16:17], 0, 0
	v_cndmask_b32_e64 v2, 0, 1, s[30:31]
	v_mul_lo_u32 v27, s27, v14
	s_mul_i32 s22, s27, s26
	v_mul_lo_u32 v22, s23, v14
	s_mul_i32 s47, s23, s26
	v_addc_co_u32_e32 v25, vcc, v15, v3, vcc
	s_lshl_b64 s[60:61], s[8:9], 4
	s_mov_b64 s[58:59], 0
	v_mov_b32_e32 v34, s35
	v_mov_b32_e32 v35, s49
	v_cmp_ne_u32_e64 s[8:9], 1, v2
	s_mov_b32 s28, 0
	v_mov_b32_e32 v2, 0
	v_mov_b32_e32 v3, 0x3ff00000
	;; [unrolled: 1-line block ×3, first 2 shown]
	v_pk_mov_b32 v[18:19], v[16:17], v[16:17] op_sel:[0,1]
	s_branch .LBB118_6
.LBB118_4:                              ;   in Loop: Header=BB118_6 Depth=1
	s_or_b64 exec, exec, s[64:65]
.LBB118_5:                              ;   in Loop: Header=BB118_6 Depth=1
	s_or_b64 exec, exec, s[62:63]
	v_mul_f64 v[4:5], v[8:9], v[8:9]
	v_fmac_f64_e32 v[4:5], v[6:7], v[6:7]
	v_add_f64 v[18:19], v[18:19], v[4:5]
	v_mov_b32_e32 v4, s25
	v_add_co_u32_e32 v20, vcc, s24, v20
	v_add_u32_e32 v26, s26, v26
	v_addc_co_u32_e32 v21, vcc, v21, v4, vcc
	v_cmp_le_i32_e32 vcc, s23, v26
	s_or_b64 s[58:59], vcc, s[58:59]
	v_add_co_u32_e32 v24, vcc, s24, v24
	v_add_u32_e32 v27, s22, v27
	v_add_u32_e32 v22, s47, v22
	v_addc_co_u32_e32 v25, vcc, v25, v4, vcc
	s_andn2_b64 exec, exec, s[58:59]
	s_cbranch_execz .LBB118_14
.LBB118_6:                              ; =>This Loop Header: Depth=1
                                        ;     Child Loop BB118_11 Depth 2
	v_mad_u64_u32 v[4:5], s[30:31], v26, s27, v[26:27]
	v_ashrrev_i32_e32 v5, 31, v4
	v_lshlrev_b64 v[4:5], 4, v[4:5]
	v_add_co_u32_e32 v10, vcc, s34, v4
	v_addc_co_u32_e32 v11, vcc, v34, v5, vcc
	global_load_dwordx4 v[6:9], v[10:11], off
	v_mad_u64_u32 v[4:5], s[30:31], v26, s23, v[26:27]
	v_ashrrev_i32_e32 v5, 31, v4
	v_lshlrev_b64 v[4:5], 4, v[4:5]
	v_add_co_u32_e32 v4, vcc, s48, v4
	v_addc_co_u32_e32 v5, vcc, v35, v5, vcc
	s_and_b64 vcc, exec, s[8:9]
	s_waitcnt vmcnt(0)
	global_store_dwordx4 v[4:5], v[6:9], off
	s_cbranch_vccnz .LBB118_8
; %bb.7:                                ;   in Loop: Header=BB118_6 Depth=1
	v_mov_b32_e32 v4, v2
	v_mov_b32_e32 v5, v2
	global_store_dwordx4 v[10:11], v[2:5], off
.LBB118_8:                              ;   in Loop: Header=BB118_6 Depth=1
	v_cmp_lt_i32_e32 vcc, 0, v26
	s_and_saveexec_b64 s[62:63], vcc
	s_cbranch_execz .LBB118_5
; %bb.9:                                ;   in Loop: Header=BB118_6 Depth=1
	v_ashrrev_i32_e32 v23, 31, v22
	v_lshlrev_b64 v[4:5], 4, v[22:23]
	v_add_co_u32_e32 v4, vcc, s45, v4
	v_addc_co_u32_e32 v5, vcc, v15, v5, vcc
	s_mov_b32 s74, 0
	s_mov_b64 s[64:65], 0
	v_pk_mov_b32 v[28:29], v[24:25], v[24:25] op_sel:[0,1]
	v_pk_mov_b32 v[30:31], v[20:21], v[20:21] op_sel:[0,1]
	s_branch .LBB118_11
.LBB118_10:                             ;   in Loop: Header=BB118_11 Depth=2
	v_mul_f64 v[12:13], v[12:13], v[12:13]
	v_fmac_f64_e32 v[12:13], v[10:11], v[10:11]
	v_mov_b32_e32 v10, s57
	v_add_co_u32_e32 v30, vcc, s56, v30
	v_addc_co_u32_e32 v31, vcc, v31, v10, vcc
	v_add_co_u32_e32 v4, vcc, 16, v4
	s_add_i32 s74, s74, 1
	v_addc_co_u32_e32 v5, vcc, 0, v5, vcc
	v_cmp_ge_i32_e32 vcc, s74, v26
	v_mov_b32_e32 v10, s61
	s_or_b64 s[64:65], vcc, s[64:65]
	v_add_co_u32_e32 v28, vcc, s60, v28
	v_fmac_f64_e32 v[16:17], 2.0, v[12:13]
	v_addc_co_u32_e32 v29, vcc, v29, v10, vcc
	s_andn2_b64 exec, exec, s[64:65]
	s_cbranch_execz .LBB118_4
.LBB118_11:                             ;   Parent Loop BB118_6 Depth=1
                                        ; =>  This Inner Loop Header: Depth=2
	global_load_dwordx4 v[10:13], v[30:31], off offset:-8
	s_and_b64 vcc, exec, s[8:9]
	s_waitcnt vmcnt(0)
	v_xor_b32_e32 v23, 0x80000000, v13
	v_pk_mov_b32 v[38:39], v[12:13], v[12:13] op_sel:[0,1]
	v_pk_mov_b32 v[36:37], v[10:11], v[10:11] op_sel:[0,1]
	v_mov_b32_e32 v39, v23
	global_store_dwordx4 v[28:29], v[10:13], off offset:-8
	global_store_dwordx4 v[4:5], v[36:39], off offset:-8
	s_cbranch_vccnz .LBB118_10
; %bb.12:                               ;   in Loop: Header=BB118_11 Depth=2
	v_add_u32_e32 v36, s74, v27
	v_ashrrev_i32_e32 v37, 31, v36
	v_lshlrev_b64 v[36:37], 4, v[36:37]
	v_mov_b32_e32 v23, s35
	v_add_co_u32_e32 v40, vcc, s34, v36
	s_mov_b32 s30, s28
	s_mov_b32 s31, s28
	v_addc_co_u32_e32 v41, vcc, v23, v37, vcc
	s_mov_b32 s29, s28
	v_pk_mov_b32 v[38:39], s[30:31], s[30:31] op_sel:[0,1]
	v_pk_mov_b32 v[36:37], s[28:29], s[28:29] op_sel:[0,1]
	global_store_dwordx4 v[30:31], v[36:39], off offset:-8
	global_store_dwordx4 v[40:41], v[36:39], off
	s_branch .LBB118_10
.LBB118_13:
                                        ; implicit-def: $vgpr16_vgpr17
                                        ; implicit-def: $vgpr18_vgpr19
	s_branch .LBB118_16
.LBB118_14:
	s_or_b64 exec, exec, s[58:59]
.LBB118_15:
	s_or_b64 exec, exec, s[54:55]
	s_andn2_b64 vcc, exec, s[10:11]
	s_cbranch_vccnz .LBB118_29
.LBB118_16:
	v_pk_mov_b32 v[16:17], 0, 0
	v_pk_mov_b32 v[18:19], v[16:17], v[16:17] op_sel:[0,1]
	s_and_saveexec_b64 s[24:25], s[6:7]
	s_cbranch_execz .LBB118_28
; %bb.17:
	s_cmpk_lg_i32 s21, 0xd5
	s_cselect_b64 s[6:7], -1, 0
	s_add_i32 s22, s23, -1
	s_mul_i32 s8, s27, s22
	v_add_u32_e32 v2, s8, v32
	s_add_u32 s8, s66, s68
	s_addc_u32 s9, s67, s69
	v_subrev_u32_e32 v23, s71, v2
	s_add_u32 s47, s8, 8
	v_mul_lo_u32 v2, s23, v14
	s_mul_i32 s8, s23, s22
	v_add_u32_e32 v20, s22, v2
	v_add_u32_e32 v2, s8, v32
	v_subrev_u32_e32 v30, s71, v2
	v_pk_mov_b32 v[16:17], 0, 0
	v_cndmask_b32_e64 v2, 0, 1, s[6:7]
	v_mul_lo_u32 v15, s27, v14
	s_mul_i32 s45, s27, s26
	s_addc_u32 s56, s9, 0
	s_mul_i32 s57, s23, s26
	s_mov_b64 s[28:29], 0
	v_mov_b32_e32 v31, s35
	v_mov_b32_e32 v34, s49
	v_cmp_ne_u32_e64 s[6:7], 1, v2
	s_mov_b32 s8, 0
	v_mov_b32_e32 v2, 0
	v_mov_b32_e32 v3, 0x3ff00000
	;; [unrolled: 1-line block ×3, first 2 shown]
	v_pk_mov_b32 v[18:19], v[16:17], v[16:17] op_sel:[0,1]
	s_branch .LBB118_20
.LBB118_18:                             ;   in Loop: Header=BB118_20 Depth=1
	s_or_b64 exec, exec, s[54:55]
.LBB118_19:                             ;   in Loop: Header=BB118_20 Depth=1
	s_or_b64 exec, exec, s[30:31]
	v_mul_f64 v[4:5], v[8:9], v[8:9]
	v_add_u32_e32 v22, s26, v22
	v_fmac_f64_e32 v[4:5], v[6:7], v[6:7]
	v_cmp_le_i32_e32 vcc, s23, v22
	v_add_f64 v[18:19], v[18:19], v[4:5]
	v_add_u32_e32 v15, s45, v15
	v_add_u32_e32 v23, s26, v23
	;; [unrolled: 1-line block ×3, first 2 shown]
	s_or_b64 s[28:29], vcc, s[28:29]
	v_add_u32_e32 v30, s26, v30
	s_andn2_b64 exec, exec, s[28:29]
	s_cbranch_execz .LBB118_27
.LBB118_20:                             ; =>This Loop Header: Depth=1
                                        ;     Child Loop BB118_25 Depth 2
	v_mad_u64_u32 v[4:5], s[10:11], v22, s27, v[22:23]
	v_ashrrev_i32_e32 v5, 31, v4
	v_lshlrev_b64 v[4:5], 4, v[4:5]
	v_add_co_u32_e32 v10, vcc, s34, v4
	v_addc_co_u32_e32 v11, vcc, v31, v5, vcc
	global_load_dwordx4 v[6:9], v[10:11], off
	v_mad_u64_u32 v[4:5], s[10:11], v22, s23, v[22:23]
	v_ashrrev_i32_e32 v5, 31, v4
	v_lshlrev_b64 v[4:5], 4, v[4:5]
	v_add_co_u32_e32 v4, vcc, s48, v4
	v_addc_co_u32_e32 v5, vcc, v34, v5, vcc
	s_and_b64 vcc, exec, s[6:7]
	s_waitcnt vmcnt(0)
	global_store_dwordx4 v[4:5], v[6:9], off
	s_cbranch_vccnz .LBB118_22
; %bb.21:                               ;   in Loop: Header=BB118_20 Depth=1
	v_mov_b32_e32 v4, v2
	v_mov_b32_e32 v5, v2
	global_store_dwordx4 v[10:11], v[2:5], off
.LBB118_22:                             ;   in Loop: Header=BB118_20 Depth=1
	v_cmp_gt_i32_e32 vcc, s22, v22
	s_and_saveexec_b64 s[30:31], vcc
	s_cbranch_execz .LBB118_19
; %bb.23:                               ;   in Loop: Header=BB118_20 Depth=1
	v_ashrrev_i32_e32 v21, 31, v20
	v_lshlrev_b64 v[4:5], 4, v[20:21]
	v_mov_b32_e32 v10, s56
	v_add_co_u32_e32 v4, vcc, s47, v4
	v_addc_co_u32_e32 v5, vcc, v10, v5, vcc
	s_mov_b64 s[54:55], 0
	v_mov_b32_e32 v24, v30
	v_mov_b32_e32 v26, v23
	s_mov_b32 s58, s22
	s_branch .LBB118_25
.LBB118_24:                             ;   in Loop: Header=BB118_25 Depth=2
	v_add_co_u32_e32 v4, vcc, -16, v4
	v_mul_f64 v[12:13], v[12:13], v[12:13]
	s_add_i32 s58, s58, -1
	v_addc_co_u32_e32 v5, vcc, -1, v5, vcc
	v_fmac_f64_e32 v[12:13], v[10:11], v[10:11]
	v_cmp_le_i32_e32 vcc, s58, v22
	v_fmac_f64_e32 v[16:17], 2.0, v[12:13]
	v_subrev_u32_e32 v26, s27, v26
	s_or_b64 s[54:55], vcc, s[54:55]
	v_subrev_u32_e32 v24, s23, v24
	s_andn2_b64 exec, exec, s[54:55]
	s_cbranch_execz .LBB118_18
.LBB118_25:                             ;   Parent Loop BB118_20 Depth=1
                                        ; =>  This Inner Loop Header: Depth=2
	v_ashrrev_i32_e32 v27, 31, v26
	v_lshlrev_b64 v[10:11], 4, v[26:27]
	v_add_co_u32_e32 v28, vcc, s34, v10
	v_addc_co_u32_e32 v29, vcc, v31, v11, vcc
	global_load_dwordx4 v[10:13], v[28:29], off
	v_ashrrev_i32_e32 v25, 31, v24
	v_lshlrev_b64 v[36:37], 4, v[24:25]
	v_add_co_u32_e32 v36, vcc, s48, v36
	v_addc_co_u32_e32 v37, vcc, v34, v37, vcc
	s_and_b64 vcc, exec, s[6:7]
	s_waitcnt vmcnt(0)
	global_store_dwordx4 v[36:37], v[10:13], off
	v_xor_b32_e32 v21, 0x80000000, v13
	v_pk_mov_b32 v[38:39], v[12:13], v[12:13] op_sel:[0,1]
	v_pk_mov_b32 v[36:37], v[10:11], v[10:11] op_sel:[0,1]
	v_mov_b32_e32 v39, v21
	global_store_dwordx4 v[4:5], v[36:39], off offset:-8
	s_cbranch_vccnz .LBB118_24
; %bb.26:                               ;   in Loop: Header=BB118_25 Depth=2
	v_add_u32_e32 v36, s58, v15
	v_ashrrev_i32_e32 v37, 31, v36
	v_lshlrev_b64 v[36:37], 4, v[36:37]
	v_mov_b32_e32 v21, s35
	v_add_co_u32_e32 v40, vcc, s34, v36
	s_mov_b32 s10, s8
	s_mov_b32 s11, s8
	v_addc_co_u32_e32 v41, vcc, v21, v37, vcc
	s_mov_b32 s9, s8
	v_pk_mov_b32 v[38:39], s[10:11], s[10:11] op_sel:[0,1]
	v_pk_mov_b32 v[36:37], s[8:9], s[8:9] op_sel:[0,1]
	global_store_dwordx4 v[28:29], v[36:39], off
	global_store_dwordx4 v[40:41], v[36:39], off
	s_branch .LBB118_24
.LBB118_27:
	s_or_b64 exec, exec, s[28:29]
.LBB118_28:
	s_or_b64 exec, exec, s[24:25]
.LBB118_29:
	v_lshl_add_u32 v2, v14, 3, 0
	ds_write_b64 v2, v[16:17]
	v_mov_b32_e32 v2, 0
	v_lshl_add_u32 v4, v14, 4, s72
	v_mov_b32_e32 v3, v2
	v_cmp_gt_i32_e32 vcc, s44, v14
	ds_write2_b64 v4, v[18:19], v[2:3] offset1:1
	s_and_b64 exec, exec, vcc
	s_cbranch_execz .LBB118_32
; %bb.30:
	s_mul_i32 s6, s26, 24
	v_lshl_add_u32 v2, v32, 2, s6
	s_lshl_b32 s6, s71, 2
	v_subrev_u32_e32 v2, s6, v2
	v_lshlrev_b32_e32 v3, 1, v32
	s_lshl_b32 s6, s71, 1
	s_lshl_b32 s8, s44, 2
	v_add_u32_e32 v2, 0, v2
	s_lshl_b32 s9, s26, 2
	v_subrev_u32_e32 v3, s6, v3
	s_lshl_b32 s10, s26, 1
	s_mov_b64 s[6:7], 0
	v_mov_b32_e32 v4, v14
.LBB118_31:                             ; =>This Inner Loop Header: Depth=1
	v_add_u32_e32 v4, s26, v4
	v_cmp_le_i32_e32 vcc, s44, v4
	ds_write_b32 v2, v3
	v_add_u32_e32 v5, 1, v3
	v_add_u32_e32 v6, s8, v2
	;; [unrolled: 1-line block ×4, first 2 shown]
	s_or_b64 s[6:7], vcc, s[6:7]
	ds_write_b32 v6, v5
	s_andn2_b64 exec, exec, s[6:7]
	s_cbranch_execnz .LBB118_31
.LBB118_32:
	s_or_b64 exec, exec, s[52:53]
	s_cmp_gt_i32 s26, 0
	v_pk_mov_b32 v[4:5], 0, 0
	s_mov_b32 s6, 0
	s_cselect_b64 s[24:25], -1, 0
	s_cmp_lt_i32 s26, 1
	v_pk_mov_b32 v[2:3], v[4:5], v[4:5] op_sel:[0,1]
	s_waitcnt lgkmcnt(0)
	s_barrier
	s_cbranch_scc1 .LBB118_40
; %bb.33:
	s_cmp_lt_u32 s26, 8
	v_pk_mov_b32 v[2:3], 0, 0
	s_cbranch_scc1 .LBB118_37
; %bb.34:
	v_pk_mov_b32 v[4:5], 0, 0
	s_and_b32 s6, s26, 0x7ffffff8
	s_mov_b32 s7, 0
	s_mov_b32 s8, 0
	;; [unrolled: 1-line block ×3, first 2 shown]
	v_pk_mov_b32 v[2:3], v[4:5], v[4:5] op_sel:[0,1]
.LBB118_35:                             ; =>This Inner Loop Header: Depth=1
	v_mov_b32_e32 v38, s9
	v_mov_b32_e32 v15, s8
	ds_read2_b64 v[6:9], v38 offset1:2
	ds_read2_b64 v[10:13], v38 offset0:4 offset1:6
	ds_read2_b64 v[16:19], v15 offset1:1
	ds_read2_b64 v[20:23], v15 offset0:2 offset1:3
	ds_read2_b64 v[24:27], v38 offset0:8 offset1:10
	ds_read2_b64 v[28:31], v15 offset0:4 offset1:5
	ds_read2_b64 v[34:37], v15 offset0:6 offset1:7
	ds_read2_b64 v[38:41], v38 offset0:12 offset1:14
	s_waitcnt lgkmcnt(5)
	v_add_f64 v[4:5], v[4:5], v[16:17]
	v_add_f64 v[2:3], v[2:3], v[6:7]
	v_add_f64 v[4:5], v[4:5], v[18:19]
	v_add_f64 v[2:3], v[2:3], v[8:9]
	s_waitcnt lgkmcnt(4)
	v_add_f64 v[4:5], v[4:5], v[20:21]
	v_add_f64 v[2:3], v[2:3], v[10:11]
	v_add_f64 v[4:5], v[4:5], v[22:23]
	v_add_f64 v[2:3], v[2:3], v[12:13]
	;; [unrolled: 5-line block ×3, first 2 shown]
	s_add_i32 s7, s7, 8
	s_addk_i32 s9, 0x80
	s_add_i32 s8, s8, 64
	s_waitcnt lgkmcnt(1)
	v_add_f64 v[4:5], v[4:5], v[34:35]
	s_waitcnt lgkmcnt(0)
	v_add_f64 v[2:3], v[2:3], v[38:39]
	s_cmp_lg_u32 s6, s7
	v_add_f64 v[4:5], v[4:5], v[36:37]
	v_add_f64 v[2:3], v[2:3], v[40:41]
	s_cbranch_scc1 .LBB118_35
; %bb.36:
	s_and_b32 s7, s26, 7
	s_cmp_eq_u32 s7, 0
	s_cbranch_scc0 .LBB118_38
	s_branch .LBB118_40
.LBB118_37:
	v_pk_mov_b32 v[4:5], v[2:3], v[2:3] op_sel:[0,1]
	s_and_b32 s7, s26, 7
	s_cmp_eq_u32 s7, 0
	s_cbranch_scc1 .LBB118_40
.LBB118_38:
	s_lshl_b32 s8, s6, 4
	s_add_i32 s8, s8, s73
	s_lshl_b32 s6, s6, 3
	s_add_i32 s8, s8, 0
	s_add_i32 s6, s6, 0
.LBB118_39:                             ; =>This Inner Loop Header: Depth=1
	v_mov_b32_e32 v6, s6
	v_mov_b32_e32 v8, s8
	ds_read_b64 v[6:7], v6
	ds_read_b64 v[8:9], v8
	s_add_i32 s8, s8, 16
	s_add_i32 s6, s6, 8
	s_add_i32 s7, s7, -1
	s_cmp_lg_u32 s7, 0
	s_waitcnt lgkmcnt(1)
	v_add_f64 v[4:5], v[4:5], v[6:7]
	s_waitcnt lgkmcnt(0)
	v_add_f64 v[2:3], v[2:3], v[8:9]
	s_cbranch_scc1 .LBB118_39
.LBB118_40:
	s_load_dword s22, s[4:5], 0x40
	v_add_f64 v[2:3], v[2:3], v[4:5]
	v_mul_f64 v[2:3], v[2:3], s[14:15]
	v_mul_f64 v[8:9], v[2:3], s[14:15]
	v_cmp_gt_f64_e32 vcc, v[4:5], v[8:9]
	s_waitcnt lgkmcnt(0)
	s_cmp_gt_i32 s22, 0
	s_cselect_b64 s[4:5], -1, 0
	s_and_b64 s[4:5], s[4:5], vcc
	s_andn2_b64 vcc, exec, s[4:5]
	s_mov_b32 s45, 0
	s_cbranch_vccnz .LBB118_130
; %bb.41:
	s_mov_b32 s4, 0
	s_mov_b32 s5, 0x100000
	v_pk_mov_b32 v[2:3], s[4:5], s[4:5] op_sel:[0,1]
	v_div_scale_f64 v[4:5], s[6:7], s[16:17], s[16:17], v[2:3]
	v_rcp_f64_e32 v[6:7], v[4:5]
	v_pk_mov_b32 v[10:11], s[16:17], s[16:17] op_sel:[0,1]
	v_div_scale_f64 v[10:11], vcc, s[4:5], v[10:11], s[4:5]
	v_fma_f64 v[12:13], -v[4:5], v[6:7], 1.0
	v_fmac_f64_e32 v[6:7], v[6:7], v[12:13]
	v_fma_f64 v[12:13], -v[4:5], v[6:7], 1.0
	v_fmac_f64_e32 v[6:7], v[6:7], v[12:13]
	v_mul_f64 v[12:13], v[10:11], v[6:7]
	v_fma_f64 v[4:5], -v[4:5], v[12:13], v[10:11]
	v_div_fmas_f64 v[4:5], v[4:5], v[6:7], v[12:13]
	s_abs_i32 s5, s26
	v_div_fixup_f64 v[10:11], v[4:5], s[16:17], v[2:3]
	v_cvt_f32_u32_e32 v2, s5
	s_lshl_b32 s4, s26, 4
	s_sub_i32 s7, 0, s5
	s_add_i32 s80, s72, s4
	v_rcp_iflag_f32_e32 v2, v2
	s_lshl_b32 s4, s44, 2
	s_add_i32 s81, s80, s4
	s_add_i32 s4, s44, -1
	v_mul_f32_e32 v2, 0x4f7ffffe, v2
	v_cvt_u32_f32_e32 v2, v2
	s_xor_b32 s6, s4, s26
	s_abs_i32 s4, s4
	s_ashr_i32 s6, s6, 31
	v_readfirstlane_b32 s8, v2
	s_mul_i32 s7, s7, s8
	s_mul_hi_u32 s7, s8, s7
	s_add_i32 s8, s8, s7
	s_mul_hi_u32 s7, s4, s8
	s_mul_i32 s8, s7, s5
	s_sub_i32 s4, s4, s8
	s_add_i32 s8, s7, 1
	s_sub_i32 s9, s4, s5
	s_cmp_ge_u32 s4, s5
	s_cselect_b32 s7, s8, s7
	s_cselect_b32 s4, s9, s4
	s_add_i32 s8, s7, 1
	s_cmp_ge_u32 s4, s5
	s_cselect_b32 s4, s8, s7
	s_xor_b32 s4, s4, s6
	s_sub_i32 s82, s4, s6
	s_add_i32 s83, s70, -1
	s_cmp_gt_i32 s70, 1
	s_cselect_b64 s[52:53], -1, 0
	s_cmp_gt_i32 s82, -1
	s_cselect_b64 s[54:55], -1, 0
	s_add_i32 s84, s23, 1
	s_cmpk_lg_i32 s21, 0xd5
	s_cselect_b64 s[56:57], -1, 0
	s_max_i32 s85, s83, 1
	s_and_b32 s86, s26, 7
	s_cmp_gt_u32 s26, 7
	s_cselect_b64 s[58:59], -1, 0
	s_and_b32 s87, s26, 0x7ffffff8
	s_cmp_lg_u32 s86, 0
	v_sub_u32_e32 v2, s71, v32
	s_cselect_b64 s[60:61], -1, 0
	v_mad_u64_u32 v[12:13], s[4:5], s33, v2, v[0:1]
	s_lshl_b32 s62, s33, 1
	s_ashr_i32 s63, s62, 31
	s_mul_i32 s4, s23, s33
	s_lshl_b64 s[64:65], s[62:63], 4
	s_lshl_b32 s63, s4, 1
	v_lshlrev_b32_e32 v0, 1, v0
	v_lshlrev_b32_e32 v1, 1, v1
	v_ashrrev_i32_e32 v15, 31, v14
	s_add_u32 s4, s66, s68
	v_sub_u32_e32 v16, v0, v1
	v_lshlrev_b64 v[0:1], 4, v[14:15]
	s_addc_u32 s5, s67, s69
	v_mov_b32_e32 v2, s5
	v_add_co_u32_e32 v0, vcc, s4, v0
	v_addc_co_u32_e32 v1, vcc, v2, v1, vcc
	v_add_co_u32_e32 v18, vcc, 8, v0
	s_ashr_i32 s47, s46, 31
	v_addc_co_u32_e32 v19, vcc, 0, v1, vcc
	s_ashr_i32 s45, s44, 31
	v_pk_mov_b32 v[0:1], s[46:47], s[46:47] op_sel:[0,1]
	v_cmp_lt_i64_e32 vcc, s[44:45], v[0:1]
	s_and_b64 s[4:5], vcc, exec
	s_cselect_b32 s5, s45, s47
	s_cselect_b32 s4, s44, s46
	v_or_b32_e32 v13, 1, v16
	s_lshl_b64 s[66:67], s[4:5], 4
	s_ashr_i32 s5, s23, 31
	s_mov_b32 s4, s23
	s_mov_b32 s70, 0
	;; [unrolled: 1-line block ×3, first 2 shown]
	v_lshl_add_u32 v17, v14, 3, 0
	v_lshl_add_u32 v27, v14, 4, s72
	v_cmp_gt_i32_e64 s[6:7], s44, v33
	v_cmp_gt_i32_e64 s[8:9], s23, v14
	v_mul_lo_u32 v36, s23, v13
	v_mul_lo_u32 v37, s23, v16
	s_lshl_b64 s[68:69], s[4:5], 4
	s_brev_b32 s71, 8
	v_mov_b32_e32 v15, 0x260
	s_movk_i32 s47, 0x204
	v_mov_b32_e32 v38, 0xffffff80
	v_mov_b32_e32 v39, 0x7ff80000
	;; [unrolled: 1-line block ×5, first 2 shown]
	s_mov_b32 s45, 0
                                        ; implicit-def: $vgpr22_vgpr23
                                        ; implicit-def: $vgpr2_vgpr3
                                        ; implicit-def: $vgpr28_vgpr29
                                        ; implicit-def: $vgpr20_vgpr21
	s_branch .LBB118_44
.LBB118_42:                             ;   in Loop: Header=BB118_44 Depth=1
	v_pk_mov_b32 v[4:5], 0, 0
.LBB118_43:                             ;   in Loop: Header=BB118_44 Depth=1
	s_add_i32 s45, s45, 1
	s_cmp_lt_i32 s45, s22
	s_cselect_b64 s[4:5], -1, 0
	v_cmp_gt_f64_e32 vcc, v[4:5], v[8:9]
	s_and_b64 s[4:5], s[4:5], vcc
	s_and_b64 vcc, exec, s[4:5]
	s_cbranch_vccz .LBB118_130
.LBB118_44:                             ; =>This Loop Header: Depth=1
                                        ;     Child Loop BB118_47 Depth 2
                                        ;       Child Loop BB118_49 Depth 3
                                        ;         Child Loop BB118_84 Depth 4
                                        ;         Child Loop BB118_94 Depth 4
                                        ;     Child Loop BB118_116 Depth 2
                                        ;       Child Loop BB118_118 Depth 3
                                        ;     Child Loop BB118_125 Depth 2
                                        ;     Child Loop BB118_129 Depth 2
	s_andn2_b64 vcc, exec, s[52:53]
	s_cbranch_vccnz .LBB118_112
; %bb.45:                               ;   in Loop: Header=BB118_44 Depth=1
	s_mov_b32 s88, 0
	s_branch .LBB118_47
.LBB118_46:                             ;   in Loop: Header=BB118_47 Depth=2
	s_add_i32 s88, s88, 1
	s_cmp_eq_u32 s88, s85
	s_cbranch_scc1 .LBB118_112
.LBB118_47:                             ;   Parent Loop BB118_44 Depth=1
                                        ; =>  This Loop Header: Depth=2
                                        ;       Child Loop BB118_49 Depth 3
                                        ;         Child Loop BB118_84 Depth 4
                                        ;         Child Loop BB118_94 Depth 4
	s_andn2_b64 vcc, exec, s[54:55]
	s_cbranch_vccnz .LBB118_46
; %bb.48:                               ;   in Loop: Header=BB118_47 Depth=2
	s_mov_b32 s89, 0
.LBB118_49:                             ;   Parent Loop BB118_44 Depth=1
                                        ;     Parent Loop BB118_47 Depth=2
                                        ; =>    This Loop Header: Depth=3
                                        ;         Child Loop BB118_84 Depth 4
                                        ;         Child Loop BB118_94 Depth 4
	s_mul_i32 s4, s89, s26
	v_add_u32_e32 v43, s4, v14
	v_cmp_gt_i32_e64 s[10:11], s44, v43
	v_mov_b32_e32 v26, s23
	s_and_saveexec_b64 s[4:5], s[10:11]
	s_cbranch_execz .LBB118_51
; %bb.50:                               ;   in Loop: Header=BB118_49 Depth=3
	v_lshl_add_u32 v4, v43, 2, s80
	ds_read_b32 v26, v4
.LBB118_51:                             ;   in Loop: Header=BB118_49 Depth=3
	s_or_b64 exec, exec, s[4:5]
	v_mov_b32_e32 v24, s23
	v_lshl_add_u32 v25, v43, 2, s81
	s_and_saveexec_b64 s[4:5], s[10:11]
	s_cbranch_execz .LBB118_53
; %bb.52:                               ;   in Loop: Header=BB118_49 Depth=3
	ds_read_b32 v24, v25
.LBB118_53:                             ;   in Loop: Header=BB118_49 Depth=3
	s_or_b64 exec, exec, s[4:5]
	s_waitcnt lgkmcnt(0)
	v_cmp_gt_i32_e64 s[4:5], s23, v26
	s_and_b64 s[16:17], s[12:13], s[4:5]
	v_cmp_gt_i32_e64 s[14:15], s23, v24
	s_and_b64 s[30:31], s[16:17], s[14:15]
	s_and_saveexec_b64 s[72:73], s[30:31]
	s_cbranch_execz .LBB118_79
; %bb.54:                               ;   in Loop: Header=BB118_49 Depth=3
	v_mul_lo_u32 v32, v24, s23
	v_add_u32_e32 v2, v32, v26
	v_ashrrev_i32_e32 v3, 31, v2
	v_lshlrev_b64 v[2:3], 4, v[2:3]
	v_mov_b32_e32 v4, s49
	v_add_co_u32_e32 v2, vcc, s48, v2
	v_addc_co_u32_e32 v3, vcc, v4, v3, vcc
	global_load_dwordx4 v[4:7], v[2:3], off
                                        ; implicit-def: $vgpr30_vgpr31
	s_waitcnt vmcnt(0)
	v_xor_b32_e32 v3, 0x80000000, v5
	v_cmp_gt_f64_e32 vcc, 0, v[4:5]
	v_xor_b32_e32 v22, 0x80000000, v7
	v_cndmask_b32_e32 v3, v5, v3, vcc
	v_cmp_gt_f64_e32 vcc, 0, v[6:7]
	v_mov_b32_e32 v2, v4
	v_cndmask_b32_e32 v23, v7, v22, vcc
	v_mov_b32_e32 v22, v6
	v_cmp_ngt_f64_e32 vcc, v[2:3], v[22:23]
	s_and_saveexec_b64 s[16:17], vcc
	s_xor_b64 s[16:17], exec, s[16:17]
	s_cbranch_execz .LBB118_58
; %bb.55:                               ;   in Loop: Header=BB118_49 Depth=3
	v_cmp_neq_f64_e32 vcc, 0, v[6:7]
	v_pk_mov_b32 v[30:31], 0, 0
	s_and_saveexec_b64 s[74:75], vcc
	s_cbranch_execz .LBB118_57
; %bb.56:                               ;   in Loop: Header=BB118_49 Depth=3
	v_div_scale_f64 v[28:29], s[76:77], v[22:23], v[22:23], v[2:3]
	v_rcp_f64_e32 v[30:31], v[28:29]
	v_div_scale_f64 v[34:35], vcc, v[2:3], v[22:23], v[2:3]
	v_fma_f64 v[44:45], -v[28:29], v[30:31], 1.0
	v_fmac_f64_e32 v[30:31], v[30:31], v[44:45]
	v_fma_f64 v[44:45], -v[28:29], v[30:31], 1.0
	v_fmac_f64_e32 v[30:31], v[30:31], v[44:45]
	v_mul_f64 v[44:45], v[34:35], v[30:31]
	v_fma_f64 v[28:29], -v[28:29], v[44:45], v[34:35]
	v_div_fmas_f64 v[28:29], v[28:29], v[30:31], v[44:45]
	v_div_fixup_f64 v[2:3], v[28:29], v[22:23], v[2:3]
	v_fma_f64 v[2:3], v[2:3], v[2:3], 1.0
	v_cmp_gt_f64_e32 vcc, s[70:71], v[2:3]
	v_cndmask_b32_e64 v28, 0, 1, vcc
	v_lshlrev_b32_e32 v28, 8, v28
	v_ldexp_f64 v[2:3], v[2:3], v28
	v_rsq_f64_e32 v[28:29], v[2:3]
	v_mul_f64 v[30:31], v[2:3], v[28:29]
	v_mul_f64 v[28:29], v[28:29], 0.5
	v_fma_f64 v[34:35], -v[28:29], v[30:31], 0.5
	v_fmac_f64_e32 v[30:31], v[30:31], v[34:35]
	v_fma_f64 v[44:45], -v[30:31], v[30:31], v[2:3]
	v_fmac_f64_e32 v[28:29], v[28:29], v[34:35]
	v_fmac_f64_e32 v[30:31], v[44:45], v[28:29]
	v_fma_f64 v[34:35], -v[30:31], v[30:31], v[2:3]
	v_fmac_f64_e32 v[30:31], v[34:35], v[28:29]
	v_cndmask_b32_e32 v28, 0, v38, vcc
	v_ldexp_f64 v[28:29], v[30:31], v28
	v_cmp_class_f64_e32 vcc, v[2:3], v15
	v_cndmask_b32_e32 v3, v29, v3, vcc
	v_cndmask_b32_e32 v2, v28, v2, vcc
	v_mul_f64 v[30:31], v[22:23], v[2:3]
.LBB118_57:                             ;   in Loop: Header=BB118_49 Depth=3
	s_or_b64 exec, exec, s[74:75]
                                        ; implicit-def: $vgpr2_vgpr3
                                        ; implicit-def: $vgpr22_vgpr23
.LBB118_58:                             ;   in Loop: Header=BB118_49 Depth=3
	s_andn2_saveexec_b64 s[16:17], s[16:17]
	s_cbranch_execz .LBB118_60
; %bb.59:                               ;   in Loop: Header=BB118_49 Depth=3
	v_div_scale_f64 v[28:29], s[74:75], v[2:3], v[2:3], v[22:23]
	v_rcp_f64_e32 v[30:31], v[28:29]
	v_div_scale_f64 v[34:35], vcc, v[22:23], v[2:3], v[22:23]
	v_fma_f64 v[44:45], -v[28:29], v[30:31], 1.0
	v_fmac_f64_e32 v[30:31], v[30:31], v[44:45]
	v_fma_f64 v[44:45], -v[28:29], v[30:31], 1.0
	v_fmac_f64_e32 v[30:31], v[30:31], v[44:45]
	v_mul_f64 v[44:45], v[34:35], v[30:31]
	v_fma_f64 v[28:29], -v[28:29], v[44:45], v[34:35]
	v_div_fmas_f64 v[28:29], v[28:29], v[30:31], v[44:45]
	v_div_fixup_f64 v[22:23], v[28:29], v[2:3], v[22:23]
	v_fma_f64 v[22:23], v[22:23], v[22:23], 1.0
	v_cmp_gt_f64_e32 vcc, s[70:71], v[22:23]
	v_cndmask_b32_e64 v28, 0, 1, vcc
	v_lshlrev_b32_e32 v28, 8, v28
	v_ldexp_f64 v[22:23], v[22:23], v28
	v_rsq_f64_e32 v[28:29], v[22:23]
	v_mul_f64 v[30:31], v[22:23], v[28:29]
	v_mul_f64 v[28:29], v[28:29], 0.5
	v_fma_f64 v[34:35], -v[28:29], v[30:31], 0.5
	v_fmac_f64_e32 v[30:31], v[30:31], v[34:35]
	v_fma_f64 v[44:45], -v[30:31], v[30:31], v[22:23]
	v_fmac_f64_e32 v[28:29], v[28:29], v[34:35]
	v_fmac_f64_e32 v[30:31], v[44:45], v[28:29]
	v_fma_f64 v[34:35], -v[30:31], v[30:31], v[22:23]
	v_fmac_f64_e32 v[30:31], v[34:35], v[28:29]
	v_cndmask_b32_e32 v28, 0, v38, vcc
	v_ldexp_f64 v[28:29], v[30:31], v28
	v_cmp_class_f64_e32 vcc, v[22:23], v15
	v_cndmask_b32_e32 v23, v29, v23, vcc
	v_cndmask_b32_e32 v22, v28, v22, vcc
	v_mul_f64 v[30:31], v[2:3], v[22:23]
.LBB118_60:                             ;   in Loop: Header=BB118_49 Depth=3
	s_or_b64 exec, exec, s[16:17]
	v_mul_f64 v[2:3], v[30:31], v[30:31]
	v_cmp_nlt_f64_e32 vcc, v[2:3], v[10:11]
	v_mov_b32_e32 v22, 0
	v_pk_mov_b32 v[2:3], 0, 0
	v_mov_b32_e32 v23, 0x3ff00000
	v_pk_mov_b32 v[28:29], v[2:3], v[2:3] op_sel:[0,1]
	s_and_saveexec_b64 s[74:75], vcc
	s_cbranch_execz .LBB118_78
; %bb.61:                               ;   in Loop: Header=BB118_49 Depth=3
	v_add_u32_e32 v2, v32, v24
	v_ashrrev_i32_e32 v3, 31, v2
	v_lshlrev_b64 v[2:3], 4, v[2:3]
	v_mov_b32_e32 v22, s49
	v_add_co_u32_e32 v2, vcc, s48, v2
	v_addc_co_u32_e32 v3, vcc, v22, v3, vcc
	v_mul_lo_u32 v22, v26, s84
	v_ashrrev_i32_e32 v23, 31, v22
	v_lshlrev_b64 v[22:23], 4, v[22:23]
	v_mov_b32_e32 v28, s49
	v_add_co_u32_e32 v22, vcc, s48, v22
	v_addc_co_u32_e32 v23, vcc, v28, v23, vcc
	global_load_dwordx2 v[22:23], v[22:23], off
	s_nop 0
	global_load_dwordx2 v[28:29], v[2:3], off
	v_add_f64 v[2:3], v[30:31], v[30:31]
	s_waitcnt vmcnt(0)
	v_add_f64 v[28:29], v[28:29], -v[22:23]
	v_max_f64 v[22:23], |v[28:29]|, |v[2:3]|
	v_frexp_exp_i32_f64_e32 v34, v[22:23]
	v_sub_u32_e32 v32, 0, v34
	v_ldexp_f64 v[22:23], |v[28:29]|, v32
	v_ldexp_f64 v[32:33], |v[2:3]|, v32
	v_mul_f64 v[32:33], v[32:33], v[32:33]
	v_fmac_f64_e32 v[32:33], v[22:23], v[22:23]
	v_rsq_f64_e32 v[22:23], v[32:33]
	v_cmp_eq_f64_e64 s[16:17], 0, v[32:33]
	v_cmp_ngt_f64_e32 vcc, 0, v[28:29]
	v_cmp_class_f64_e64 s[76:77], v[28:29], s47
	v_mul_f64 v[44:45], v[32:33], v[22:23]
	v_mul_f64 v[22:23], v[22:23], 0.5
	v_fma_f64 v[46:47], -v[22:23], v[44:45], 0.5
	v_fmac_f64_e32 v[44:45], v[44:45], v[46:47]
	v_fmac_f64_e32 v[22:23], v[22:23], v[46:47]
	v_fma_f64 v[46:47], -v[44:45], v[44:45], v[32:33]
	v_fmac_f64_e32 v[44:45], v[46:47], v[22:23]
	v_cndmask_b32_e64 v23, v45, v33, s[16:17]
	v_cndmask_b32_e64 v22, v44, v32, s[16:17]
	v_cmp_class_f64_e64 s[16:17], v[2:3], s47
                                        ; implicit-def: $vgpr32_vgpr33
	s_and_saveexec_b64 s[78:79], vcc
	s_xor_b64 s[78:79], exec, s[78:79]
; %bb.62:                               ;   in Loop: Header=BB118_49 Depth=3
	v_ldexp_f64 v[22:23], v[22:23], v34
	v_cmp_o_f64_e32 vcc, v[28:29], v[2:3]
	v_cndmask_b32_e32 v22, 0, v22, vcc
	v_cndmask_b32_e32 v23, v39, v23, vcc
	s_or_b64 vcc, s[16:17], s[76:77]
	v_cndmask_b32_e32 v33, v23, v40, vcc
	v_cndmask_b32_e64 v32, v22, 0, vcc
                                        ; implicit-def: $vgpr22_vgpr23
                                        ; implicit-def: $vgpr34
; %bb.63:                               ;   in Loop: Header=BB118_49 Depth=3
	s_andn2_saveexec_b64 s[78:79], s[78:79]
; %bb.64:                               ;   in Loop: Header=BB118_49 Depth=3
	v_ldexp_f64 v[22:23], -v[22:23], v34
	v_cmp_o_f64_e32 vcc, v[2:3], v[2:3]
	v_cndmask_b32_e32 v22, 0, v22, vcc
	v_cndmask_b32_e32 v23, v41, v23, vcc
	s_or_b64 vcc, s[16:17], s[76:77]
	v_cndmask_b32_e32 v33, v23, v42, vcc
	v_cndmask_b32_e64 v32, v22, 0, vcc
; %bb.65:                               ;   in Loop: Header=BB118_49 Depth=3
	s_or_b64 exec, exec, s[78:79]
	v_mov_b32_e32 v22, 0
	v_cmp_neq_f64_e32 vcc, 0, v[2:3]
	v_pk_mov_b32 v[34:35], 0, 0
	v_mov_b32_e32 v23, 0x3ff00000
	s_and_saveexec_b64 s[16:17], vcc
	s_cbranch_execz .LBB118_73
; %bb.66:                               ;   in Loop: Header=BB118_49 Depth=3
	v_add_f64 v[28:29], v[28:29], v[32:33]
	v_mov_b32_e32 v34, 0
	v_cmp_neq_f64_e32 vcc, 0, v[28:29]
	v_pk_mov_b32 v[22:23], 0, 0
	v_mov_b32_e32 v35, 0x3ff00000
	s_and_saveexec_b64 s[76:77], vcc
	s_cbranch_execz .LBB118_72
; %bb.67:                               ;   in Loop: Header=BB118_49 Depth=3
	v_cmp_ngt_f64_e64 s[78:79], |v[2:3]|, |v[28:29]|
                                        ; implicit-def: $vgpr22_vgpr23
                                        ; implicit-def: $vgpr34_vgpr35
	s_and_saveexec_b64 s[90:91], s[78:79]
	s_xor_b64 s[78:79], exec, s[90:91]
	s_cbranch_execz .LBB118_69
; %bb.68:                               ;   in Loop: Header=BB118_49 Depth=3
	v_div_scale_f64 v[22:23], s[90:91], v[28:29], v[28:29], -v[2:3]
	v_rcp_f64_e32 v[32:33], v[22:23]
	v_div_scale_f64 v[34:35], vcc, -v[2:3], v[28:29], -v[2:3]
	v_fma_f64 v[44:45], -v[22:23], v[32:33], 1.0
	v_fmac_f64_e32 v[32:33], v[32:33], v[44:45]
	v_fma_f64 v[44:45], -v[22:23], v[32:33], 1.0
	v_fmac_f64_e32 v[32:33], v[32:33], v[44:45]
	v_mul_f64 v[44:45], v[34:35], v[32:33]
	v_fma_f64 v[22:23], -v[22:23], v[44:45], v[34:35]
	v_div_fmas_f64 v[22:23], v[22:23], v[32:33], v[44:45]
	v_div_fixup_f64 v[2:3], v[22:23], v[28:29], -v[2:3]
	v_fma_f64 v[22:23], v[2:3], v[2:3], 1.0
	v_cmp_gt_f64_e32 vcc, s[70:71], v[22:23]
	v_cndmask_b32_e64 v28, 0, 1, vcc
	v_lshlrev_b32_e32 v28, 8, v28
	v_ldexp_f64 v[22:23], v[22:23], v28
	v_rsq_f64_e32 v[28:29], v[22:23]
	v_mul_f64 v[32:33], v[22:23], v[28:29]
	v_mul_f64 v[28:29], v[28:29], 0.5
	v_fma_f64 v[34:35], -v[28:29], v[32:33], 0.5
	v_fmac_f64_e32 v[32:33], v[32:33], v[34:35]
	v_fma_f64 v[44:45], -v[32:33], v[32:33], v[22:23]
	v_fmac_f64_e32 v[28:29], v[28:29], v[34:35]
	v_fmac_f64_e32 v[32:33], v[44:45], v[28:29]
	v_fma_f64 v[34:35], -v[32:33], v[32:33], v[22:23]
	v_fmac_f64_e32 v[32:33], v[34:35], v[28:29]
	v_cndmask_b32_e32 v28, 0, v38, vcc
	v_ldexp_f64 v[28:29], v[32:33], v28
	v_cmp_class_f64_e32 vcc, v[22:23], v15
	v_cndmask_b32_e32 v23, v29, v23, vcc
	v_cndmask_b32_e32 v22, v28, v22, vcc
	v_div_scale_f64 v[28:29], s[90:91], v[22:23], v[22:23], 1.0
	v_rcp_f64_e32 v[32:33], v[28:29]
	v_fma_f64 v[34:35], -v[28:29], v[32:33], 1.0
	v_fmac_f64_e32 v[32:33], v[32:33], v[34:35]
	v_fma_f64 v[34:35], -v[28:29], v[32:33], 1.0
	v_fmac_f64_e32 v[32:33], v[32:33], v[34:35]
	v_div_scale_f64 v[34:35], vcc, 1.0, v[22:23], 1.0
	v_mul_f64 v[44:45], v[34:35], v[32:33]
	v_fma_f64 v[28:29], -v[28:29], v[44:45], v[34:35]
	s_nop 1
	v_div_fmas_f64 v[28:29], v[28:29], v[32:33], v[44:45]
	v_div_fixup_f64 v[22:23], v[28:29], v[22:23], 1.0
	v_mul_f64 v[34:35], v[2:3], v[22:23]
                                        ; implicit-def: $vgpr2_vgpr3
                                        ; implicit-def: $vgpr28_vgpr29
.LBB118_69:                             ;   in Loop: Header=BB118_49 Depth=3
	s_andn2_saveexec_b64 s[78:79], s[78:79]
	s_cbranch_execz .LBB118_71
; %bb.70:                               ;   in Loop: Header=BB118_49 Depth=3
	v_div_scale_f64 v[22:23], s[90:91], v[2:3], v[2:3], -v[28:29]
	v_rcp_f64_e32 v[32:33], v[22:23]
	v_div_scale_f64 v[34:35], vcc, -v[28:29], v[2:3], -v[28:29]
	v_fma_f64 v[44:45], -v[22:23], v[32:33], 1.0
	v_fmac_f64_e32 v[32:33], v[32:33], v[44:45]
	v_fma_f64 v[44:45], -v[22:23], v[32:33], 1.0
	v_fmac_f64_e32 v[32:33], v[32:33], v[44:45]
	v_mul_f64 v[44:45], v[34:35], v[32:33]
	v_fma_f64 v[22:23], -v[22:23], v[44:45], v[34:35]
	v_div_fmas_f64 v[22:23], v[22:23], v[32:33], v[44:45]
	v_div_fixup_f64 v[2:3], v[22:23], v[2:3], -v[28:29]
	v_fma_f64 v[22:23], v[2:3], v[2:3], 1.0
	v_cmp_gt_f64_e32 vcc, s[70:71], v[22:23]
	v_cndmask_b32_e64 v28, 0, 1, vcc
	v_lshlrev_b32_e32 v28, 8, v28
	v_ldexp_f64 v[22:23], v[22:23], v28
	v_rsq_f64_e32 v[28:29], v[22:23]
	v_mul_f64 v[32:33], v[22:23], v[28:29]
	v_mul_f64 v[28:29], v[28:29], 0.5
	v_fma_f64 v[34:35], -v[28:29], v[32:33], 0.5
	v_fmac_f64_e32 v[32:33], v[32:33], v[34:35]
	v_fma_f64 v[44:45], -v[32:33], v[32:33], v[22:23]
	v_fmac_f64_e32 v[28:29], v[28:29], v[34:35]
	v_fmac_f64_e32 v[32:33], v[44:45], v[28:29]
	v_fma_f64 v[34:35], -v[32:33], v[32:33], v[22:23]
	v_fmac_f64_e32 v[32:33], v[34:35], v[28:29]
	v_cndmask_b32_e32 v28, 0, v38, vcc
	v_ldexp_f64 v[28:29], v[32:33], v28
	v_cmp_class_f64_e32 vcc, v[22:23], v15
	v_cndmask_b32_e32 v23, v29, v23, vcc
	v_cndmask_b32_e32 v22, v28, v22, vcc
	v_div_scale_f64 v[28:29], s[90:91], v[22:23], v[22:23], 1.0
	v_rcp_f64_e32 v[32:33], v[28:29]
	v_fma_f64 v[34:35], -v[28:29], v[32:33], 1.0
	v_fmac_f64_e32 v[32:33], v[32:33], v[34:35]
	v_fma_f64 v[34:35], -v[28:29], v[32:33], 1.0
	v_fmac_f64_e32 v[32:33], v[32:33], v[34:35]
	v_div_scale_f64 v[34:35], vcc, 1.0, v[22:23], 1.0
	v_mul_f64 v[44:45], v[34:35], v[32:33]
	v_fma_f64 v[28:29], -v[28:29], v[44:45], v[34:35]
	s_nop 1
	v_div_fmas_f64 v[28:29], v[28:29], v[32:33], v[44:45]
	v_div_fixup_f64 v[34:35], v[28:29], v[22:23], 1.0
	v_mul_f64 v[22:23], v[2:3], v[34:35]
.LBB118_71:                             ;   in Loop: Header=BB118_49 Depth=3
	s_or_b64 exec, exec, s[78:79]
.LBB118_72:                             ;   in Loop: Header=BB118_49 Depth=3
	s_or_b64 exec, exec, s[76:77]
.LBB118_73:                             ;   in Loop: Header=BB118_49 Depth=3
	s_or_b64 exec, exec, s[16:17]
	v_xor_b32_e32 v2, 0x80000000, v31
	v_cmp_gt_f64_e32 vcc, 0, v[30:31]
	v_cndmask_b32_e32 v3, v31, v2, vcc
	v_cndmask_b32_e32 v2, v30, v30, vcc
	v_mul_f64 v[32:33], v[4:5], v[34:35]
	v_mul_f64 v[4:5], v[6:7], v[34:35]
	v_cmp_nlt_f64_e32 vcc, 0, v[2:3]
                                        ; implicit-def: $vgpr28_vgpr29
	s_and_saveexec_b64 s[16:17], vcc
	s_xor_b64 s[16:17], exec, s[16:17]
	s_cbranch_execz .LBB118_75
; %bb.74:                               ;   in Loop: Header=BB118_49 Depth=3
	v_div_scale_f64 v[2:3], s[76:77], 0, 0, v[30:31]
	v_rcp_f64_e32 v[6:7], v[2:3]
	v_div_scale_f64 v[28:29], vcc, v[30:31], 0, v[30:31]
	v_fma_f64 v[34:35], -v[2:3], v[6:7], 1.0
	v_fmac_f64_e32 v[6:7], v[6:7], v[34:35]
	v_fma_f64 v[34:35], -v[2:3], v[6:7], 1.0
	v_fmac_f64_e32 v[6:7], v[6:7], v[34:35]
	v_mul_f64 v[34:35], v[28:29], v[6:7]
	v_fma_f64 v[2:3], -v[2:3], v[34:35], v[28:29]
	v_div_fmas_f64 v[2:3], v[2:3], v[6:7], v[34:35]
	v_div_fixup_f64 v[2:3], v[2:3], 0, v[30:31]
	v_fma_f64 v[6:7], v[30:31], v[2:3], 0
	v_div_scale_f64 v[28:29], s[76:77], v[6:7], v[6:7], 1.0
	v_rcp_f64_e32 v[30:31], v[28:29]
	v_fma_f64 v[34:35], -v[28:29], v[30:31], 1.0
	v_fmac_f64_e32 v[30:31], v[30:31], v[34:35]
	v_fma_f64 v[34:35], -v[28:29], v[30:31], 1.0
	v_fmac_f64_e32 v[30:31], v[30:31], v[34:35]
	v_div_scale_f64 v[34:35], vcc, 1.0, v[6:7], 1.0
	v_mul_f64 v[44:45], v[34:35], v[30:31]
	v_fma_f64 v[28:29], -v[28:29], v[44:45], v[34:35]
	s_nop 1
	v_div_fmas_f64 v[28:29], v[28:29], v[30:31], v[44:45]
	v_div_fixup_f64 v[6:7], v[28:29], v[6:7], 1.0
	v_fma_f64 v[28:29], v[2:3], v[32:33], v[4:5]
	v_fma_f64 v[2:3], v[2:3], v[4:5], -v[32:33]
	v_mul_f64 v[28:29], v[6:7], v[28:29]
	v_mul_f64 v[2:3], v[6:7], v[2:3]
                                        ; implicit-def: $vgpr30_vgpr31
                                        ; implicit-def: $vgpr4_vgpr5
                                        ; implicit-def: $vgpr32_vgpr33
.LBB118_75:                             ;   in Loop: Header=BB118_49 Depth=3
	s_andn2_saveexec_b64 s[16:17], s[16:17]
	s_cbranch_execz .LBB118_77
; %bb.76:                               ;   in Loop: Header=BB118_49 Depth=3
	v_div_scale_f64 v[2:3], s[76:77], v[30:31], v[30:31], 0
	v_rcp_f64_e32 v[6:7], v[2:3]
	v_div_scale_f64 v[28:29], vcc, 0, v[30:31], 0
	v_fma_f64 v[34:35], -v[2:3], v[6:7], 1.0
	v_fmac_f64_e32 v[6:7], v[6:7], v[34:35]
	v_fma_f64 v[34:35], -v[2:3], v[6:7], 1.0
	v_fmac_f64_e32 v[6:7], v[6:7], v[34:35]
	v_mul_f64 v[34:35], v[28:29], v[6:7]
	v_fma_f64 v[2:3], -v[2:3], v[34:35], v[28:29]
	v_div_fmas_f64 v[2:3], v[2:3], v[6:7], v[34:35]
	v_div_fixup_f64 v[2:3], v[2:3], v[30:31], 0
	v_fmac_f64_e32 v[30:31], 0, v[2:3]
	v_div_scale_f64 v[6:7], s[76:77], v[30:31], v[30:31], 1.0
	v_rcp_f64_e32 v[28:29], v[6:7]
	v_fma_f64 v[34:35], -v[6:7], v[28:29], 1.0
	v_fmac_f64_e32 v[28:29], v[28:29], v[34:35]
	v_fma_f64 v[34:35], -v[6:7], v[28:29], 1.0
	v_fmac_f64_e32 v[28:29], v[28:29], v[34:35]
	v_div_scale_f64 v[34:35], vcc, 1.0, v[30:31], 1.0
	v_mul_f64 v[44:45], v[34:35], v[28:29]
	v_fma_f64 v[6:7], -v[6:7], v[44:45], v[34:35]
	s_nop 1
	v_div_fmas_f64 v[6:7], v[6:7], v[28:29], v[44:45]
	v_div_fixup_f64 v[6:7], v[6:7], v[30:31], 1.0
	v_fma_f64 v[28:29], v[2:3], v[4:5], v[32:33]
	v_fma_f64 v[2:3], -v[2:3], v[32:33], v[4:5]
	v_mul_f64 v[28:29], v[6:7], v[28:29]
	v_mul_f64 v[2:3], v[6:7], v[2:3]
.LBB118_77:                             ;   in Loop: Header=BB118_49 Depth=3
	s_or_b64 exec, exec, s[16:17]
.LBB118_78:                             ;   in Loop: Header=BB118_49 Depth=3
	s_or_b64 exec, exec, s[74:75]
	v_mov_b32_e32 v4, v2
	v_mov_b32_e32 v5, v3
	ds_write_b64 v17, v[22:23]
	ds_write2_b64 v27, v[28:29], v[4:5] offset1:1
.LBB118_79:                             ;   in Loop: Header=BB118_49 Depth=3
	s_or_b64 exec, exec, s[72:73]
	s_and_b64 s[4:5], s[4:5], s[14:15]
	s_mov_b64 s[16:17], 0
	s_waitcnt lgkmcnt(0)
	s_barrier
	s_and_saveexec_b64 s[14:15], s[4:5]
	s_cbranch_execz .LBB118_91
; %bb.80:                               ;   in Loop: Header=BB118_49 Depth=3
	ds_read_b64 v[22:23], v17
	ds_read2_b64 v[0:3], v27 offset1:1
	s_mov_b64 s[4:5], 0
	s_and_saveexec_b64 s[16:17], s[6:7]
	s_cbranch_execz .LBB118_90
; %bb.81:                               ;   in Loop: Header=BB118_49 Depth=3
	v_mad_u64_u32 v[4:5], s[4:5], v26, s23, v[16:17]
	v_mad_u64_u32 v[6:7], s[4:5], v24, s23, v[16:17]
	v_ashrrev_i32_e32 v5, 31, v4
	v_ashrrev_i32_e32 v7, 31, v6
	v_mul_lo_u32 v30, v26, s27
	v_mul_lo_u32 v31, v24, s27
	v_lshlrev_b64 v[4:5], 4, v[4:5]
	v_lshlrev_b64 v[6:7], 4, v[6:7]
	s_mov_b64 s[72:73], 0
	s_mov_b64 s[74:75], s[48:49]
	v_mov_b32_e32 v32, v13
	v_mov_b32_e32 v33, v12
	s_branch .LBB118_84
.LBB118_82:                             ;   in Loop: Header=BB118_84 Depth=4
	s_or_b64 exec, exec, s[76:77]
.LBB118_83:                             ;   in Loop: Header=BB118_84 Depth=4
	v_add_u32_e32 v33, s33, v33
	s_add_u32 s74, s74, s64
	s_addc_u32 s75, s75, s65
	v_cmp_le_i32_e32 vcc, s44, v33
	s_or_b64 s[72:73], vcc, s[72:73]
	v_add_u32_e32 v32, s62, v32
	s_andn2_b64 exec, exec, s[72:73]
	s_cbranch_execz .LBB118_89
.LBB118_84:                             ;   Parent Loop BB118_44 Depth=1
                                        ;     Parent Loop BB118_47 Depth=2
                                        ;       Parent Loop BB118_49 Depth=3
                                        ; =>      This Inner Loop Header: Depth=4
	v_mov_b32_e32 v29, s75
	v_add_co_u32_e32 v20, vcc, s74, v6
	v_addc_co_u32_e32 v21, vcc, v29, v7, vcc
	v_add_co_u32_e32 v28, vcc, s74, v4
	global_load_dwordx4 v[44:47], v[20:21], off
	v_addc_co_u32_e32 v29, vcc, v29, v5, vcc
	global_load_dwordx4 v[48:51], v[28:29], off
	v_cmp_gt_i32_e64 s[4:5], s23, v32
	s_waitcnt vmcnt(1) lgkmcnt(0)
	v_mul_f64 v[52:53], v[2:3], v[46:47]
	v_mul_f64 v[34:35], v[2:3], v[44:45]
	v_fmac_f64_e32 v[52:53], v[0:1], v[44:45]
	s_waitcnt vmcnt(0)
	v_mul_f64 v[56:57], v[0:1], v[48:49]
	v_mul_f64 v[58:59], v[0:1], v[50:51]
	v_fma_f64 v[54:55], v[0:1], v[46:47], -v[34:35]
	v_fma_f64 v[56:57], v[2:3], v[50:51], -v[56:57]
	v_fma_f64 v[58:59], v[48:49], -v[2:3], -v[58:59]
	v_fmac_f64_e32 v[52:53], v[22:23], v[48:49]
	v_fmac_f64_e32 v[54:55], v[22:23], v[50:51]
	;; [unrolled: 1-line block ×4, first 2 shown]
	global_store_dwordx4 v[28:29], v[52:55], off
	global_store_dwordx4 v[20:21], v[56:59], off
	s_and_saveexec_b64 s[76:77], s[4:5]
	s_cbranch_execz .LBB118_86
; %bb.85:                               ;   in Loop: Header=BB118_84 Depth=4
	global_load_dwordx4 v[44:47], v[20:21], off offset:16
	global_load_dwordx4 v[48:51], v[28:29], off offset:16
	s_waitcnt vmcnt(1)
	v_mul_f64 v[52:53], v[2:3], v[46:47]
	v_mul_f64 v[34:35], v[2:3], v[44:45]
	s_waitcnt vmcnt(0)
	v_mul_f64 v[56:57], v[0:1], v[48:49]
	v_mul_f64 v[58:59], v[0:1], v[50:51]
	v_fmac_f64_e32 v[52:53], v[0:1], v[44:45]
	v_fma_f64 v[54:55], v[0:1], v[46:47], -v[34:35]
	v_fma_f64 v[56:57], v[2:3], v[50:51], -v[56:57]
	v_fma_f64 v[58:59], v[48:49], -v[2:3], -v[58:59]
	v_fmac_f64_e32 v[52:53], v[22:23], v[48:49]
	v_fmac_f64_e32 v[54:55], v[22:23], v[50:51]
	;; [unrolled: 1-line block ×4, first 2 shown]
	global_store_dwordx4 v[28:29], v[52:55], off offset:16
	global_store_dwordx4 v[20:21], v[56:59], off offset:16
.LBB118_86:                             ;   in Loop: Header=BB118_84 Depth=4
	s_or_b64 exec, exec, s[76:77]
	s_andn2_b64 vcc, exec, s[56:57]
	s_cbranch_vccnz .LBB118_83
; %bb.87:                               ;   in Loop: Header=BB118_84 Depth=4
	v_add3_u32 v20, v30, v32, -1
	v_ashrrev_i32_e32 v21, 31, v20
	v_lshlrev_b64 v[28:29], 4, v[20:21]
	v_add3_u32 v20, v31, v32, -1
	v_ashrrev_i32_e32 v21, 31, v20
	v_lshlrev_b64 v[20:21], 4, v[20:21]
	v_mov_b32_e32 v35, s35
	v_add_co_u32_e32 v20, vcc, s34, v20
	v_addc_co_u32_e32 v21, vcc, v35, v21, vcc
	v_mov_b32_e32 v34, s35
	v_add_co_u32_e32 v28, vcc, s34, v28
	global_load_dwordx4 v[44:47], v[20:21], off
	v_addc_co_u32_e32 v29, vcc, v34, v29, vcc
	global_load_dwordx4 v[48:51], v[28:29], off
	s_waitcnt vmcnt(1)
	v_mul_f64 v[52:53], v[2:3], v[46:47]
	v_mul_f64 v[34:35], v[2:3], v[44:45]
	v_fmac_f64_e32 v[52:53], v[0:1], v[44:45]
	s_waitcnt vmcnt(0)
	v_mul_f64 v[56:57], v[0:1], v[48:49]
	v_mul_f64 v[58:59], v[0:1], v[50:51]
	v_fma_f64 v[54:55], v[0:1], v[46:47], -v[34:35]
	v_fma_f64 v[56:57], v[2:3], v[50:51], -v[56:57]
	v_fma_f64 v[58:59], v[48:49], -v[2:3], -v[58:59]
	v_fmac_f64_e32 v[52:53], v[22:23], v[48:49]
	v_fmac_f64_e32 v[54:55], v[22:23], v[50:51]
	;; [unrolled: 1-line block ×4, first 2 shown]
	global_store_dwordx4 v[28:29], v[52:55], off
	global_store_dwordx4 v[20:21], v[56:59], off
	s_and_saveexec_b64 s[76:77], s[4:5]
	s_cbranch_execz .LBB118_82
; %bb.88:                               ;   in Loop: Header=BB118_84 Depth=4
	global_load_dwordx4 v[44:47], v[20:21], off offset:16
	global_load_dwordx4 v[48:51], v[28:29], off offset:16
	s_waitcnt vmcnt(1)
	v_mul_f64 v[52:53], v[2:3], v[46:47]
	v_mul_f64 v[34:35], v[2:3], v[44:45]
	s_waitcnt vmcnt(0)
	v_mul_f64 v[56:57], v[0:1], v[48:49]
	v_mul_f64 v[58:59], v[0:1], v[50:51]
	v_fmac_f64_e32 v[52:53], v[0:1], v[44:45]
	v_fma_f64 v[54:55], v[0:1], v[46:47], -v[34:35]
	v_fma_f64 v[56:57], v[2:3], v[50:51], -v[56:57]
	v_fma_f64 v[58:59], v[48:49], -v[2:3], -v[58:59]
	v_fmac_f64_e32 v[52:53], v[22:23], v[48:49]
	v_fmac_f64_e32 v[54:55], v[22:23], v[50:51]
	;; [unrolled: 1-line block ×4, first 2 shown]
	global_store_dwordx4 v[28:29], v[52:55], off offset:16
	global_store_dwordx4 v[20:21], v[56:59], off offset:16
	s_branch .LBB118_82
.LBB118_89:                             ;   in Loop: Header=BB118_49 Depth=3
	s_or_b64 exec, exec, s[72:73]
	s_mov_b64 s[4:5], exec
.LBB118_90:                             ;   in Loop: Header=BB118_49 Depth=3
	s_or_b64 exec, exec, s[16:17]
	s_waitcnt lgkmcnt(0)
	v_xor_b32_e32 v21, 0x80000000, v3
	v_mov_b32_e32 v20, v2
	s_and_b64 s[16:17], s[4:5], exec
	v_pk_mov_b32 v[28:29], v[0:1], v[0:1] op_sel:[0,1]
.LBB118_91:                             ;   in Loop: Header=BB118_49 Depth=3
	s_or_b64 exec, exec, s[14:15]
	s_barrier
	s_and_saveexec_b64 s[4:5], s[16:17]
	s_cbranch_execz .LBB118_96
; %bb.92:                               ;   in Loop: Header=BB118_49 Depth=3
	v_add_u32_e32 v4, v36, v26
	v_add_u32_e32 v5, v36, v24
	;; [unrolled: 1-line block ×4, first 2 shown]
	s_mov_b32 s29, 0
	s_mov_b64 s[14:15], 0
	v_mov_b32_e32 v30, v13
	v_mov_b32_e32 v31, v12
	s_branch .LBB118_94
.LBB118_93:                             ;   in Loop: Header=BB118_94 Depth=4
	s_or_b64 exec, exec, s[16:17]
	v_add_u32_e32 v31, s33, v31
	s_add_i32 s29, s29, s63
	v_cmp_le_i32_e32 vcc, s44, v31
	s_or_b64 s[14:15], vcc, s[14:15]
	v_add_u32_e32 v30, s62, v30
	s_andn2_b64 exec, exec, s[14:15]
	s_cbranch_execz .LBB118_96
.LBB118_94:                             ;   Parent Loop BB118_44 Depth=1
                                        ;     Parent Loop BB118_47 Depth=2
                                        ;       Parent Loop BB118_49 Depth=3
                                        ; =>      This Inner Loop Header: Depth=4
	v_add_u32_e32 v32, s29, v7
	v_ashrrev_i32_e32 v33, 31, v32
	v_lshlrev_b64 v[44:45], 4, v[32:33]
	v_add_u32_e32 v32, s29, v6
	v_ashrrev_i32_e32 v33, 31, v32
	v_lshlrev_b64 v[32:33], 4, v[32:33]
	v_mov_b32_e32 v34, s49
	v_add_co_u32_e32 v56, vcc, s48, v32
	v_addc_co_u32_e32 v57, vcc, v34, v33, vcc
	v_mov_b32_e32 v46, s49
	v_add_co_u32_e32 v58, vcc, s48, v44
	global_load_dwordx4 v[32:35], v[56:57], off
	v_addc_co_u32_e32 v59, vcc, v46, v45, vcc
	global_load_dwordx4 v[44:47], v[58:59], off
	v_cmp_gt_i32_e32 vcc, s23, v30
	s_waitcnt vmcnt(1)
	v_mul_f64 v[48:49], v[2:3], v[34:35]
	v_mul_f64 v[50:51], v[28:29], v[34:35]
	v_fma_f64 v[48:49], v[28:29], v[32:33], -v[48:49]
	s_waitcnt vmcnt(0)
	v_mul_f64 v[52:53], v[0:1], v[44:45]
	v_mul_f64 v[54:55], v[0:1], v[46:47]
	v_fmac_f64_e32 v[50:51], v[2:3], v[32:33]
	v_fma_f64 v[52:53], v[20:21], v[46:47], -v[52:53]
	v_fma_f64 v[54:55], v[44:45], -v[20:21], -v[54:55]
	v_fmac_f64_e32 v[48:49], v[22:23], v[44:45]
	v_fmac_f64_e32 v[50:51], v[22:23], v[46:47]
	;; [unrolled: 1-line block ×4, first 2 shown]
	global_store_dwordx4 v[58:59], v[48:51], off
	global_store_dwordx4 v[56:57], v[52:55], off
	s_and_saveexec_b64 s[16:17], vcc
	s_cbranch_execz .LBB118_93
; %bb.95:                               ;   in Loop: Header=BB118_94 Depth=4
	v_add_u32_e32 v32, s29, v4
	v_ashrrev_i32_e32 v33, 31, v32
	v_lshlrev_b64 v[44:45], 4, v[32:33]
	v_add_u32_e32 v32, s29, v5
	v_ashrrev_i32_e32 v33, 31, v32
	v_lshlrev_b64 v[32:33], 4, v[32:33]
	v_mov_b32_e32 v34, s49
	v_add_co_u32_e32 v56, vcc, s48, v32
	v_addc_co_u32_e32 v57, vcc, v34, v33, vcc
	v_mov_b32_e32 v46, s49
	v_add_co_u32_e32 v58, vcc, s48, v44
	global_load_dwordx4 v[32:35], v[56:57], off
	v_addc_co_u32_e32 v59, vcc, v46, v45, vcc
	global_load_dwordx4 v[44:47], v[58:59], off
	s_waitcnt vmcnt(1)
	v_mul_f64 v[48:49], v[2:3], v[34:35]
	v_mul_f64 v[50:51], v[28:29], v[34:35]
	v_fma_f64 v[48:49], v[28:29], v[32:33], -v[48:49]
	s_waitcnt vmcnt(0)
	v_mul_f64 v[52:53], v[0:1], v[44:45]
	v_mul_f64 v[54:55], v[0:1], v[46:47]
	v_fmac_f64_e32 v[50:51], v[2:3], v[32:33]
	v_fma_f64 v[52:53], v[20:21], v[46:47], -v[52:53]
	v_fma_f64 v[54:55], v[44:45], -v[20:21], -v[54:55]
	v_fmac_f64_e32 v[48:49], v[22:23], v[44:45]
	v_fmac_f64_e32 v[50:51], v[22:23], v[46:47]
	;; [unrolled: 1-line block ×4, first 2 shown]
	global_store_dwordx4 v[58:59], v[48:51], off
	global_store_dwordx4 v[56:57], v[52:55], off
	s_branch .LBB118_93
.LBB118_96:                             ;   in Loop: Header=BB118_49 Depth=3
	s_or_b64 exec, exec, s[4:5]
	s_barrier
	s_and_saveexec_b64 s[4:5], s[30:31]
	s_cbranch_execz .LBB118_98
; %bb.97:                               ;   in Loop: Header=BB118_49 Depth=3
	v_mad_u64_u32 v[4:5], s[14:15], v24, s23, v[26:27]
	v_ashrrev_i32_e32 v5, 31, v4
	v_lshlrev_b64 v[4:5], 4, v[4:5]
	v_mov_b32_e32 v6, s49
	v_add_co_u32_e32 v30, vcc, s48, v4
	s_mov_b32 s29, s28
	v_addc_co_u32_e32 v31, vcc, v6, v5, vcc
	s_mov_b32 s30, s28
	s_mov_b32 s31, s28
	v_pk_mov_b32 v[4:5], s[28:29], s[28:29] op_sel:[0,1]
	v_pk_mov_b32 v[6:7], s[30:31], s[30:31] op_sel:[0,1]
	global_store_dwordx4 v[30:31], v[4:7], off
	v_mad_u64_u32 v[30:31], s[14:15], v26, s23, v[24:25]
	v_ashrrev_i32_e32 v31, 31, v30
	v_lshlrev_b64 v[30:31], 4, v[30:31]
	v_mov_b32_e32 v32, s49
	v_add_co_u32_e32 v30, vcc, s48, v30
	v_addc_co_u32_e32 v31, vcc, v32, v31, vcc
	global_store_dwordx4 v[30:31], v[4:7], off
.LBB118_98:                             ;   in Loop: Header=BB118_49 Depth=3
	s_or_b64 exec, exec, s[4:5]
	s_and_b64 s[4:5], s[12:13], s[10:11]
	s_barrier
	s_and_saveexec_b64 s[10:11], s[4:5]
	s_cbranch_execz .LBB118_110
; %bb.99:                               ;   in Loop: Header=BB118_49 Depth=3
	v_cmp_lt_i32_e32 vcc, 0, v26
	s_and_saveexec_b64 s[14:15], vcc
	s_cbranch_execz .LBB118_105
; %bb.100:                              ;   in Loop: Header=BB118_49 Depth=3
	v_cmp_ne_u32_e32 vcc, 2, v26
	v_cmp_ne_u32_e64 s[4:5], s83, v26
	s_and_b64 s[4:5], vcc, s[4:5]
                                        ; implicit-def: $vgpr4
	s_and_saveexec_b64 s[16:17], s[4:5]
	s_xor_b64 s[4:5], exec, s[16:17]
; %bb.101:                              ;   in Loop: Header=BB118_49 Depth=3
	v_and_b32_e32 v4, 1, v26
	v_cmp_eq_u32_e32 vcc, 0, v4
	v_cndmask_b32_e64 v4, 2, -2, vcc
	v_add_u32_e32 v4, v4, v26
                                        ; implicit-def: $vgpr26
; %bb.102:                              ;   in Loop: Header=BB118_49 Depth=3
	s_andn2_saveexec_b64 s[4:5], s[4:5]
; %bb.103:                              ;   in Loop: Header=BB118_49 Depth=3
	v_add_u32_e32 v4, -1, v26
; %bb.104:                              ;   in Loop: Header=BB118_49 Depth=3
	s_or_b64 exec, exec, s[4:5]
	v_lshl_add_u32 v5, v43, 2, s80
	ds_write_b32 v5, v4
.LBB118_105:                            ;   in Loop: Header=BB118_49 Depth=3
	s_or_b64 exec, exec, s[14:15]
	v_cmp_ne_u32_e32 vcc, 2, v24
	v_cmp_ne_u32_e64 s[4:5], s83, v24
	s_and_b64 s[4:5], vcc, s[4:5]
                                        ; implicit-def: $vgpr4
	s_and_saveexec_b64 s[14:15], s[4:5]
	s_xor_b64 s[4:5], exec, s[14:15]
; %bb.106:                              ;   in Loop: Header=BB118_49 Depth=3
	v_and_b32_e32 v4, 1, v24
	v_cmp_eq_u32_e32 vcc, 0, v4
	v_cndmask_b32_e64 v4, 2, -2, vcc
	v_add_u32_e32 v4, v4, v24
                                        ; implicit-def: $vgpr24
; %bb.107:                              ;   in Loop: Header=BB118_49 Depth=3
	s_andn2_saveexec_b64 s[4:5], s[4:5]
; %bb.108:                              ;   in Loop: Header=BB118_49 Depth=3
	v_add_u32_e32 v4, -1, v24
; %bb.109:                              ;   in Loop: Header=BB118_49 Depth=3
	s_or_b64 exec, exec, s[4:5]
	ds_write_b32 v25, v4
.LBB118_110:                            ;   in Loop: Header=BB118_49 Depth=3
	s_or_b64 exec, exec, s[10:11]
	s_add_i32 s4, s89, 1
	s_cmp_eq_u32 s89, s82
	s_waitcnt lgkmcnt(0)
	s_barrier
	s_cbranch_scc1 .LBB118_46
; %bb.111:                              ;   in Loop: Header=BB118_49 Depth=3
	s_mov_b32 s89, s4
	s_branch .LBB118_49
.LBB118_112:                            ;   in Loop: Header=BB118_44 Depth=1
	s_and_saveexec_b64 s[4:5], s[12:13]
	s_cbranch_execz .LBB118_122
; %bb.113:                              ;   in Loop: Header=BB118_44 Depth=1
	v_pk_mov_b32 v[4:5], 0, 0
	s_and_saveexec_b64 s[10:11], s[8:9]
	s_cbranch_execz .LBB118_121
; %bb.114:                              ;   in Loop: Header=BB118_44 Depth=1
	s_mov_b64 s[14:15], 0
	v_pk_mov_b32 v[4:5], 0, 0
	v_pk_mov_b32 v[6:7], v[18:19], v[18:19] op_sel:[0,1]
	v_mov_b32_e32 v26, v14
	s_branch .LBB118_116
.LBB118_115:                            ;   in Loop: Header=BB118_116 Depth=2
	s_or_b64 exec, exec, s[16:17]
	v_add_u32_e32 v26, s26, v26
	v_cmp_le_i32_e32 vcc, s23, v26
	v_mov_b32_e32 v24, s67
	s_or_b64 s[14:15], vcc, s[14:15]
	v_add_co_u32_e32 v6, vcc, s66, v6
	v_addc_co_u32_e32 v7, vcc, v7, v24, vcc
	s_andn2_b64 exec, exec, s[14:15]
	s_cbranch_execz .LBB118_120
.LBB118_116:                            ;   Parent Loop BB118_44 Depth=1
                                        ; =>  This Loop Header: Depth=2
                                        ;       Child Loop BB118_118 Depth 3
	v_cmp_lt_i32_e32 vcc, 0, v26
	s_and_saveexec_b64 s[16:17], vcc
	s_cbranch_execz .LBB118_115
; %bb.117:                              ;   in Loop: Header=BB118_116 Depth=2
	s_mov_b32 s29, 0
	s_mov_b64 s[30:31], 0
	v_pk_mov_b32 v[24:25], v[6:7], v[6:7] op_sel:[0,1]
.LBB118_118:                            ;   Parent Loop BB118_44 Depth=1
                                        ;     Parent Loop BB118_116 Depth=2
                                        ; =>    This Inner Loop Header: Depth=3
	global_load_dwordx4 v[30:33], v[24:25], off offset:-8
	v_mov_b32_e32 v34, s69
	v_add_co_u32_e32 v24, vcc, s68, v24
	s_add_i32 s29, s29, 1
	v_addc_co_u32_e32 v25, vcc, v25, v34, vcc
	v_cmp_ge_i32_e32 vcc, s29, v26
	s_or_b64 s[30:31], vcc, s[30:31]
	s_waitcnt vmcnt(0)
	v_mul_f64 v[32:33], v[32:33], v[32:33]
	v_fmac_f64_e32 v[32:33], v[30:31], v[30:31]
	v_fmac_f64_e32 v[4:5], 2.0, v[32:33]
	s_andn2_b64 exec, exec, s[30:31]
	s_cbranch_execnz .LBB118_118
; %bb.119:                              ;   in Loop: Header=BB118_116 Depth=2
	s_or_b64 exec, exec, s[30:31]
	s_branch .LBB118_115
.LBB118_120:                            ;   in Loop: Header=BB118_44 Depth=1
	s_or_b64 exec, exec, s[14:15]
.LBB118_121:                            ;   in Loop: Header=BB118_44 Depth=1
	s_or_b64 exec, exec, s[10:11]
	ds_write_b64 v17, v[4:5]
.LBB118_122:                            ;   in Loop: Header=BB118_44 Depth=1
	s_or_b64 exec, exec, s[4:5]
	s_andn2_b64 vcc, exec, s[24:25]
	s_waitcnt lgkmcnt(0)
	s_barrier
	s_cbranch_vccnz .LBB118_42
; %bb.123:                              ;   in Loop: Header=BB118_44 Depth=1
	s_mov_b32 s4, 0
	s_andn2_b64 vcc, exec, s[58:59]
	s_cbranch_vccnz .LBB118_127
; %bb.124:                              ;   in Loop: Header=BB118_44 Depth=1
	s_mov_b32 s5, 0
	v_pk_mov_b32 v[4:5], 0, 0
.LBB118_125:                            ;   Parent Loop BB118_44 Depth=1
                                        ; =>  This Inner Loop Header: Depth=2
	v_mov_b32_e32 v6, s5
	ds_read2_b64 v[30:33], v6 offset1:1
	ds_read2_b64 v[44:47], v6 offset0:2 offset1:3
	ds_read2_b64 v[48:51], v6 offset0:4 offset1:5
	;; [unrolled: 1-line block ×3, first 2 shown]
	s_add_i32 s4, s4, 8
	s_waitcnt lgkmcnt(3)
	v_add_f64 v[4:5], v[4:5], v[30:31]
	v_add_f64 v[4:5], v[4:5], v[32:33]
	s_waitcnt lgkmcnt(2)
	v_add_f64 v[4:5], v[4:5], v[44:45]
	v_add_f64 v[4:5], v[4:5], v[46:47]
	;; [unrolled: 3-line block ×3, first 2 shown]
	s_add_i32 s5, s5, 64
	s_waitcnt lgkmcnt(0)
	v_add_f64 v[4:5], v[4:5], v[52:53]
	s_cmp_lg_u32 s87, s4
	v_add_f64 v[4:5], v[4:5], v[54:55]
	s_cbranch_scc1 .LBB118_125
; %bb.126:                              ;   in Loop: Header=BB118_44 Depth=1
	s_mov_b32 s4, s87
	s_andn2_b64 vcc, exec, s[60:61]
	s_cbranch_vccz .LBB118_128
	s_branch .LBB118_43
.LBB118_127:                            ;   in Loop: Header=BB118_44 Depth=1
	v_pk_mov_b32 v[4:5], 0, 0
	s_andn2_b64 vcc, exec, s[60:61]
	s_cbranch_vccnz .LBB118_43
.LBB118_128:                            ;   in Loop: Header=BB118_44 Depth=1
	s_lshl_b32 s4, s4, 3
	s_add_i32 s4, s4, 0
	s_mov_b32 s5, s86
.LBB118_129:                            ;   Parent Loop BB118_44 Depth=1
                                        ; =>  This Inner Loop Header: Depth=2
	v_mov_b32_e32 v6, s4
	ds_read_b64 v[6:7], v6
	s_add_i32 s4, s4, 8
	s_add_i32 s5, s5, -1
	s_cmp_lg_u32 s5, 0
	s_waitcnt lgkmcnt(0)
	v_add_f64 v[4:5], v[4:5], v[6:7]
	s_cbranch_scc1 .LBB118_129
	s_branch .LBB118_43
.LBB118_130:
	s_mul_i32 s4, s50, s41
	s_mul_hi_u32 s5, s50, s40
	s_add_i32 s4, s5, s4
	s_mul_i32 s5, s51, s40
	s_add_i32 s5, s4, s5
	s_mul_i32 s4, s50, s40
	s_and_saveexec_b64 s[6:7], s[12:13]
	s_cbranch_execz .LBB118_136
; %bb.131:
	v_cmp_eq_u32_e32 vcc, 0, v14
	s_and_saveexec_b64 s[8:9], vcc
	s_cbranch_execz .LBB118_133
; %bb.132:
	s_lshl_b64 s[10:11], s[50:51], 3
	s_add_u32 s10, s18, s10
	s_addc_u32 s11, s19, s11
	s_mov_b32 s18, 0
	s_brev_b32 s19, 8
	v_cmp_gt_f64_e32 vcc, s[18:19], v[4:5]
	v_cndmask_b32_e64 v0, 0, 1, vcc
	v_lshlrev_b32_e32 v0, 8, v0
	v_ldexp_f64 v[0:1], v[4:5], v0
	v_rsq_f64_e32 v[2:3], v[0:1]
	s_lshl_b64 s[14:15], s[50:51], 2
	s_add_u32 s16, s36, s14
	s_addc_u32 s17, s37, s15
	v_mul_f64 v[4:5], v[0:1], v[2:3]
	v_mul_f64 v[2:3], v[2:3], 0.5
	s_add_u32 s14, s42, s14
	v_fma_f64 v[6:7], -v[2:3], v[4:5], 0.5
	s_addc_u32 s15, s43, s15
	v_fmac_f64_e32 v[4:5], v[4:5], v[6:7]
	s_cmp_gt_i32 s45, s22
	v_fma_f64 v[8:9], -v[4:5], v[4:5], v[0:1]
	v_fmac_f64_e32 v[2:3], v[2:3], v[6:7]
	s_cselect_b64 s[18:19], -1, 0
	s_min_i32 s22, s45, s22
	v_fmac_f64_e32 v[4:5], v[8:9], v[2:3]
	v_cndmask_b32_e64 v11, 0, 1, s[18:19]
	v_fma_f64 v[6:7], -v[4:5], v[4:5], v[0:1]
	s_and_b64 s[18:19], vcc, exec
	v_fmac_f64_e32 v[4:5], v[6:7], v[2:3]
	s_cselect_b32 s18, 0xffffff80, 0
	v_ldexp_f64 v[2:3], v[4:5], s18
	v_mov_b32_e32 v4, 0x260
	v_cmp_class_f64_e32 vcc, v[0:1], v4
	v_mov_b32_e32 v10, 0
	v_cndmask_b32_e32 v1, v3, v1, vcc
	v_cndmask_b32_e32 v0, v2, v0, vcc
	global_store_dwordx2 v10, v[0:1], s[10:11]
	v_mov_b32_e32 v0, s22
	global_store_dword v10, v0, s[16:17]
	global_store_dword v10, v11, s[14:15]
.LBB118_133:
	s_or_b64 exec, exec, s[8:9]
	v_cmp_gt_i32_e32 vcc, s23, v14
	s_and_b64 exec, exec, vcc
	s_cbranch_execz .LBB118_136
; %bb.134:
	s_add_i32 s14, s23, 1
	s_lshl_b64 s[8:9], s[4:5], 3
	v_ashrrev_i32_e32 v15, 31, v14
	s_add_u32 s8, s38, s8
	v_lshlrev_b64 v[0:1], 3, v[14:15]
	s_addc_u32 s9, s39, s9
	v_mov_b32_e32 v2, s9
	v_add_co_u32_e32 v0, vcc, s8, v0
	s_ashr_i32 s47, s46, 31
	v_addc_co_u32_e32 v1, vcc, v2, v1, vcc
	s_ashr_i32 s45, s44, 31
	v_pk_mov_b32 v[2:3], s[46:47], s[46:47] op_sel:[0,1]
	v_cmp_lt_i64_e32 vcc, s[44:45], v[2:3]
	s_and_b64 s[8:9], vcc, exec
	s_cselect_b32 s9, s45, s47
	s_cselect_b32 s8, s44, s46
	s_lshl_b64 s[8:9], s[8:9], 3
	v_mad_u64_u32 v[2:3], s[10:11], v14, s23, v[14:15]
	s_mul_i32 s14, s26, s14
	s_mov_b64 s[10:11], 0
	v_mov_b32_e32 v4, s49
	v_mov_b32_e32 v5, s9
	;; [unrolled: 1-line block ×3, first 2 shown]
.LBB118_135:                            ; =>This Inner Loop Header: Depth=1
	v_ashrrev_i32_e32 v3, 31, v2
	v_lshlrev_b64 v[8:9], 4, v[2:3]
	v_add_co_u32_e32 v8, vcc, s48, v8
	v_addc_co_u32_e32 v9, vcc, v4, v9, vcc
	global_load_dwordx2 v[8:9], v[8:9], off
	v_add_u32_e32 v6, s26, v6
	v_cmp_le_i32_e32 vcc, s23, v6
	s_or_b64 s[10:11], vcc, s[10:11]
	v_add_u32_e32 v2, s14, v2
	s_waitcnt vmcnt(0)
	global_store_dwordx2 v[0:1], v[8:9], off
	v_add_co_u32_e32 v0, vcc, s8, v0
	v_addc_co_u32_e32 v1, vcc, v1, v5, vcc
	s_andn2_b64 exec, exec, s[10:11]
	s_cbranch_execnz .LBB118_135
.LBB118_136:
	s_or_b64 exec, exec, s[6:7]
	s_cmpk_eq_i32 s20, 0xfb
	s_cselect_b64 s[6:7], -1, 0
	s_cmp_lt_i32 s23, 2
	s_cselect_b64 s[8:9], -1, 0
	s_or_b64 s[6:7], s[6:7], s[8:9]
	s_and_b64 vcc, exec, s[6:7]
	s_barrier
	s_cbranch_vccnz .LBB118_147
; %bb.137:
	s_lshl_b64 s[4:5], s[4:5], 3
	s_add_u32 s22, s4, s38
	s_addc_u32 s28, s5, s39
	s_cmpk_lg_i32 s21, 0xd5
	s_cselect_b64 s[6:7], -1, 0
	v_cmp_gt_i32_e64 s[4:5], s23, v14
	s_and_b64 s[10:11], s[6:7], s[4:5]
	s_add_i32 s29, s23, -2
	s_add_u32 s14, s22, 8
	s_addc_u32 s15, s28, 0
	s_ashr_i32 s47, s46, 31
	s_ashr_i32 s45, s44, 31
	v_pk_mov_b32 v[0:1], s[46:47], s[46:47] op_sel:[0,1]
	v_cmp_lt_i64_e64 s[4:5], s[44:45], v[0:1]
	s_and_b64 s[4:5], s[4:5], exec
	s_mov_b32 s9, 0
	s_cselect_b32 s5, s45, s47
	s_cselect_b32 s4, s44, s46
	v_cmp_eq_u32_e32 vcc, 0, v14
	s_lshl_b64 s[16:17], s[4:5], 4
	v_mov_b32_e32 v6, 0
	v_mov_b32_e32 v0, v14
	s_mov_b32 s8, s9
	s_branch .LBB118_139
.LBB118_138:                            ;   in Loop: Header=BB118_139 Depth=1
	s_or_b64 exec, exec, s[18:19]
	s_add_u32 s14, s14, 8
	s_addc_u32 s15, s15, 0
	v_add_u32_e32 v0, s27, v0
	s_cmp_lg_u32 s8, s29
	s_mov_b32 s8, s30
	s_barrier
	s_cbranch_scc0 .LBB118_147
.LBB118_139:                            ; =>This Loop Header: Depth=1
                                        ;     Child Loop BB118_140 Depth 2
                                        ;     Child Loop BB118_146 Depth 2
	s_lshl_b64 s[4:5], s[8:9], 3
	s_add_u32 s20, s22, s4
	s_addc_u32 s21, s28, s5
	global_load_dwordx2 v[2:3], v6, s[20:21]
	s_add_i32 s30, s8, 1
	s_mov_b64 s[18:19], s[14:15]
	s_mov_b32 s6, s8
	s_mov_b32 s7, s30
.LBB118_140:                            ;   Parent Loop BB118_139 Depth=1
                                        ; =>  This Inner Loop Header: Depth=2
	global_load_dwordx2 v[4:5], v6, s[18:19]
	s_waitcnt vmcnt(0)
	v_cmp_lt_f64_e64 s[4:5], v[4:5], v[2:3]
	s_and_b64 s[24:25], s[4:5], exec
	s_cselect_b32 s6, s7, s6
	s_add_i32 s7, s7, 1
	s_add_u32 s18, s18, 8
	s_addc_u32 s19, s19, 0
	v_cndmask_b32_e64 v3, v3, v5, s[4:5]
	s_cmp_lt_i32 s7, s23
	v_cndmask_b32_e64 v2, v2, v4, s[4:5]
	s_cbranch_scc1 .LBB118_140
; %bb.141:                              ;   in Loop: Header=BB118_139 Depth=1
	s_cmp_lg_u32 s6, s8
	s_cselect_b64 s[4:5], -1, 0
	s_and_b64 s[4:5], s[12:13], s[4:5]
	s_barrier
	s_and_saveexec_b64 s[18:19], s[4:5]
	s_cbranch_execz .LBB118_138
; %bb.142:                              ;   in Loop: Header=BB118_139 Depth=1
	s_and_saveexec_b64 s[4:5], vcc
	s_cbranch_execz .LBB118_144
; %bb.143:                              ;   in Loop: Header=BB118_139 Depth=1
	global_load_dwordx2 v[4:5], v6, s[20:21]
	s_ashr_i32 s7, s6, 31
	s_lshl_b64 s[24:25], s[6:7], 3
	s_add_u32 s24, s22, s24
	s_addc_u32 s25, s28, s25
	s_waitcnt vmcnt(0)
	global_store_dwordx2 v6, v[4:5], s[24:25]
	global_store_dwordx2 v6, v[2:3], s[20:21]
.LBB118_144:                            ;   in Loop: Header=BB118_139 Depth=1
	s_or_b64 exec, exec, s[4:5]
	s_and_b64 exec, exec, s[10:11]
	s_cbranch_execz .LBB118_138
; %bb.145:                              ;   in Loop: Header=BB118_139 Depth=1
	s_mul_i32 s4, s6, s27
	v_add_u32_e32 v4, s4, v14
	v_ashrrev_i32_e32 v1, 31, v0
	v_ashrrev_i32_e32 v5, 31, v4
	v_lshlrev_b64 v[2:3], 4, v[0:1]
	v_lshlrev_b64 v[4:5], 4, v[4:5]
	s_mov_b64 s[20:21], 0
	s_mov_b64 s[24:25], s[34:35]
	v_mov_b32_e32 v1, v14
.LBB118_146:                            ;   Parent Loop BB118_139 Depth=1
                                        ; =>  This Inner Loop Header: Depth=2
	v_mov_b32_e32 v7, s25
	v_add_co_u32_e64 v12, s[4:5], s24, v2
	v_add_co_u32_e64 v20, s[6:7], s24, v4
	v_addc_co_u32_e64 v13, s[4:5], v7, v3, s[4:5]
	v_addc_co_u32_e64 v21, s[6:7], v7, v5, s[6:7]
	global_load_dwordx4 v[8:11], v[12:13], off
	global_load_dwordx4 v[16:19], v[20:21], off
	v_add_u32_e32 v1, s26, v1
	s_add_u32 s24, s24, s16
	s_addc_u32 s25, s25, s17
	v_cmp_le_i32_e64 s[4:5], s23, v1
	s_or_b64 s[20:21], s[4:5], s[20:21]
	s_waitcnt vmcnt(1)
	global_store_dwordx4 v[20:21], v[8:11], off
	s_waitcnt vmcnt(1)
	global_store_dwordx4 v[12:13], v[16:19], off
	s_andn2_b64 exec, exec, s[20:21]
	s_cbranch_execnz .LBB118_146
	s_branch .LBB118_138
.LBB118_147:
	s_endpgm
	.section	.rodata,"a",@progbits
	.p2align	6, 0x0
	.amdhsa_kernel _ZN9rocsolver6v33100L18syevj_small_kernelI19rocblas_complex_numIdEdPS3_EEv14rocblas_esort_14rocblas_evect_13rocblas_fill_iT1_iilT0_S9_PS9_iPiSA_lSB_PT_
		.amdhsa_group_segment_fixed_size 0
		.amdhsa_private_segment_fixed_size 24
		.amdhsa_kernarg_size 112
		.amdhsa_user_sgpr_count 8
		.amdhsa_user_sgpr_private_segment_buffer 1
		.amdhsa_user_sgpr_dispatch_ptr 0
		.amdhsa_user_sgpr_queue_ptr 0
		.amdhsa_user_sgpr_kernarg_segment_ptr 1
		.amdhsa_user_sgpr_dispatch_id 0
		.amdhsa_user_sgpr_flat_scratch_init 1
		.amdhsa_user_sgpr_kernarg_preload_length 0
		.amdhsa_user_sgpr_kernarg_preload_offset 0
		.amdhsa_user_sgpr_private_segment_size 0
		.amdhsa_uses_dynamic_stack 0
		.amdhsa_system_sgpr_private_segment_wavefront_offset 1
		.amdhsa_system_sgpr_workgroup_id_x 1
		.amdhsa_system_sgpr_workgroup_id_y 0
		.amdhsa_system_sgpr_workgroup_id_z 1
		.amdhsa_system_sgpr_workgroup_info 0
		.amdhsa_system_vgpr_workitem_id 0
		.amdhsa_next_free_vgpr 60
		.amdhsa_next_free_sgpr 92
		.amdhsa_accum_offset 60
		.amdhsa_reserve_vcc 1
		.amdhsa_reserve_flat_scratch 0
		.amdhsa_float_round_mode_32 0
		.amdhsa_float_round_mode_16_64 0
		.amdhsa_float_denorm_mode_32 3
		.amdhsa_float_denorm_mode_16_64 3
		.amdhsa_dx10_clamp 1
		.amdhsa_ieee_mode 1
		.amdhsa_fp16_overflow 0
		.amdhsa_tg_split 0
		.amdhsa_exception_fp_ieee_invalid_op 0
		.amdhsa_exception_fp_denorm_src 0
		.amdhsa_exception_fp_ieee_div_zero 0
		.amdhsa_exception_fp_ieee_overflow 0
		.amdhsa_exception_fp_ieee_underflow 0
		.amdhsa_exception_fp_ieee_inexact 0
		.amdhsa_exception_int_div_zero 0
	.end_amdhsa_kernel
	.section	.text._ZN9rocsolver6v33100L18syevj_small_kernelI19rocblas_complex_numIdEdPS3_EEv14rocblas_esort_14rocblas_evect_13rocblas_fill_iT1_iilT0_S9_PS9_iPiSA_lSB_PT_,"axG",@progbits,_ZN9rocsolver6v33100L18syevj_small_kernelI19rocblas_complex_numIdEdPS3_EEv14rocblas_esort_14rocblas_evect_13rocblas_fill_iT1_iilT0_S9_PS9_iPiSA_lSB_PT_,comdat
.Lfunc_end118:
	.size	_ZN9rocsolver6v33100L18syevj_small_kernelI19rocblas_complex_numIdEdPS3_EEv14rocblas_esort_14rocblas_evect_13rocblas_fill_iT1_iilT0_S9_PS9_iPiSA_lSB_PT_, .Lfunc_end118-_ZN9rocsolver6v33100L18syevj_small_kernelI19rocblas_complex_numIdEdPS3_EEv14rocblas_esort_14rocblas_evect_13rocblas_fill_iT1_iilT0_S9_PS9_iPiSA_lSB_PT_
                                        ; -- End function
	.section	.AMDGPU.csdata,"",@progbits
; Kernel info:
; codeLenInByte = 8256
; NumSgprs: 96
; NumVgprs: 60
; NumAgprs: 0
; TotalNumVgprs: 60
; ScratchSize: 24
; MemoryBound: 0
; FloatMode: 240
; IeeeMode: 1
; LDSByteSize: 0 bytes/workgroup (compile time only)
; SGPRBlocks: 11
; VGPRBlocks: 7
; NumSGPRsForWavesPerEU: 96
; NumVGPRsForWavesPerEU: 60
; AccumOffset: 60
; Occupancy: 8
; WaveLimiterHint : 0
; COMPUTE_PGM_RSRC2:SCRATCH_EN: 1
; COMPUTE_PGM_RSRC2:USER_SGPR: 8
; COMPUTE_PGM_RSRC2:TRAP_HANDLER: 0
; COMPUTE_PGM_RSRC2:TGID_X_EN: 1
; COMPUTE_PGM_RSRC2:TGID_Y_EN: 0
; COMPUTE_PGM_RSRC2:TGID_Z_EN: 1
; COMPUTE_PGM_RSRC2:TIDIG_COMP_CNT: 0
; COMPUTE_PGM_RSRC3_GFX90A:ACCUM_OFFSET: 14
; COMPUTE_PGM_RSRC3_GFX90A:TG_SPLIT: 0
	.section	.text._ZN9rocsolver6v33100L10syevj_initI19rocblas_complex_numIdEdPS3_EEv14rocblas_evect_13rocblas_fill_iiT1_iilT0_PS8_PT_S9_PiSC_SC_,"axG",@progbits,_ZN9rocsolver6v33100L10syevj_initI19rocblas_complex_numIdEdPS3_EEv14rocblas_evect_13rocblas_fill_iiT1_iilT0_PS8_PT_S9_PiSC_SC_,comdat
	.globl	_ZN9rocsolver6v33100L10syevj_initI19rocblas_complex_numIdEdPS3_EEv14rocblas_evect_13rocblas_fill_iiT1_iilT0_PS8_PT_S9_PiSC_SC_ ; -- Begin function _ZN9rocsolver6v33100L10syevj_initI19rocblas_complex_numIdEdPS3_EEv14rocblas_evect_13rocblas_fill_iiT1_iilT0_PS8_PT_S9_PiSC_SC_
	.p2align	8
	.type	_ZN9rocsolver6v33100L10syevj_initI19rocblas_complex_numIdEdPS3_EEv14rocblas_evect_13rocblas_fill_iiT1_iilT0_PS8_PT_S9_PiSC_SC_,@function
_ZN9rocsolver6v33100L10syevj_initI19rocblas_complex_numIdEdPS3_EEv14rocblas_evect_13rocblas_fill_iiT1_iilT0_PS8_PT_S9_PiSC_SC_: ; @_ZN9rocsolver6v33100L10syevj_initI19rocblas_complex_numIdEdPS3_EEv14rocblas_evect_13rocblas_fill_iiT1_iilT0_PS8_PT_S9_PiSC_SC_
; %bb.0:
	s_load_dword s0, s[4:5], 0x6c
	s_load_dwordx8 s[24:31], s[4:5], 0x0
	s_load_dwordx16 s[8:23], s[4:5], 0x20
	s_ashr_i32 s35, s7, 31
	s_mov_b32 s34, s7
	s_waitcnt lgkmcnt(0)
	s_and_b32 s33, s0, 0xffff
	s_ashr_i32 s1, s30, 31
	s_mul_i32 s2, s7, s9
	s_mul_hi_u32 s3, s7, s8
	s_add_i32 s2, s3, s2
	s_mul_i32 s3, s35, s8
	s_add_i32 s3, s2, s3
	s_mul_i32 s2, s7, s8
	s_lshl_b64 s[2:3], s[2:3], 4
	s_mov_b32 s0, s30
	s_add_u32 s6, s28, s2
	s_addc_u32 s7, s29, s3
	s_lshl_b64 s[4:5], s[0:1], 4
	s_mul_i32 s0, s34, s27
	s_add_u32 s30, s6, s4
	s_mul_i32 s0, s0, s27
	s_addc_u32 s48, s7, s5
	s_ashr_i32 s1, s0, 31
	s_lshl_b64 s[8:9], s[0:1], 4
	s_add_u32 s49, s14, s8
	s_addc_u32 s50, s15, s9
	s_cmpk_eq_i32 s25, 0x79
	v_cmp_gt_i32_e64 s[0:1], s27, v0
	s_cbranch_scc1 .LBB119_12
; %bb.1:
	v_pk_mov_b32 v[14:15], 0, 0
	s_mov_b64 s[36:37], 0
	v_pk_mov_b32 v[16:17], v[14:15], v[14:15] op_sel:[0,1]
	s_and_saveexec_b64 s[38:39], s[0:1]
	s_cbranch_execz .LBB119_14
; %bb.2:
	s_add_i32 s25, s27, 1
	s_cmpk_lg_i32 s24, 0xd5
	s_cselect_b64 s[6:7], -1, 0
	s_add_u32 s2, s2, s4
	s_addc_u32 s3, s3, s5
	s_add_u32 s2, s28, s2
	v_lshlrev_b32_e32 v2, 4, v0
	s_addc_u32 s3, s29, s3
	v_mov_b32_e32 v3, s3
	v_add_co_u32_e32 v4, vcc, s2, v2
	s_ashr_i32 s3, s31, 31
	s_mov_b32 s2, s31
	s_lshl_b32 s52, s33, 4
	s_lshl_b64 s[28:29], s[2:3], 4
	s_add_u32 s2, s14, s8
	v_addc_co_u32_e32 v3, vcc, 0, v3, vcc
	s_addc_u32 s3, s15, s9
	v_add_co_u32_e32 v18, vcc, 8, v4
	s_add_u32 s54, s2, 8
	v_addc_co_u32_e32 v19, vcc, 0, v3, vcc
	s_addc_u32 s2, s3, 0
	s_mov_b32 s4, 0
	v_mov_b32_e32 v25, s2
	v_add_co_u32_e32 v22, vcc, s54, v2
	s_ashr_i32 s3, s27, 31
	s_mov_b32 s2, s27
	v_pk_mov_b32 v[14:15], 0, 0
	v_cndmask_b32_e64 v2, 0, 1, s[6:7]
	v_mul_lo_u32 v1, v0, s31
	s_mul_i32 s51, s31, s33
	s_mov_b32 s53, s4
	v_mul_lo_u32 v20, v0, s27
	s_mul_i32 s55, s27, s33
	v_addc_co_u32_e32 v23, vcc, 0, v25, vcc
	s_lshl_b64 s[42:43], s[2:3], 4
	s_mov_b64 s[40:41], 0
	v_mov_b32_e32 v30, s48
	v_mov_b32_e32 v31, s50
	v_cmp_ne_u32_e64 s[2:3], 1, v2
	v_mov_b32_e32 v2, 0
	v_mov_b32_e32 v3, 0x3ff00000
	;; [unrolled: 1-line block ×3, first 2 shown]
	v_pk_mov_b32 v[16:17], v[14:15], v[14:15] op_sel:[0,1]
	s_branch .LBB119_5
.LBB119_3:                              ;   in Loop: Header=BB119_5 Depth=1
	s_or_b64 exec, exec, s[46:47]
.LBB119_4:                              ;   in Loop: Header=BB119_5 Depth=1
	s_or_b64 exec, exec, s[44:45]
	v_mul_f64 v[4:5], v[8:9], v[8:9]
	v_fmac_f64_e32 v[4:5], v[6:7], v[6:7]
	v_add_f64 v[16:17], v[16:17], v[4:5]
	v_mov_b32_e32 v4, s53
	v_add_co_u32_e32 v18, vcc, s52, v18
	v_add_u32_e32 v24, s33, v24
	v_addc_co_u32_e32 v19, vcc, v19, v4, vcc
	v_cmp_le_i32_e32 vcc, s27, v24
	s_or_b64 s[40:41], vcc, s[40:41]
	v_add_co_u32_e32 v22, vcc, s52, v22
	v_add_u32_e32 v1, s51, v1
	v_add_u32_e32 v20, s55, v20
	v_addc_co_u32_e32 v23, vcc, v23, v4, vcc
	s_andn2_b64 exec, exec, s[40:41]
	s_cbranch_execz .LBB119_13
.LBB119_5:                              ; =>This Loop Header: Depth=1
                                        ;     Child Loop BB119_10 Depth 2
	v_mad_u64_u32 v[4:5], s[6:7], v24, s31, v[24:25]
	v_ashrrev_i32_e32 v5, 31, v4
	v_lshlrev_b64 v[4:5], 4, v[4:5]
	v_add_co_u32_e32 v10, vcc, s30, v4
	v_addc_co_u32_e32 v11, vcc, v30, v5, vcc
	global_load_dwordx4 v[6:9], v[10:11], off
	v_mul_lo_u32 v4, v24, s25
	v_ashrrev_i32_e32 v5, 31, v4
	v_lshlrev_b64 v[4:5], 4, v[4:5]
	v_add_co_u32_e32 v4, vcc, s49, v4
	v_addc_co_u32_e32 v5, vcc, v31, v5, vcc
	s_and_b64 vcc, exec, s[2:3]
	s_waitcnt vmcnt(0)
	global_store_dwordx4 v[4:5], v[6:9], off
	s_cbranch_vccnz .LBB119_7
; %bb.6:                                ;   in Loop: Header=BB119_5 Depth=1
	v_mov_b32_e32 v4, v2
	v_mov_b32_e32 v5, v2
	global_store_dwordx4 v[10:11], v[2:5], off
.LBB119_7:                              ;   in Loop: Header=BB119_5 Depth=1
	v_cmp_ne_u32_e32 vcc, 0, v24
	s_and_saveexec_b64 s[44:45], vcc
	s_cbranch_execz .LBB119_4
; %bb.8:                                ;   in Loop: Header=BB119_5 Depth=1
	v_ashrrev_i32_e32 v21, 31, v20
	v_lshlrev_b64 v[4:5], 4, v[20:21]
	v_add_co_u32_e32 v4, vcc, s54, v4
	v_addc_co_u32_e32 v5, vcc, v25, v5, vcc
	s_mov_b32 s56, 0
	s_mov_b64 s[46:47], 0
	v_pk_mov_b32 v[26:27], v[22:23], v[22:23] op_sel:[0,1]
	v_pk_mov_b32 v[28:29], v[18:19], v[18:19] op_sel:[0,1]
	s_branch .LBB119_10
.LBB119_9:                              ;   in Loop: Header=BB119_10 Depth=2
	v_mul_f64 v[12:13], v[12:13], v[12:13]
	v_fmac_f64_e32 v[12:13], v[10:11], v[10:11]
	v_mov_b32_e32 v10, s29
	v_add_co_u32_e32 v28, vcc, s28, v28
	v_addc_co_u32_e32 v29, vcc, v29, v10, vcc
	v_add_co_u32_e32 v4, vcc, 16, v4
	s_add_i32 s56, s56, 1
	v_addc_co_u32_e32 v5, vcc, 0, v5, vcc
	v_cmp_ge_u32_e32 vcc, s56, v24
	v_mov_b32_e32 v10, s43
	s_or_b64 s[46:47], vcc, s[46:47]
	v_add_co_u32_e32 v26, vcc, s42, v26
	v_fmac_f64_e32 v[14:15], 2.0, v[12:13]
	v_addc_co_u32_e32 v27, vcc, v27, v10, vcc
	s_andn2_b64 exec, exec, s[46:47]
	s_cbranch_execz .LBB119_3
.LBB119_10:                             ;   Parent Loop BB119_5 Depth=1
                                        ; =>  This Inner Loop Header: Depth=2
	global_load_dwordx4 v[10:13], v[28:29], off offset:-8
	s_and_b64 vcc, exec, s[2:3]
	s_waitcnt vmcnt(0)
	v_xor_b32_e32 v21, 0x80000000, v13
	v_pk_mov_b32 v[34:35], v[12:13], v[12:13] op_sel:[0,1]
	v_pk_mov_b32 v[32:33], v[10:11], v[10:11] op_sel:[0,1]
	v_mov_b32_e32 v35, v21
	global_store_dwordx4 v[26:27], v[10:13], off offset:-8
	global_store_dwordx4 v[4:5], v[32:35], off offset:-8
	s_cbranch_vccnz .LBB119_9
; %bb.11:                               ;   in Loop: Header=BB119_10 Depth=2
	v_add_u32_e32 v32, s56, v1
	v_ashrrev_i32_e32 v33, 31, v32
	v_lshlrev_b64 v[32:33], 4, v[32:33]
	v_mov_b32_e32 v21, s48
	v_add_co_u32_e32 v36, vcc, s30, v32
	s_mov_b32 s6, s4
	s_mov_b32 s7, s4
	v_addc_co_u32_e32 v37, vcc, v21, v33, vcc
	s_mov_b32 s5, s4
	v_pk_mov_b32 v[34:35], s[6:7], s[6:7] op_sel:[0,1]
	v_pk_mov_b32 v[32:33], s[4:5], s[4:5] op_sel:[0,1]
	global_store_dwordx4 v[28:29], v[32:35], off offset:-8
	global_store_dwordx4 v[36:37], v[32:35], off
	s_branch .LBB119_9
.LBB119_12:
                                        ; implicit-def: $vgpr14_vgpr15
                                        ; implicit-def: $vgpr16_vgpr17
	s_branch .LBB119_15
.LBB119_13:
	s_or_b64 exec, exec, s[40:41]
.LBB119_14:
	s_or_b64 exec, exec, s[38:39]
	s_andn2_b64 vcc, exec, s[36:37]
	s_cbranch_vccnz .LBB119_28
.LBB119_15:
	v_pk_mov_b32 v[14:15], 0, 0
	v_pk_mov_b32 v[16:17], v[14:15], v[14:15] op_sel:[0,1]
	s_and_saveexec_b64 s[2:3], s[0:1]
	s_cbranch_execz .LBB119_27
; %bb.16:
	s_add_i32 s28, s27, 1
	s_cmpk_lg_i32 s24, 0xd5
	s_cselect_b64 s[0:1], -1, 0
	s_add_i32 s29, s27, -1
	s_mul_i32 s4, s31, s29
	v_add_u32_e32 v1, s4, v0
	s_mul_i32 s4, s27, s29
	v_add_u32_e32 v21, s4, v0
	s_add_u32 s4, s8, s14
	s_addc_u32 s5, s9, s15
	v_mul_lo_u32 v2, s27, v0
	s_add_u32 s37, s4, 8
	v_add_u32_e32 v18, s29, v2
	v_pk_mov_b32 v[14:15], 0, 0
	v_cndmask_b32_e64 v2, 0, 1, s[0:1]
	v_mul_lo_u32 v28, v0, s31
	s_mul_i32 s36, s31, s33
	s_addc_u32 s38, s5, 0
	s_mul_i32 s39, s27, s33
	s_mov_b64 s[8:9], 0
	v_mov_b32_e32 v29, s48
	v_mov_b32_e32 v30, s50
	v_cmp_ne_u32_e64 s[0:1], 1, v2
	s_mov_b32 s4, 0
	v_mov_b32_e32 v2, 0
	v_mov_b32_e32 v3, 0x3ff00000
	;; [unrolled: 1-line block ×3, first 2 shown]
	v_pk_mov_b32 v[16:17], v[14:15], v[14:15] op_sel:[0,1]
	s_branch .LBB119_19
.LBB119_17:                             ;   in Loop: Header=BB119_19 Depth=1
	s_or_b64 exec, exec, s[24:25]
.LBB119_18:                             ;   in Loop: Header=BB119_19 Depth=1
	s_or_b64 exec, exec, s[14:15]
	v_mul_f64 v[4:5], v[8:9], v[8:9]
	v_add_u32_e32 v20, s33, v20
	v_fmac_f64_e32 v[4:5], v[6:7], v[6:7]
	v_cmp_le_i32_e32 vcc, s27, v20
	v_add_f64 v[16:17], v[16:17], v[4:5]
	v_add_u32_e32 v1, s33, v1
	v_add_u32_e32 v21, s33, v21
	;; [unrolled: 1-line block ×3, first 2 shown]
	s_or_b64 s[8:9], vcc, s[8:9]
	v_add_u32_e32 v18, s39, v18
	s_andn2_b64 exec, exec, s[8:9]
	s_cbranch_execz .LBB119_26
.LBB119_19:                             ; =>This Loop Header: Depth=1
                                        ;     Child Loop BB119_24 Depth 2
	v_mad_u64_u32 v[4:5], s[6:7], v20, s31, v[20:21]
	v_ashrrev_i32_e32 v5, 31, v4
	v_lshlrev_b64 v[4:5], 4, v[4:5]
	v_add_co_u32_e32 v10, vcc, s30, v4
	v_addc_co_u32_e32 v11, vcc, v29, v5, vcc
	global_load_dwordx4 v[6:9], v[10:11], off
	v_mul_lo_u32 v4, v20, s28
	v_ashrrev_i32_e32 v5, 31, v4
	v_lshlrev_b64 v[4:5], 4, v[4:5]
	v_add_co_u32_e32 v4, vcc, s49, v4
	v_addc_co_u32_e32 v5, vcc, v30, v5, vcc
	s_and_b64 vcc, exec, s[0:1]
	s_waitcnt vmcnt(0)
	global_store_dwordx4 v[4:5], v[6:9], off
	s_cbranch_vccnz .LBB119_21
; %bb.20:                               ;   in Loop: Header=BB119_19 Depth=1
	v_mov_b32_e32 v4, v2
	v_mov_b32_e32 v5, v2
	global_store_dwordx4 v[10:11], v[2:5], off
.LBB119_21:                             ;   in Loop: Header=BB119_19 Depth=1
	v_cmp_gt_i32_e32 vcc, s29, v20
	s_and_saveexec_b64 s[14:15], vcc
	s_cbranch_execz .LBB119_18
; %bb.22:                               ;   in Loop: Header=BB119_19 Depth=1
	v_ashrrev_i32_e32 v19, 31, v18
	v_lshlrev_b64 v[4:5], 4, v[18:19]
	v_mov_b32_e32 v10, s38
	v_add_co_u32_e32 v4, vcc, s37, v4
	v_addc_co_u32_e32 v5, vcc, v10, v5, vcc
	s_mov_b64 s[24:25], 0
	v_mov_b32_e32 v22, v21
	v_mov_b32_e32 v24, v1
	s_mov_b32 s40, s29
	s_branch .LBB119_24
.LBB119_23:                             ;   in Loop: Header=BB119_24 Depth=2
	s_add_i32 s40, s40, -1
	v_mul_f64 v[12:13], v[12:13], v[12:13]
	v_cmp_le_i32_e32 vcc, s40, v20
	v_fmac_f64_e32 v[12:13], v[10:11], v[10:11]
	s_or_b64 s[24:25], vcc, s[24:25]
	v_add_co_u32_e32 v4, vcc, -16, v4
	v_fmac_f64_e32 v[14:15], 2.0, v[12:13]
	v_subrev_u32_e32 v24, s31, v24
	v_subrev_u32_e32 v22, s27, v22
	v_addc_co_u32_e32 v5, vcc, -1, v5, vcc
	s_andn2_b64 exec, exec, s[24:25]
	s_cbranch_execz .LBB119_17
.LBB119_24:                             ;   Parent Loop BB119_19 Depth=1
                                        ; =>  This Inner Loop Header: Depth=2
	v_ashrrev_i32_e32 v25, 31, v24
	v_lshlrev_b64 v[10:11], 4, v[24:25]
	v_add_co_u32_e32 v26, vcc, s30, v10
	v_addc_co_u32_e32 v27, vcc, v29, v11, vcc
	global_load_dwordx4 v[10:13], v[26:27], off
	v_ashrrev_i32_e32 v23, 31, v22
	v_lshlrev_b64 v[32:33], 4, v[22:23]
	v_add_co_u32_e32 v32, vcc, s49, v32
	v_addc_co_u32_e32 v33, vcc, v30, v33, vcc
	s_and_b64 vcc, exec, s[0:1]
	s_waitcnt vmcnt(0)
	global_store_dwordx4 v[32:33], v[10:13], off
	v_xor_b32_e32 v19, 0x80000000, v13
	v_pk_mov_b32 v[34:35], v[12:13], v[12:13] op_sel:[0,1]
	v_pk_mov_b32 v[32:33], v[10:11], v[10:11] op_sel:[0,1]
	v_mov_b32_e32 v35, v19
	global_store_dwordx4 v[4:5], v[32:35], off offset:-8
	s_cbranch_vccnz .LBB119_23
; %bb.25:                               ;   in Loop: Header=BB119_24 Depth=2
	v_add_u32_e32 v32, s40, v28
	v_ashrrev_i32_e32 v33, 31, v32
	v_lshlrev_b64 v[32:33], 4, v[32:33]
	v_mov_b32_e32 v19, s48
	v_add_co_u32_e32 v36, vcc, s30, v32
	s_mov_b32 s6, s4
	s_mov_b32 s7, s4
	v_addc_co_u32_e32 v37, vcc, v19, v33, vcc
	s_mov_b32 s5, s4
	v_pk_mov_b32 v[34:35], s[6:7], s[6:7] op_sel:[0,1]
	v_pk_mov_b32 v[32:33], s[4:5], s[4:5] op_sel:[0,1]
	global_store_dwordx4 v[26:27], v[32:35], off
	global_store_dwordx4 v[36:37], v[32:35], off
	s_branch .LBB119_23
.LBB119_26:
	s_or_b64 exec, exec, s[8:9]
.LBB119_27:
	s_or_b64 exec, exec, s[2:3]
.LBB119_28:
	s_lshl_b32 s2, s33, 3
	s_add_i32 s0, s2, 0
	v_lshlrev_b32_e32 v1, 3, v0
	v_add_u32_e32 v2, 0, v1
	v_add_u32_e32 v1, s0, v1
	v_cmp_eq_u32_e32 vcc, 0, v0
	ds_write_b64 v2, v[14:15]
	ds_write_b64 v1, v[16:17]
	s_waitcnt lgkmcnt(0)
	s_barrier
	s_and_saveexec_b64 s[0:1], vcc
	s_cbranch_execz .LBB119_40
; %bb.29:
	s_min_i32 s4, s33, s27
	s_cmp_lt_i32 s4, 2
	s_cbranch_scc1 .LBB119_37
; %bb.30:
	s_add_i32 s3, s4, -1
	s_add_i32 s4, s4, -2
	s_cmp_lt_u32 s4, 7
	s_cbranch_scc1 .LBB119_34
; %bb.31:
	s_and_b32 s4, s3, -8
	s_mov_b32 s6, 0
	s_add_i32 s5, 0, 8
.LBB119_32:                             ; =>This Inner Loop Header: Depth=1
	s_add_i32 s8, s5, s2
	v_mov_b32_e32 v1, s5
	v_mov_b32_e32 v34, s8
	ds_read2_b64 v[2:5], v1 offset1:1
	ds_read2_b64 v[6:9], v1 offset0:2 offset1:3
	ds_read2_b64 v[10:13], v1 offset0:4 offset1:5
	;; [unrolled: 1-line block ×3, first 2 shown]
	ds_read2_b64 v[22:25], v34 offset1:1
	ds_read2_b64 v[26:29], v34 offset0:2 offset1:3
	ds_read2_b64 v[30:33], v34 offset0:4 offset1:5
	;; [unrolled: 1-line block ×3, first 2 shown]
	s_waitcnt lgkmcnt(7)
	v_add_f64 v[2:3], v[14:15], v[2:3]
	s_waitcnt lgkmcnt(3)
	v_add_f64 v[14:15], v[16:17], v[22:23]
	v_add_f64 v[2:3], v[2:3], v[4:5]
	v_add_f64 v[4:5], v[14:15], v[24:25]
	v_add_f64 v[2:3], v[2:3], v[6:7]
	s_waitcnt lgkmcnt(2)
	v_add_f64 v[4:5], v[4:5], v[26:27]
	v_add_f64 v[2:3], v[2:3], v[8:9]
	v_add_f64 v[4:5], v[4:5], v[28:29]
	v_add_f64 v[2:3], v[2:3], v[10:11]
	s_waitcnt lgkmcnt(1)
	v_add_f64 v[4:5], v[4:5], v[30:31]
	v_add_f64 v[2:3], v[2:3], v[12:13]
	v_add_f64 v[4:5], v[4:5], v[32:33]
	s_mov_b32 s7, s6
	s_add_i32 s5, s5, 64
	s_add_i32 s6, s6, 8
	v_add_f64 v[2:3], v[2:3], v[18:19]
	s_waitcnt lgkmcnt(0)
	v_add_f64 v[4:5], v[4:5], v[34:35]
	s_cmp_lg_u32 s4, s6
	v_add_f64 v[14:15], v[2:3], v[20:21]
	v_add_f64 v[16:17], v[4:5], v[36:37]
	s_cbranch_scc1 .LBB119_32
; %bb.33:
	s_add_i32 s4, s7, 9
	s_and_b32 s3, s3, 7
	s_cmp_eq_u32 s3, 0
	s_cbranch_scc0 .LBB119_35
	s_branch .LBB119_37
.LBB119_34:
	s_mov_b32 s4, 1
	s_and_b32 s3, s3, 7
	s_cmp_eq_u32 s3, 0
	s_cbranch_scc1 .LBB119_37
.LBB119_35:
	s_lshl_b32 s4, s4, 3
	s_add_i32 s4, s4, 0
.LBB119_36:                             ; =>This Inner Loop Header: Depth=1
	s_add_i32 s5, s4, s2
	v_mov_b32_e32 v1, s4
	v_mov_b32_e32 v4, s5
	ds_read_b64 v[2:3], v1
	ds_read_b64 v[4:5], v4
	s_add_i32 s4, s4, 8
	s_add_i32 s3, s3, -1
	s_cmp_lg_u32 s3, 0
	s_waitcnt lgkmcnt(1)
	v_add_f64 v[14:15], v[14:15], v[2:3]
	s_waitcnt lgkmcnt(0)
	v_add_f64 v[16:17], v[16:17], v[4:5]
	s_cbranch_scc1 .LBB119_36
.LBB119_37:
	s_lshl_b64 s[2:3], s[34:35], 3
	s_add_u32 s4, s16, s2
	v_add_f64 v[2:3], v[16:17], v[14:15]
	s_addc_u32 s5, s17, s3
	v_mul_f64 v[2:3], v[2:3], s[10:11]
	s_add_u32 s2, s12, s2
	v_mul_f64 v[2:3], v[2:3], s[10:11]
	v_mov_b32_e32 v1, 0
	s_addc_u32 s3, s13, s3
	global_store_dwordx2 v1, v[2:3], s[4:5]
	global_store_dwordx2 v1, v[14:15], s[2:3]
	global_load_dwordx2 v[2:3], v1, s[4:5]
	s_waitcnt vmcnt(0)
	v_cmp_lt_f64_e32 vcc, v[14:15], v[2:3]
	s_and_b64 exec, exec, vcc
	s_cbranch_execz .LBB119_40
; %bb.38:
	s_lshl_b64 s[4:5], s[34:35], 2
	s_add_u32 s4, s22, s4
	s_mov_b64 s[2:3], exec
	s_addc_u32 s5, s23, s5
	v_mov_b32_e32 v2, 1
	global_store_dword v1, v2, s[4:5] offset:4
	v_mbcnt_lo_u32_b32 v1, s2, 0
	v_mbcnt_hi_u32_b32 v1, s3, v1
	v_cmp_eq_u32_e32 vcc, 0, v1
	s_and_b64 s[4:5], exec, vcc
	s_mov_b64 exec, s[4:5]
	s_cbranch_execz .LBB119_40
; %bb.39:
	s_bcnt1_i32_b64 s2, s[2:3]
	v_mov_b32_e32 v1, 0
	v_mov_b32_e32 v2, s2
	global_atomic_add v1, v2, s[22:23]
.LBB119_40:
	s_or_b64 exec, exec, s[0:1]
	s_cmp_eq_u32 s34, 0
	s_cselect_b64 s[2:3], -1, 0
	s_cmp_lg_u64 s[18:19], 0
	s_cselect_b64 s[6:7], -1, 0
	s_cmp_lg_u64 s[20:21], 0
	s_cselect_b64 s[8:9], -1, 0
	s_and_b64 s[6:7], s[6:7], s[8:9]
	s_and_b64 s[2:3], s[6:7], s[2:3]
	v_cmp_gt_i32_e32 vcc, s26, v0
	s_mov_b32 s4, 0
	s_mov_b64 s[0:1], 0
	s_and_b64 s[2:3], s[2:3], vcc
	s_and_saveexec_b64 s[6:7], s[2:3]
	s_cbranch_execz .LBB119_43
; %bb.41:
	v_lshlrev_b32_e32 v3, 1, v0
	s_lshl_b32 s2, s33, 1
	v_lshlrev_b32_e32 v2, 2, v0
	v_mov_b32_e32 v1, 0
	s_lshl_b32 s3, s33, 2
	v_mov_b32_e32 v4, s19
	v_mov_b32_e32 v5, s21
	;; [unrolled: 1-line block ×3, first 2 shown]
.LBB119_42:                             ; =>This Inner Loop Header: Depth=1
	v_add_co_u32_e32 v8, vcc, s18, v2
	v_addc_co_u32_e32 v9, vcc, v4, v1, vcc
	v_add_co_u32_e32 v10, vcc, s20, v2
	v_addc_co_u32_e32 v11, vcc, v5, v1, vcc
	v_add_co_u32_e32 v2, vcc, s3, v2
	v_add_u32_e32 v0, s33, v0
	v_addc_co_u32_e32 v1, vcc, v1, v6, vcc
	v_cmp_le_i32_e32 vcc, s26, v0
	v_add_u32_e32 v7, 1, v3
	global_store_dword v[8:9], v3, off
	global_store_dword v[10:11], v7, off
	s_or_b64 s[0:1], vcc, s[0:1]
	v_add_u32_e32 v3, s2, v3
	s_andn2_b64 exec, exec, s[0:1]
	s_cbranch_execnz .LBB119_42
.LBB119_43:
	s_endpgm
	.section	.rodata,"a",@progbits
	.p2align	6, 0x0
	.amdhsa_kernel _ZN9rocsolver6v33100L10syevj_initI19rocblas_complex_numIdEdPS3_EEv14rocblas_evect_13rocblas_fill_iiT1_iilT0_PS8_PT_S9_PiSC_SC_
		.amdhsa_group_segment_fixed_size 0
		.amdhsa_private_segment_fixed_size 0
		.amdhsa_kernarg_size 352
		.amdhsa_user_sgpr_count 6
		.amdhsa_user_sgpr_private_segment_buffer 1
		.amdhsa_user_sgpr_dispatch_ptr 0
		.amdhsa_user_sgpr_queue_ptr 0
		.amdhsa_user_sgpr_kernarg_segment_ptr 1
		.amdhsa_user_sgpr_dispatch_id 0
		.amdhsa_user_sgpr_flat_scratch_init 0
		.amdhsa_user_sgpr_kernarg_preload_length 0
		.amdhsa_user_sgpr_kernarg_preload_offset 0
		.amdhsa_user_sgpr_private_segment_size 0
		.amdhsa_uses_dynamic_stack 0
		.amdhsa_system_sgpr_private_segment_wavefront_offset 0
		.amdhsa_system_sgpr_workgroup_id_x 1
		.amdhsa_system_sgpr_workgroup_id_y 1
		.amdhsa_system_sgpr_workgroup_id_z 0
		.amdhsa_system_sgpr_workgroup_info 0
		.amdhsa_system_vgpr_workitem_id 0
		.amdhsa_next_free_vgpr 38
		.amdhsa_next_free_sgpr 57
		.amdhsa_accum_offset 40
		.amdhsa_reserve_vcc 1
		.amdhsa_reserve_flat_scratch 0
		.amdhsa_float_round_mode_32 0
		.amdhsa_float_round_mode_16_64 0
		.amdhsa_float_denorm_mode_32 3
		.amdhsa_float_denorm_mode_16_64 3
		.amdhsa_dx10_clamp 1
		.amdhsa_ieee_mode 1
		.amdhsa_fp16_overflow 0
		.amdhsa_tg_split 0
		.amdhsa_exception_fp_ieee_invalid_op 0
		.amdhsa_exception_fp_denorm_src 0
		.amdhsa_exception_fp_ieee_div_zero 0
		.amdhsa_exception_fp_ieee_overflow 0
		.amdhsa_exception_fp_ieee_underflow 0
		.amdhsa_exception_fp_ieee_inexact 0
		.amdhsa_exception_int_div_zero 0
	.end_amdhsa_kernel
	.section	.text._ZN9rocsolver6v33100L10syevj_initI19rocblas_complex_numIdEdPS3_EEv14rocblas_evect_13rocblas_fill_iiT1_iilT0_PS8_PT_S9_PiSC_SC_,"axG",@progbits,_ZN9rocsolver6v33100L10syevj_initI19rocblas_complex_numIdEdPS3_EEv14rocblas_evect_13rocblas_fill_iiT1_iilT0_PS8_PT_S9_PiSC_SC_,comdat
.Lfunc_end119:
	.size	_ZN9rocsolver6v33100L10syevj_initI19rocblas_complex_numIdEdPS3_EEv14rocblas_evect_13rocblas_fill_iiT1_iilT0_PS8_PT_S9_PiSC_SC_, .Lfunc_end119-_ZN9rocsolver6v33100L10syevj_initI19rocblas_complex_numIdEdPS3_EEv14rocblas_evect_13rocblas_fill_iiT1_iilT0_PS8_PT_S9_PiSC_SC_
                                        ; -- End function
	.section	.AMDGPU.csdata,"",@progbits
; Kernel info:
; codeLenInByte = 2248
; NumSgprs: 61
; NumVgprs: 38
; NumAgprs: 0
; TotalNumVgprs: 38
; ScratchSize: 0
; MemoryBound: 0
; FloatMode: 240
; IeeeMode: 1
; LDSByteSize: 0 bytes/workgroup (compile time only)
; SGPRBlocks: 7
; VGPRBlocks: 4
; NumSGPRsForWavesPerEU: 61
; NumVGPRsForWavesPerEU: 38
; AccumOffset: 40
; Occupancy: 8
; WaveLimiterHint : 0
; COMPUTE_PGM_RSRC2:SCRATCH_EN: 0
; COMPUTE_PGM_RSRC2:USER_SGPR: 6
; COMPUTE_PGM_RSRC2:TRAP_HANDLER: 0
; COMPUTE_PGM_RSRC2:TGID_X_EN: 1
; COMPUTE_PGM_RSRC2:TGID_Y_EN: 1
; COMPUTE_PGM_RSRC2:TGID_Z_EN: 0
; COMPUTE_PGM_RSRC2:TIDIG_COMP_CNT: 0
; COMPUTE_PGM_RSRC3_GFX90A:ACCUM_OFFSET: 9
; COMPUTE_PGM_RSRC3_GFX90A:TG_SPLIT: 0
	.section	.text._ZN9rocsolver6v33100L17syevj_diag_kernelI19rocblas_complex_numIdEdPS3_EEviT1_iilT0_PT_Pi,"axG",@progbits,_ZN9rocsolver6v33100L17syevj_diag_kernelI19rocblas_complex_numIdEdPS3_EEviT1_iilT0_PT_Pi,comdat
	.globl	_ZN9rocsolver6v33100L17syevj_diag_kernelI19rocblas_complex_numIdEdPS3_EEviT1_iilT0_PT_Pi ; -- Begin function _ZN9rocsolver6v33100L17syevj_diag_kernelI19rocblas_complex_numIdEdPS3_EEviT1_iilT0_PT_Pi
	.p2align	8
	.type	_ZN9rocsolver6v33100L17syevj_diag_kernelI19rocblas_complex_numIdEdPS3_EEviT1_iilT0_PT_Pi,@function
_ZN9rocsolver6v33100L17syevj_diag_kernelI19rocblas_complex_numIdEdPS3_EEviT1_iilT0_PT_Pi: ; @_ZN9rocsolver6v33100L17syevj_diag_kernelI19rocblas_complex_numIdEdPS3_EEviT1_iilT0_PT_Pi
; %bb.0:
	s_load_dwordx8 s[8:15], s[4:5], 0x18
	s_mov_b32 s2, s7
	s_ashr_i32 s3, s7, 31
	s_lshl_b64 s[0:1], s[2:3], 2
	s_waitcnt lgkmcnt(0)
	s_add_u32 s0, s14, s0
	s_addc_u32 s1, s15, s1
	s_load_dword s0, s[0:1], 0x4
	s_waitcnt lgkmcnt(0)
	s_cmp_lg_u32 s0, 0
	s_cbranch_scc1 .LBB120_56
; %bb.1:
	s_load_dword s30, s[4:5], 0x0
	s_load_dword s7, s[4:5], 0x44
	s_add_u32 s0, s4, 56
	s_addc_u32 s1, s5, 0
	v_and_b32_e32 v9, 0x3ff, v0
	s_waitcnt lgkmcnt(0)
	s_add_i32 s14, s30, -1
	s_and_b32 s7, s7, 0xffff
	s_lshr_b32 s15, s14, 31
	s_lshl_b32 s7, s7, 1
	s_add_i32 s14, s14, s15
	s_mul_i32 s31, s7, s6
	s_and_b32 s14, s14, -2
	s_sub_i32 s14, s14, s31
	s_add_i32 s14, s14, 2
	v_bfe_u32 v1, v0, 10, 10
	s_min_i32 s17, s7, s14
	s_ashr_i32 s18, s17, 1
	v_max_i32_e32 v0, v9, v1
	v_cmp_gt_i32_e32 vcc, s18, v0
	s_and_saveexec_b64 s[14:15], vcc
	s_cbranch_execz .LBB120_56
; %bb.2:
	s_cmp_eq_u64 s[12:13], 0
	s_mov_b64 s[20:21], 0
	s_cbranch_scc1 .LBB120_4
; %bb.3:
	s_load_dword s0, s[0:1], 0x0
	s_waitcnt lgkmcnt(0)
	s_mul_i32 s0, s0, s2
	s_add_i32 s0, s0, s6
	s_mul_i32 s0, s7, s0
	s_mul_i32 s0, s0, s7
	s_ashr_i32 s1, s0, 31
	s_lshl_b64 s[0:1], s[0:1], 4
	s_add_u32 s20, s12, s0
	s_addc_u32 s21, s13, s1
.LBB120_4:
	v_lshlrev_b32_e32 v0, 1, v1
	s_cmp_lg_u64 s[20:21], 0
	v_lshlrev_b32_e32 v2, 1, v9
	s_cselect_b64 s[22:23], -1, 0
	s_cmp_eq_u64 s[20:21], 0
	v_mul_u32_u24_e32 v11, s7, v0
	v_mad_u32_u24 v15, s7, v0, s7
	s_cbranch_scc1 .LBB120_6
; %bb.5:
	v_mov_b32_e32 v7, 0
	v_mad_u32_u24 v6, s7, v0, v2
	v_mov_b32_e32 v3, 0x3ff00000
	v_cmp_eq_u32_e32 vcc, v2, v0
	v_lshlrev_b64 v[12:13], 4, v[6:7]
	v_cndmask_b32_e32 v5, 0, v3, vcc
	v_mov_b32_e32 v3, s21
	v_add_co_u32_e32 v12, vcc, s20, v12
	v_addc_co_u32_e32 v13, vcc, v3, v13, vcc
	v_mov_b32_e32 v4, v7
	v_mov_b32_e32 v6, v7
	s_mov_b32 s12, 0
	flat_store_dwordx4 v[12:13], v[4:7]
	v_add_u32_e32 v12, v15, v2
	v_mov_b32_e32 v13, v7
	v_lshlrev_b64 v[12:13], 4, v[12:13]
	s_mov_b32 s14, s12
	s_mov_b32 s15, s12
	v_add_co_u32_e32 v12, vcc, s20, v12
	s_mov_b32 s13, s12
	v_pk_mov_b32 v[18:19], s[14:15], s[14:15] op_sel:[0,1]
	v_addc_co_u32_e32 v13, vcc, v3, v13, vcc
	v_pk_mov_b32 v[16:17], s[12:13], s[12:13] op_sel:[0,1]
	flat_store_dwordx4 v[12:13], v[16:19]
	v_add_co_u32_e32 v12, vcc, v11, v2
	v_addc_co_u32_e64 v13, s[0:1], 0, 0, vcc
	v_lshlrev_b64 v[12:13], 4, v[12:13]
	v_add_co_u32_e32 v12, vcc, s20, v12
	v_addc_co_u32_e32 v13, vcc, v3, v13, vcc
	flat_store_dwordx4 v[12:13], v[16:19] offset:16
	v_add_co_u32_e32 v12, vcc, v15, v2
	v_addc_co_u32_e64 v13, s[0:1], 0, 0, vcc
	v_lshlrev_b64 v[12:13], 4, v[12:13]
	v_add_co_u32_e32 v12, vcc, s20, v12
	v_addc_co_u32_e32 v13, vcc, v3, v13, vcc
	flat_store_dwordx4 v[12:13], v[4:7] offset:16
.LBB120_6:
	s_lshl_b32 s0, s18, 3
	s_add_i32 s24, s0, 0
	s_lshl_b32 s0, s18, 4
	s_add_i32 s19, s24, s0
	s_lshl_b32 s0, s18, 2
	v_add_u32_e32 v8, s31, v2
	s_add_i32 s33, s19, s0
	v_or_b32_e32 v10, 1, v8
	v_cmp_eq_u32_e64 s[0:1], 0, v1
	v_lshlrev_b32_e32 v1, 2, v9
	s_and_saveexec_b64 s[6:7], s[0:1]
	s_cbranch_execz .LBB120_8
; %bb.7:
	v_add_u32_e32 v3, s19, v1
	v_add_u32_e32 v2, s33, v1
	ds_write_b32 v3, v8
	ds_write_b32 v2, v10
.LBB120_8:
	s_or_b64 exec, exec, s[6:7]
	s_cmp_lt_i32 s17, 2
	s_cbranch_scc1 .LBB120_56
; %bb.9:
	s_mov_b32 s6, 0
	s_mov_b32 s7, 0x100000
	v_pk_mov_b32 v[2:3], s[6:7], s[6:7] op_sel:[0,1]
	v_div_scale_f64 v[4:5], s[12:13], s[10:11], s[10:11], v[2:3]
	v_rcp_f64_e32 v[6:7], v[4:5]
	s_load_dwordx4 s[12:15], s[4:5], 0x8
	v_pk_mov_b32 v[12:13], s[10:11], s[10:11] op_sel:[0,1]
	v_div_scale_f64 v[12:13], vcc, s[6:7], v[12:13], s[6:7]
	s_mul_i32 s6, s2, s9
	s_mul_hi_u32 s7, s2, s8
	v_fma_f64 v[16:17], -v[4:5], v[6:7], 1.0
	s_add_i32 s6, s7, s6
	s_mul_i32 s3, s3, s8
	v_fmac_f64_e32 v[6:7], v[6:7], v[16:17]
	s_add_i32 s3, s6, s3
	s_mul_i32 s2, s2, s8
	v_fma_f64 v[16:17], -v[4:5], v[6:7], 1.0
	s_waitcnt lgkmcnt(0)
	s_ashr_i32 s5, s14, 31
	s_lshl_b64 s[2:3], s[2:3], 4
	v_fmac_f64_e32 v[6:7], v[6:7], v[16:17]
	s_mov_b32 s4, s14
	s_add_u32 s6, s12, s2
	v_mul_f64 v[16:17], v[12:13], v[6:7]
	s_addc_u32 s7, s13, s3
	s_lshl_b64 s[2:3], s[4:5], 4
	v_fma_f64 v[4:5], -v[4:5], v[16:17], v[12:13]
	s_add_u32 s14, s6, s2
	v_add_u32_e32 v14, s31, v0
	v_div_fmas_f64 v[4:5], v[4:5], v[6:7], v[16:17]
	s_addc_u32 s34, s7, s3
	v_or_b32_e32 v0, 1, v14
	s_add_i32 s18, s18, -1
	s_add_i32 s4, s33, -4
	v_add_u32_e32 v34, s33, v1
	v_div_fixup_f64 v[12:13], v[4:5], s[10:11], v[2:3]
	v_cmp_gt_i32_e64 s[2:3], s30, v0
	v_mul_lo_u32 v30, v14, s15
	v_add_u32_e32 v32, s19, v1
	v_add_u32_e32 v0, 4, v34
	v_mov_b32_e32 v1, s4
	v_cmp_eq_u32_e32 vcc, s18, v9
	s_mov_b32 s10, 0
	s_add_i32 s35, s15, 1
	s_mov_b32 s16, 0
	v_lshl_add_u32 v28, v9, 3, 0
	v_lshl_add_u32 v29, v9, 4, s24
	v_add_u32_e32 v31, s15, v30
	v_add_u32_e32 v33, -4, v32
	v_cndmask_b32_e32 v35, v0, v1, vcc
	s_add_i32 s36, s17, -1
	s_brev_b32 s11, 8
	v_mov_b32_e32 v36, 0x260
	s_movk_i32 s37, 0x204
	v_mov_b32_e32 v37, 0xffffff80
	v_mov_b32_e32 v38, 0x7ff80000
	v_mov_b32_e32 v39, 0x7ff00000
	v_mov_b32_e32 v40, 0xfff80000
	v_mov_b32_e32 v41, 0xfff00000
                                        ; implicit-def: $vgpr20_vgpr21
                                        ; implicit-def: $vgpr2_vgpr3
                                        ; implicit-def: $vgpr16_vgpr17
                                        ; implicit-def: $vgpr18_vgpr19
	s_branch .LBB120_11
.LBB120_10:                             ;   in Loop: Header=BB120_11 Depth=1
	s_or_b64 exec, exec, s[4:5]
	s_add_i32 s36, s36, -1
	s_cmp_lg_u32 s36, 0
	s_cbranch_scc0 .LBB120_56
.LBB120_11:                             ; =>This Inner Loop Header: Depth=1
	v_cmp_gt_i32_e64 s[4:5], s30, v8
	s_and_b64 s[8:9], s[0:1], s[4:5]
	v_cmp_gt_i32_e64 s[6:7], s30, v10
	s_and_b64 s[12:13], s[8:9], s[6:7]
	s_and_saveexec_b64 s[18:19], s[12:13]
	s_cbranch_execz .LBB120_37
; %bb.12:                               ;   in Loop: Header=BB120_11 Depth=1
	v_mul_lo_u32 v24, v10, s15
	v_add_u32_e32 v0, v8, v24
	v_ashrrev_i32_e32 v1, 31, v0
	v_lshlrev_b64 v[0:1], 4, v[0:1]
	v_mov_b32_e32 v2, s34
	v_add_co_u32_e32 v0, vcc, s14, v0
	v_addc_co_u32_e32 v1, vcc, v2, v1, vcc
	global_load_dwordx4 v[4:7], v[0:1], off
                                        ; implicit-def: $vgpr22_vgpr23
	s_waitcnt vmcnt(0)
	v_xor_b32_e32 v1, 0x80000000, v5
	v_cmp_gt_f64_e32 vcc, 0, v[4:5]
	v_xor_b32_e32 v2, 0x80000000, v7
	v_cndmask_b32_e32 v1, v5, v1, vcc
	v_cmp_gt_f64_e32 vcc, 0, v[6:7]
	v_mov_b32_e32 v0, v4
	v_cndmask_b32_e32 v3, v7, v2, vcc
	v_mov_b32_e32 v2, v6
	v_cmp_ngt_f64_e32 vcc, v[0:1], v[2:3]
	s_and_saveexec_b64 s[8:9], vcc
	s_xor_b64 s[8:9], exec, s[8:9]
	s_cbranch_execz .LBB120_16
; %bb.13:                               ;   in Loop: Header=BB120_11 Depth=1
	v_cmp_neq_f64_e32 vcc, 0, v[6:7]
	v_pk_mov_b32 v[22:23], 0, 0
	s_and_saveexec_b64 s[24:25], vcc
	s_cbranch_execz .LBB120_15
; %bb.14:                               ;   in Loop: Header=BB120_11 Depth=1
	v_div_scale_f64 v[20:21], s[26:27], v[2:3], v[2:3], v[0:1]
	v_rcp_f64_e32 v[22:23], v[20:21]
	v_div_scale_f64 v[26:27], vcc, v[0:1], v[2:3], v[0:1]
	v_fma_f64 v[42:43], -v[20:21], v[22:23], 1.0
	v_fmac_f64_e32 v[22:23], v[22:23], v[42:43]
	v_fma_f64 v[42:43], -v[20:21], v[22:23], 1.0
	v_fmac_f64_e32 v[22:23], v[22:23], v[42:43]
	v_mul_f64 v[42:43], v[26:27], v[22:23]
	v_fma_f64 v[20:21], -v[20:21], v[42:43], v[26:27]
	v_div_fmas_f64 v[20:21], v[20:21], v[22:23], v[42:43]
	v_div_fixup_f64 v[0:1], v[20:21], v[2:3], v[0:1]
	v_fma_f64 v[0:1], v[0:1], v[0:1], 1.0
	v_cmp_gt_f64_e32 vcc, s[10:11], v[0:1]
	v_cndmask_b32_e64 v20, 0, 1, vcc
	v_lshlrev_b32_e32 v20, 8, v20
	v_ldexp_f64 v[0:1], v[0:1], v20
	v_rsq_f64_e32 v[20:21], v[0:1]
	v_mul_f64 v[22:23], v[0:1], v[20:21]
	v_mul_f64 v[20:21], v[20:21], 0.5
	v_fma_f64 v[26:27], -v[20:21], v[22:23], 0.5
	v_fmac_f64_e32 v[22:23], v[22:23], v[26:27]
	v_fma_f64 v[42:43], -v[22:23], v[22:23], v[0:1]
	v_fmac_f64_e32 v[20:21], v[20:21], v[26:27]
	v_fmac_f64_e32 v[22:23], v[42:43], v[20:21]
	v_fma_f64 v[26:27], -v[22:23], v[22:23], v[0:1]
	v_fmac_f64_e32 v[22:23], v[26:27], v[20:21]
	v_cndmask_b32_e32 v20, 0, v37, vcc
	v_ldexp_f64 v[20:21], v[22:23], v20
	v_cmp_class_f64_e32 vcc, v[0:1], v36
	v_cndmask_b32_e32 v1, v21, v1, vcc
	v_cndmask_b32_e32 v0, v20, v0, vcc
	v_mul_f64 v[22:23], v[2:3], v[0:1]
.LBB120_15:                             ;   in Loop: Header=BB120_11 Depth=1
	s_or_b64 exec, exec, s[24:25]
                                        ; implicit-def: $vgpr0_vgpr1
                                        ; implicit-def: $vgpr2_vgpr3
.LBB120_16:                             ;   in Loop: Header=BB120_11 Depth=1
	s_andn2_saveexec_b64 s[8:9], s[8:9]
	s_cbranch_execz .LBB120_18
; %bb.17:                               ;   in Loop: Header=BB120_11 Depth=1
	v_div_scale_f64 v[20:21], s[24:25], v[0:1], v[0:1], v[2:3]
	v_rcp_f64_e32 v[22:23], v[20:21]
	v_div_scale_f64 v[26:27], vcc, v[2:3], v[0:1], v[2:3]
	v_fma_f64 v[42:43], -v[20:21], v[22:23], 1.0
	v_fmac_f64_e32 v[22:23], v[22:23], v[42:43]
	v_fma_f64 v[42:43], -v[20:21], v[22:23], 1.0
	v_fmac_f64_e32 v[22:23], v[22:23], v[42:43]
	v_mul_f64 v[42:43], v[26:27], v[22:23]
	v_fma_f64 v[20:21], -v[20:21], v[42:43], v[26:27]
	v_div_fmas_f64 v[20:21], v[20:21], v[22:23], v[42:43]
	v_div_fixup_f64 v[2:3], v[20:21], v[0:1], v[2:3]
	v_fma_f64 v[2:3], v[2:3], v[2:3], 1.0
	v_cmp_gt_f64_e32 vcc, s[10:11], v[2:3]
	v_cndmask_b32_e64 v20, 0, 1, vcc
	v_lshlrev_b32_e32 v20, 8, v20
	v_ldexp_f64 v[2:3], v[2:3], v20
	v_rsq_f64_e32 v[20:21], v[2:3]
	v_mul_f64 v[22:23], v[2:3], v[20:21]
	v_mul_f64 v[20:21], v[20:21], 0.5
	v_fma_f64 v[26:27], -v[20:21], v[22:23], 0.5
	v_fmac_f64_e32 v[22:23], v[22:23], v[26:27]
	v_fma_f64 v[42:43], -v[22:23], v[22:23], v[2:3]
	v_fmac_f64_e32 v[20:21], v[20:21], v[26:27]
	v_fmac_f64_e32 v[22:23], v[42:43], v[20:21]
	v_fma_f64 v[26:27], -v[22:23], v[22:23], v[2:3]
	v_fmac_f64_e32 v[22:23], v[26:27], v[20:21]
	v_cndmask_b32_e32 v20, 0, v37, vcc
	v_ldexp_f64 v[20:21], v[22:23], v20
	v_cmp_class_f64_e32 vcc, v[2:3], v36
	v_cndmask_b32_e32 v3, v21, v3, vcc
	v_cndmask_b32_e32 v2, v20, v2, vcc
	v_mul_f64 v[22:23], v[0:1], v[2:3]
.LBB120_18:                             ;   in Loop: Header=BB120_11 Depth=1
	s_or_b64 exec, exec, s[8:9]
	v_mul_f64 v[0:1], v[22:23], v[22:23]
	v_mov_b32_e32 v20, 0
	v_pk_mov_b32 v[2:3], 0, 0
	v_cmp_nlt_f64_e32 vcc, v[0:1], v[12:13]
	v_mov_b32_e32 v21, 0x3ff00000
	v_pk_mov_b32 v[0:1], v[2:3], v[2:3] op_sel:[0,1]
	s_and_saveexec_b64 s[24:25], vcc
	s_cbranch_execz .LBB120_36
; %bb.19:                               ;   in Loop: Header=BB120_11 Depth=1
	v_add_u32_e32 v0, v24, v10
	v_ashrrev_i32_e32 v1, 31, v0
	v_lshlrev_b64 v[0:1], 4, v[0:1]
	v_mov_b32_e32 v2, s34
	v_add_co_u32_e32 v0, vcc, s14, v0
	v_addc_co_u32_e32 v1, vcc, v2, v1, vcc
	v_mul_lo_u32 v2, v8, s35
	v_ashrrev_i32_e32 v3, 31, v2
	v_lshlrev_b64 v[2:3], 4, v[2:3]
	v_mov_b32_e32 v20, s34
	v_add_co_u32_e32 v2, vcc, s14, v2
	v_addc_co_u32_e32 v3, vcc, v20, v3, vcc
	global_load_dwordx2 v[20:21], v[2:3], off
	global_load_dwordx2 v[24:25], v[0:1], off
	v_add_f64 v[0:1], v[22:23], v[22:23]
	s_waitcnt vmcnt(0)
	v_add_f64 v[2:3], v[24:25], -v[20:21]
	v_max_f64 v[20:21], |v[2:3]|, |v[0:1]|
	v_frexp_exp_i32_f64_e32 v26, v[20:21]
	v_sub_u32_e32 v24, 0, v26
	v_ldexp_f64 v[20:21], |v[2:3]|, v24
	v_ldexp_f64 v[24:25], |v[0:1]|, v24
	v_mul_f64 v[24:25], v[24:25], v[24:25]
	v_fmac_f64_e32 v[24:25], v[20:21], v[20:21]
	v_rsq_f64_e32 v[20:21], v[24:25]
	v_cmp_eq_f64_e64 s[8:9], 0, v[24:25]
	v_cmp_ngt_f64_e32 vcc, 0, v[2:3]
	v_cmp_class_f64_e64 s[26:27], v[2:3], s37
	v_mul_f64 v[42:43], v[24:25], v[20:21]
	v_mul_f64 v[20:21], v[20:21], 0.5
	v_fma_f64 v[44:45], -v[20:21], v[42:43], 0.5
	v_fmac_f64_e32 v[42:43], v[42:43], v[44:45]
	v_fmac_f64_e32 v[20:21], v[20:21], v[44:45]
	v_fma_f64 v[44:45], -v[42:43], v[42:43], v[24:25]
	v_fmac_f64_e32 v[42:43], v[44:45], v[20:21]
	v_cndmask_b32_e64 v21, v43, v25, s[8:9]
	v_cndmask_b32_e64 v20, v42, v24, s[8:9]
	v_cmp_class_f64_e64 s[8:9], v[0:1], s37
                                        ; implicit-def: $vgpr24_vgpr25
	s_and_saveexec_b64 s[28:29], vcc
	s_xor_b64 s[28:29], exec, s[28:29]
; %bb.20:                               ;   in Loop: Header=BB120_11 Depth=1
	v_ldexp_f64 v[20:21], v[20:21], v26
	v_cmp_o_f64_e32 vcc, v[2:3], v[0:1]
	v_cndmask_b32_e32 v20, 0, v20, vcc
	v_cndmask_b32_e32 v21, v38, v21, vcc
	s_or_b64 vcc, s[8:9], s[26:27]
	v_cndmask_b32_e32 v25, v21, v39, vcc
	v_cndmask_b32_e64 v24, v20, 0, vcc
                                        ; implicit-def: $vgpr20_vgpr21
                                        ; implicit-def: $vgpr26
; %bb.21:                               ;   in Loop: Header=BB120_11 Depth=1
	s_andn2_saveexec_b64 s[28:29], s[28:29]
; %bb.22:                               ;   in Loop: Header=BB120_11 Depth=1
	v_ldexp_f64 v[20:21], -v[20:21], v26
	v_cmp_o_f64_e32 vcc, v[0:1], v[0:1]
	v_cndmask_b32_e32 v20, 0, v20, vcc
	v_cndmask_b32_e32 v21, v40, v21, vcc
	s_or_b64 vcc, s[8:9], s[26:27]
	v_cndmask_b32_e32 v25, v21, v41, vcc
	v_cndmask_b32_e64 v24, v20, 0, vcc
; %bb.23:                               ;   in Loop: Header=BB120_11 Depth=1
	s_or_b64 exec, exec, s[28:29]
	v_mov_b32_e32 v20, 0
	v_cmp_neq_f64_e32 vcc, 0, v[0:1]
	v_pk_mov_b32 v[26:27], 0, 0
	v_mov_b32_e32 v21, 0x3ff00000
	s_and_saveexec_b64 s[8:9], vcc
	s_cbranch_execz .LBB120_31
; %bb.24:                               ;   in Loop: Header=BB120_11 Depth=1
	v_add_f64 v[2:3], v[2:3], v[24:25]
	v_mov_b32_e32 v26, 0
	v_cmp_neq_f64_e32 vcc, 0, v[2:3]
	v_pk_mov_b32 v[20:21], 0, 0
	v_mov_b32_e32 v27, 0x3ff00000
	s_and_saveexec_b64 s[26:27], vcc
	s_cbranch_execz .LBB120_30
; %bb.25:                               ;   in Loop: Header=BB120_11 Depth=1
	v_cmp_ngt_f64_e64 s[28:29], |v[0:1]|, |v[2:3]|
                                        ; implicit-def: $vgpr20_vgpr21
                                        ; implicit-def: $vgpr26_vgpr27
	s_and_saveexec_b64 s[38:39], s[28:29]
	s_xor_b64 s[28:29], exec, s[38:39]
	s_cbranch_execz .LBB120_27
; %bb.26:                               ;   in Loop: Header=BB120_11 Depth=1
	v_div_scale_f64 v[20:21], s[38:39], v[2:3], v[2:3], -v[0:1]
	v_rcp_f64_e32 v[24:25], v[20:21]
	v_div_scale_f64 v[26:27], vcc, -v[0:1], v[2:3], -v[0:1]
	v_fma_f64 v[42:43], -v[20:21], v[24:25], 1.0
	v_fmac_f64_e32 v[24:25], v[24:25], v[42:43]
	v_fma_f64 v[42:43], -v[20:21], v[24:25], 1.0
	v_fmac_f64_e32 v[24:25], v[24:25], v[42:43]
	v_mul_f64 v[42:43], v[26:27], v[24:25]
	v_fma_f64 v[20:21], -v[20:21], v[42:43], v[26:27]
	v_div_fmas_f64 v[20:21], v[20:21], v[24:25], v[42:43]
	v_div_fixup_f64 v[0:1], v[20:21], v[2:3], -v[0:1]
	v_fma_f64 v[2:3], v[0:1], v[0:1], 1.0
	v_cmp_gt_f64_e32 vcc, s[10:11], v[2:3]
	v_cndmask_b32_e64 v20, 0, 1, vcc
	v_lshlrev_b32_e32 v20, 8, v20
	v_ldexp_f64 v[2:3], v[2:3], v20
	v_rsq_f64_e32 v[20:21], v[2:3]
	v_mul_f64 v[24:25], v[2:3], v[20:21]
	v_mul_f64 v[20:21], v[20:21], 0.5
	v_fma_f64 v[26:27], -v[20:21], v[24:25], 0.5
	v_fmac_f64_e32 v[24:25], v[24:25], v[26:27]
	v_fma_f64 v[42:43], -v[24:25], v[24:25], v[2:3]
	v_fmac_f64_e32 v[20:21], v[20:21], v[26:27]
	v_fmac_f64_e32 v[24:25], v[42:43], v[20:21]
	v_fma_f64 v[26:27], -v[24:25], v[24:25], v[2:3]
	v_fmac_f64_e32 v[24:25], v[26:27], v[20:21]
	v_cndmask_b32_e32 v20, 0, v37, vcc
	v_ldexp_f64 v[20:21], v[24:25], v20
	v_cmp_class_f64_e32 vcc, v[2:3], v36
	v_cndmask_b32_e32 v3, v21, v3, vcc
	v_cndmask_b32_e32 v2, v20, v2, vcc
	v_div_scale_f64 v[20:21], s[38:39], v[2:3], v[2:3], 1.0
	v_rcp_f64_e32 v[24:25], v[20:21]
	v_fma_f64 v[26:27], -v[20:21], v[24:25], 1.0
	v_fmac_f64_e32 v[24:25], v[24:25], v[26:27]
	v_fma_f64 v[26:27], -v[20:21], v[24:25], 1.0
	v_fmac_f64_e32 v[24:25], v[24:25], v[26:27]
	v_div_scale_f64 v[26:27], vcc, 1.0, v[2:3], 1.0
	v_mul_f64 v[42:43], v[26:27], v[24:25]
	v_fma_f64 v[20:21], -v[20:21], v[42:43], v[26:27]
	s_nop 1
	v_div_fmas_f64 v[20:21], v[20:21], v[24:25], v[42:43]
	v_div_fixup_f64 v[20:21], v[20:21], v[2:3], 1.0
	v_mul_f64 v[26:27], v[0:1], v[20:21]
                                        ; implicit-def: $vgpr0_vgpr1
                                        ; implicit-def: $vgpr2_vgpr3
.LBB120_27:                             ;   in Loop: Header=BB120_11 Depth=1
	s_andn2_saveexec_b64 s[28:29], s[28:29]
	s_cbranch_execz .LBB120_29
; %bb.28:                               ;   in Loop: Header=BB120_11 Depth=1
	v_div_scale_f64 v[20:21], s[38:39], v[0:1], v[0:1], -v[2:3]
	v_rcp_f64_e32 v[24:25], v[20:21]
	v_div_scale_f64 v[26:27], vcc, -v[2:3], v[0:1], -v[2:3]
	v_fma_f64 v[42:43], -v[20:21], v[24:25], 1.0
	v_fmac_f64_e32 v[24:25], v[24:25], v[42:43]
	v_fma_f64 v[42:43], -v[20:21], v[24:25], 1.0
	v_fmac_f64_e32 v[24:25], v[24:25], v[42:43]
	v_mul_f64 v[42:43], v[26:27], v[24:25]
	v_fma_f64 v[20:21], -v[20:21], v[42:43], v[26:27]
	v_div_fmas_f64 v[20:21], v[20:21], v[24:25], v[42:43]
	v_div_fixup_f64 v[0:1], v[20:21], v[0:1], -v[2:3]
	v_fma_f64 v[2:3], v[0:1], v[0:1], 1.0
	v_cmp_gt_f64_e32 vcc, s[10:11], v[2:3]
	v_cndmask_b32_e64 v20, 0, 1, vcc
	v_lshlrev_b32_e32 v20, 8, v20
	v_ldexp_f64 v[2:3], v[2:3], v20
	v_rsq_f64_e32 v[20:21], v[2:3]
	v_mul_f64 v[24:25], v[2:3], v[20:21]
	v_mul_f64 v[20:21], v[20:21], 0.5
	v_fma_f64 v[26:27], -v[20:21], v[24:25], 0.5
	v_fmac_f64_e32 v[24:25], v[24:25], v[26:27]
	v_fma_f64 v[42:43], -v[24:25], v[24:25], v[2:3]
	v_fmac_f64_e32 v[20:21], v[20:21], v[26:27]
	v_fmac_f64_e32 v[24:25], v[42:43], v[20:21]
	v_fma_f64 v[26:27], -v[24:25], v[24:25], v[2:3]
	v_fmac_f64_e32 v[24:25], v[26:27], v[20:21]
	v_cndmask_b32_e32 v20, 0, v37, vcc
	v_ldexp_f64 v[20:21], v[24:25], v20
	v_cmp_class_f64_e32 vcc, v[2:3], v36
	v_cndmask_b32_e32 v3, v21, v3, vcc
	v_cndmask_b32_e32 v2, v20, v2, vcc
	v_div_scale_f64 v[20:21], s[38:39], v[2:3], v[2:3], 1.0
	v_rcp_f64_e32 v[24:25], v[20:21]
	v_fma_f64 v[26:27], -v[20:21], v[24:25], 1.0
	v_fmac_f64_e32 v[24:25], v[24:25], v[26:27]
	v_fma_f64 v[26:27], -v[20:21], v[24:25], 1.0
	v_fmac_f64_e32 v[24:25], v[24:25], v[26:27]
	v_div_scale_f64 v[26:27], vcc, 1.0, v[2:3], 1.0
	v_mul_f64 v[42:43], v[26:27], v[24:25]
	v_fma_f64 v[20:21], -v[20:21], v[42:43], v[26:27]
	s_nop 1
	v_div_fmas_f64 v[20:21], v[20:21], v[24:25], v[42:43]
	v_div_fixup_f64 v[26:27], v[20:21], v[2:3], 1.0
	v_mul_f64 v[20:21], v[0:1], v[26:27]
.LBB120_29:                             ;   in Loop: Header=BB120_11 Depth=1
	s_or_b64 exec, exec, s[28:29]
.LBB120_30:                             ;   in Loop: Header=BB120_11 Depth=1
	s_or_b64 exec, exec, s[26:27]
.LBB120_31:                             ;   in Loop: Header=BB120_11 Depth=1
	s_or_b64 exec, exec, s[8:9]
	v_xor_b32_e32 v0, 0x80000000, v23
	v_cmp_gt_f64_e32 vcc, 0, v[22:23]
	v_cndmask_b32_e32 v1, v23, v0, vcc
	v_cndmask_b32_e32 v0, v22, v22, vcc
	v_mul_f64 v[24:25], v[4:5], v[26:27]
	v_mul_f64 v[4:5], v[6:7], v[26:27]
	v_cmp_nlt_f64_e32 vcc, 0, v[0:1]
                                        ; implicit-def: $vgpr2_vgpr3
	s_and_saveexec_b64 s[8:9], vcc
	s_xor_b64 s[8:9], exec, s[8:9]
	s_cbranch_execz .LBB120_33
; %bb.32:                               ;   in Loop: Header=BB120_11 Depth=1
	v_div_scale_f64 v[0:1], s[26:27], 0, 0, v[22:23]
	v_rcp_f64_e32 v[2:3], v[0:1]
	v_div_scale_f64 v[6:7], vcc, v[22:23], 0, v[22:23]
	v_fma_f64 v[26:27], -v[0:1], v[2:3], 1.0
	v_fmac_f64_e32 v[2:3], v[2:3], v[26:27]
	v_fma_f64 v[26:27], -v[0:1], v[2:3], 1.0
	v_fmac_f64_e32 v[2:3], v[2:3], v[26:27]
	v_mul_f64 v[26:27], v[6:7], v[2:3]
	v_fma_f64 v[0:1], -v[0:1], v[26:27], v[6:7]
	v_div_fmas_f64 v[0:1], v[0:1], v[2:3], v[26:27]
	v_div_fixup_f64 v[2:3], v[0:1], 0, v[22:23]
	v_fma_f64 v[0:1], v[22:23], v[2:3], 0
	v_div_scale_f64 v[6:7], s[26:27], v[0:1], v[0:1], 1.0
	v_rcp_f64_e32 v[22:23], v[6:7]
	v_fma_f64 v[26:27], -v[6:7], v[22:23], 1.0
	v_fmac_f64_e32 v[22:23], v[22:23], v[26:27]
	v_fma_f64 v[26:27], -v[6:7], v[22:23], 1.0
	v_fmac_f64_e32 v[22:23], v[22:23], v[26:27]
	v_div_scale_f64 v[26:27], vcc, 1.0, v[0:1], 1.0
	v_mul_f64 v[42:43], v[26:27], v[22:23]
	v_fma_f64 v[6:7], -v[6:7], v[42:43], v[26:27]
	s_nop 1
	v_div_fmas_f64 v[6:7], v[6:7], v[22:23], v[42:43]
	v_div_fixup_f64 v[6:7], v[6:7], v[0:1], 1.0
	v_fma_f64 v[0:1], v[2:3], v[24:25], v[4:5]
	v_fma_f64 v[2:3], v[2:3], v[4:5], -v[24:25]
	v_mul_f64 v[0:1], v[6:7], v[0:1]
	v_mul_f64 v[2:3], v[6:7], v[2:3]
                                        ; implicit-def: $vgpr22_vgpr23
                                        ; implicit-def: $vgpr4_vgpr5
                                        ; implicit-def: $vgpr24_vgpr25
.LBB120_33:                             ;   in Loop: Header=BB120_11 Depth=1
	s_andn2_saveexec_b64 s[8:9], s[8:9]
	s_cbranch_execz .LBB120_35
; %bb.34:                               ;   in Loop: Header=BB120_11 Depth=1
	v_div_scale_f64 v[0:1], s[26:27], v[22:23], v[22:23], 0
	v_rcp_f64_e32 v[2:3], v[0:1]
	v_div_scale_f64 v[6:7], vcc, 0, v[22:23], 0
	v_fma_f64 v[26:27], -v[0:1], v[2:3], 1.0
	v_fmac_f64_e32 v[2:3], v[2:3], v[26:27]
	v_fma_f64 v[26:27], -v[0:1], v[2:3], 1.0
	v_fmac_f64_e32 v[2:3], v[2:3], v[26:27]
	v_mul_f64 v[26:27], v[6:7], v[2:3]
	v_fma_f64 v[0:1], -v[0:1], v[26:27], v[6:7]
	v_div_fmas_f64 v[0:1], v[0:1], v[2:3], v[26:27]
	v_div_fixup_f64 v[2:3], v[0:1], v[22:23], 0
	v_fmac_f64_e32 v[22:23], 0, v[2:3]
	v_div_scale_f64 v[0:1], s[26:27], v[22:23], v[22:23], 1.0
	v_rcp_f64_e32 v[6:7], v[0:1]
	v_fma_f64 v[26:27], -v[0:1], v[6:7], 1.0
	v_fmac_f64_e32 v[6:7], v[6:7], v[26:27]
	v_fma_f64 v[26:27], -v[0:1], v[6:7], 1.0
	v_fmac_f64_e32 v[6:7], v[6:7], v[26:27]
	v_div_scale_f64 v[26:27], vcc, 1.0, v[22:23], 1.0
	v_mul_f64 v[42:43], v[26:27], v[6:7]
	v_fma_f64 v[0:1], -v[0:1], v[42:43], v[26:27]
	s_nop 1
	v_div_fmas_f64 v[0:1], v[0:1], v[6:7], v[42:43]
	v_div_fixup_f64 v[6:7], v[0:1], v[22:23], 1.0
	v_fma_f64 v[0:1], v[2:3], v[4:5], v[24:25]
	v_fma_f64 v[2:3], -v[2:3], v[24:25], v[4:5]
	v_mul_f64 v[0:1], v[6:7], v[0:1]
	v_mul_f64 v[2:3], v[6:7], v[2:3]
.LBB120_35:                             ;   in Loop: Header=BB120_11 Depth=1
	s_or_b64 exec, exec, s[8:9]
.LBB120_36:                             ;   in Loop: Header=BB120_11 Depth=1
	s_or_b64 exec, exec, s[24:25]
	ds_write_b64 v28, v[20:21]
	ds_write2_b64 v29, v[0:1], v[2:3] offset1:1
.LBB120_37:                             ;   in Loop: Header=BB120_11 Depth=1
	s_or_b64 exec, exec, s[18:19]
	s_and_b64 s[4:5], s[4:5], s[6:7]
	s_waitcnt lgkmcnt(0)
	s_barrier
	s_and_saveexec_b64 s[6:7], s[4:5]
	s_cbranch_execz .LBB120_45
; %bb.38:                               ;   in Loop: Header=BB120_11 Depth=1
	ds_read_b64 v[20:21], v28
	ds_read2_b64 v[0:3], v29 offset1:1
	s_andn2_b64 vcc, exec, s[22:23]
	s_cbranch_vccnz .LBB120_42
; %bb.39:                               ;   in Loop: Header=BB120_11 Depth=1
	v_subrev_u32_e32 v4, s31, v10
	v_add_u32_e32 v16, v4, v11
	v_subrev_u32_e32 v5, s31, v8
	v_ashrrev_i32_e32 v17, 31, v16
	v_add_u32_e32 v6, v5, v11
	v_lshlrev_b64 v[16:17], 4, v[16:17]
	v_ashrrev_i32_e32 v7, 31, v6
	v_mov_b32_e32 v22, s21
	v_add_co_u32_e32 v26, vcc, s20, v16
	v_lshlrev_b64 v[6:7], 4, v[6:7]
	v_addc_co_u32_e32 v27, vcc, v22, v17, vcc
	v_add_co_u32_e32 v6, vcc, s20, v6
	flat_load_dwordx4 v[16:19], v[26:27]
	v_addc_co_u32_e32 v7, vcc, v22, v7, vcc
	flat_load_dwordx4 v[22:25], v[6:7]
	s_waitcnt vmcnt(0) lgkmcnt(0)
	v_mul_f64 v[42:43], v[2:3], v[18:19]
	v_mul_f64 v[44:45], v[2:3], v[16:17]
	v_fmac_f64_e32 v[42:43], v[0:1], v[16:17]
	v_mul_f64 v[46:47], v[0:1], v[22:23]
	v_mul_f64 v[48:49], v[0:1], v[24:25]
	v_fma_f64 v[44:45], v[0:1], v[18:19], -v[44:45]
	v_fma_f64 v[46:47], v[2:3], v[24:25], -v[46:47]
	v_fma_f64 v[48:49], v[22:23], -v[2:3], -v[48:49]
	v_fmac_f64_e32 v[42:43], v[20:21], v[22:23]
	v_fmac_f64_e32 v[44:45], v[20:21], v[24:25]
	v_fmac_f64_e32 v[46:47], v[20:21], v[16:17]
	v_fmac_f64_e32 v[48:49], v[20:21], v[18:19]
	flat_store_dwordx4 v[6:7], v[42:45]
	flat_store_dwordx4 v[26:27], v[46:49]
	s_and_saveexec_b64 s[8:9], s[2:3]
	s_cbranch_execz .LBB120_41
; %bb.40:                               ;   in Loop: Header=BB120_11 Depth=1
	v_add_u32_e32 v4, v4, v15
	v_add_u32_e32 v6, v5, v15
	v_ashrrev_i32_e32 v5, 31, v4
	v_lshlrev_b64 v[4:5], 4, v[4:5]
	v_ashrrev_i32_e32 v7, 31, v6
	v_mov_b32_e32 v18, s21
	v_add_co_u32_e32 v26, vcc, s20, v4
	v_lshlrev_b64 v[16:17], 4, v[6:7]
	v_addc_co_u32_e32 v27, vcc, v18, v5, vcc
	v_add_co_u32_e32 v46, vcc, s20, v16
	flat_load_dwordx4 v[4:7], v[26:27]
	v_addc_co_u32_e32 v47, vcc, v18, v17, vcc
	flat_load_dwordx4 v[16:19], v[46:47]
	s_waitcnt vmcnt(0) lgkmcnt(0)
	v_mul_f64 v[22:23], v[2:3], v[6:7]
	v_mul_f64 v[24:25], v[2:3], v[4:5]
	v_fmac_f64_e32 v[22:23], v[0:1], v[4:5]
	v_mul_f64 v[42:43], v[0:1], v[16:17]
	v_mul_f64 v[44:45], v[0:1], v[18:19]
	v_fma_f64 v[24:25], v[0:1], v[6:7], -v[24:25]
	v_fma_f64 v[42:43], v[2:3], v[18:19], -v[42:43]
	v_fma_f64 v[44:45], v[16:17], -v[2:3], -v[44:45]
	v_fmac_f64_e32 v[22:23], v[20:21], v[16:17]
	v_fmac_f64_e32 v[24:25], v[20:21], v[18:19]
	;; [unrolled: 1-line block ×4, first 2 shown]
	flat_store_dwordx4 v[46:47], v[22:25]
	flat_store_dwordx4 v[26:27], v[42:45]
.LBB120_41:                             ;   in Loop: Header=BB120_11 Depth=1
	s_or_b64 exec, exec, s[8:9]
.LBB120_42:                             ;   in Loop: Header=BB120_11 Depth=1
	v_mad_u64_u32 v[4:5], s[8:9], v8, s15, v[14:15]
	v_ashrrev_i32_e32 v5, 31, v4
	v_lshlrev_b64 v[6:7], 4, v[4:5]
	v_mad_u64_u32 v[4:5], s[8:9], v10, s15, v[14:15]
	v_ashrrev_i32_e32 v5, 31, v4
	v_lshlrev_b64 v[4:5], 4, v[4:5]
	v_mov_b32_e32 v16, s34
	v_add_co_u32_e32 v4, vcc, s14, v4
	v_addc_co_u32_e32 v5, vcc, v16, v5, vcc
	v_mov_b32_e32 v22, s34
	v_add_co_u32_e32 v6, vcc, s14, v6
	global_load_dwordx4 v[16:19], v[4:5], off
	v_addc_co_u32_e32 v7, vcc, v22, v7, vcc
	global_load_dwordx4 v[22:25], v[6:7], off
	s_waitcnt vmcnt(0) lgkmcnt(0)
	v_mul_f64 v[42:43], v[2:3], v[18:19]
	v_mul_f64 v[26:27], v[2:3], v[16:17]
	v_fmac_f64_e32 v[42:43], v[0:1], v[16:17]
	v_mul_f64 v[46:47], v[0:1], v[22:23]
	v_mul_f64 v[48:49], v[0:1], v[24:25]
	v_fma_f64 v[44:45], v[0:1], v[18:19], -v[26:27]
	v_fma_f64 v[46:47], v[2:3], v[24:25], -v[46:47]
	v_fma_f64 v[48:49], v[22:23], -v[2:3], -v[48:49]
	v_fmac_f64_e32 v[42:43], v[20:21], v[22:23]
	v_fmac_f64_e32 v[44:45], v[20:21], v[24:25]
	;; [unrolled: 1-line block ×4, first 2 shown]
	global_store_dwordx4 v[6:7], v[42:45], off
	global_store_dwordx4 v[4:5], v[46:49], off
	s_and_saveexec_b64 s[8:9], s[2:3]
	s_cbranch_execz .LBB120_44
; %bb.43:                               ;   in Loop: Header=BB120_11 Depth=1
	global_load_dwordx4 v[16:19], v[4:5], off offset:16
	global_load_dwordx4 v[22:25], v[6:7], off offset:16
	s_waitcnt vmcnt(1)
	v_mul_f64 v[42:43], v[2:3], v[18:19]
	v_mul_f64 v[26:27], v[2:3], v[16:17]
	s_waitcnt vmcnt(0)
	v_mul_f64 v[46:47], v[0:1], v[22:23]
	v_mul_f64 v[48:49], v[0:1], v[24:25]
	v_fmac_f64_e32 v[42:43], v[0:1], v[16:17]
	v_fma_f64 v[44:45], v[0:1], v[18:19], -v[26:27]
	v_fma_f64 v[46:47], v[2:3], v[24:25], -v[46:47]
	v_fma_f64 v[48:49], v[22:23], -v[2:3], -v[48:49]
	v_fmac_f64_e32 v[42:43], v[20:21], v[22:23]
	v_fmac_f64_e32 v[44:45], v[20:21], v[24:25]
	;; [unrolled: 1-line block ×4, first 2 shown]
	global_store_dwordx4 v[6:7], v[42:45], off offset:16
	global_store_dwordx4 v[4:5], v[46:49], off offset:16
.LBB120_44:                             ;   in Loop: Header=BB120_11 Depth=1
	s_or_b64 exec, exec, s[8:9]
	v_xor_b32_e32 v17, 0x80000000, v3
	v_mov_b32_e32 v16, v2
	v_pk_mov_b32 v[18:19], v[0:1], v[0:1] op_sel:[0,1]
.LBB120_45:                             ;   in Loop: Header=BB120_11 Depth=1
	s_or_b64 exec, exec, s[6:7]
	s_barrier
	s_and_saveexec_b64 s[6:7], s[4:5]
	s_cbranch_execz .LBB120_48
; %bb.46:                               ;   in Loop: Header=BB120_11 Depth=1
	v_add_u32_e32 v4, v8, v30
	v_ashrrev_i32_e32 v5, 31, v4
	v_lshlrev_b64 v[22:23], 4, v[4:5]
	v_add_u32_e32 v4, v10, v30
	v_ashrrev_i32_e32 v5, 31, v4
	v_lshlrev_b64 v[4:5], 4, v[4:5]
	v_mov_b32_e32 v6, s34
	v_add_co_u32_e32 v26, vcc, s14, v4
	v_addc_co_u32_e32 v27, vcc, v6, v5, vcc
	v_mov_b32_e32 v24, s34
	v_add_co_u32_e32 v50, vcc, s14, v22
	global_load_dwordx4 v[4:7], v[26:27], off
	v_addc_co_u32_e32 v51, vcc, v24, v23, vcc
	global_load_dwordx4 v[22:25], v[50:51], off
	s_waitcnt vmcnt(0)
	v_mul_f64 v[42:43], v[2:3], v[6:7]
	v_mul_f64 v[44:45], v[0:1], v[6:7]
	v_fma_f64 v[42:43], v[0:1], v[4:5], -v[42:43]
	v_mul_f64 v[46:47], v[18:19], v[22:23]
	v_mul_f64 v[48:49], v[18:19], v[24:25]
	v_fmac_f64_e32 v[44:45], v[2:3], v[4:5]
	v_fma_f64 v[46:47], v[16:17], v[24:25], -v[46:47]
	v_fma_f64 v[48:49], v[22:23], -v[16:17], -v[48:49]
	v_fmac_f64_e32 v[42:43], v[20:21], v[22:23]
	v_fmac_f64_e32 v[44:45], v[20:21], v[24:25]
	;; [unrolled: 1-line block ×4, first 2 shown]
	global_store_dwordx4 v[50:51], v[42:45], off
	global_store_dwordx4 v[26:27], v[46:49], off
	s_and_b64 exec, exec, s[2:3]
	s_cbranch_execz .LBB120_48
; %bb.47:                               ;   in Loop: Header=BB120_11 Depth=1
	v_add_u32_e32 v4, v8, v31
	v_ashrrev_i32_e32 v5, 31, v4
	v_lshlrev_b64 v[22:23], 4, v[4:5]
	v_add_u32_e32 v4, v10, v31
	v_ashrrev_i32_e32 v5, 31, v4
	v_lshlrev_b64 v[4:5], 4, v[4:5]
	v_mov_b32_e32 v6, s34
	v_add_co_u32_e32 v26, vcc, s14, v4
	v_addc_co_u32_e32 v27, vcc, v6, v5, vcc
	v_mov_b32_e32 v24, s34
	v_add_co_u32_e32 v50, vcc, s14, v22
	global_load_dwordx4 v[4:7], v[26:27], off
	v_addc_co_u32_e32 v51, vcc, v24, v23, vcc
	global_load_dwordx4 v[22:25], v[50:51], off
	s_waitcnt vmcnt(1)
	v_mul_f64 v[42:43], v[2:3], v[6:7]
	v_mul_f64 v[44:45], v[0:1], v[6:7]
	v_fma_f64 v[42:43], v[0:1], v[4:5], -v[42:43]
	s_waitcnt vmcnt(0)
	v_mul_f64 v[46:47], v[18:19], v[22:23]
	v_mul_f64 v[48:49], v[18:19], v[24:25]
	v_fmac_f64_e32 v[44:45], v[2:3], v[4:5]
	v_fma_f64 v[46:47], v[16:17], v[24:25], -v[46:47]
	v_fma_f64 v[48:49], v[22:23], -v[16:17], -v[48:49]
	v_fmac_f64_e32 v[42:43], v[20:21], v[22:23]
	v_fmac_f64_e32 v[44:45], v[20:21], v[24:25]
	;; [unrolled: 1-line block ×4, first 2 shown]
	global_store_dwordx4 v[50:51], v[42:45], off
	global_store_dwordx4 v[26:27], v[46:49], off
.LBB120_48:                             ;   in Loop: Header=BB120_11 Depth=1
	s_or_b64 exec, exec, s[6:7]
	s_barrier
	s_and_saveexec_b64 s[4:5], s[12:13]
	s_cbranch_execz .LBB120_50
; %bb.49:                               ;   in Loop: Header=BB120_11 Depth=1
	v_mad_u64_u32 v[4:5], s[6:7], v10, s15, v[8:9]
	v_ashrrev_i32_e32 v5, 31, v4
	v_lshlrev_b64 v[4:5], 4, v[4:5]
	v_mov_b32_e32 v6, s34
	v_add_co_u32_e32 v22, vcc, s14, v4
	s_mov_b32 s17, s16
	v_addc_co_u32_e32 v23, vcc, v6, v5, vcc
	s_mov_b32 s18, s16
	s_mov_b32 s19, s16
	v_pk_mov_b32 v[4:5], s[16:17], s[16:17] op_sel:[0,1]
	v_pk_mov_b32 v[6:7], s[18:19], s[18:19] op_sel:[0,1]
	global_store_dwordx4 v[22:23], v[4:7], off
	v_mad_u64_u32 v[22:23], s[6:7], v8, s15, v[10:11]
	v_ashrrev_i32_e32 v23, 31, v22
	v_lshlrev_b64 v[22:23], 4, v[22:23]
	v_mov_b32_e32 v10, s34
	v_add_co_u32_e32 v22, vcc, s14, v22
	v_addc_co_u32_e32 v23, vcc, v10, v23, vcc
	global_store_dwordx4 v[22:23], v[4:7], off
.LBB120_50:                             ;   in Loop: Header=BB120_11 Depth=1
	s_or_b64 exec, exec, s[4:5]
	v_cmp_lt_i32_e32 vcc, 0, v9
	s_and_saveexec_b64 s[4:5], vcc
	s_cbranch_execz .LBB120_54
; %bb.51:                               ;   in Loop: Header=BB120_11 Depth=1
	v_cmp_ne_u32_e32 vcc, 1, v9
	v_mov_b32_e32 v4, s33
	s_and_saveexec_b64 s[6:7], vcc
; %bb.52:                               ;   in Loop: Header=BB120_11 Depth=1
	v_mov_b32_e32 v4, v33
; %bb.53:                               ;   in Loop: Header=BB120_11 Depth=1
	s_or_b64 exec, exec, s[6:7]
	ds_read_b32 v8, v4
.LBB120_54:                             ;   in Loop: Header=BB120_11 Depth=1
	s_or_b64 exec, exec, s[4:5]
	ds_read_b32 v10, v35
	s_waitcnt lgkmcnt(0)
	s_barrier
	s_and_saveexec_b64 s[4:5], s[0:1]
	s_cbranch_execz .LBB120_10
; %bb.55:                               ;   in Loop: Header=BB120_11 Depth=1
	ds_write_b32 v32, v8
	ds_write_b32 v34, v10
	s_branch .LBB120_10
.LBB120_56:
	s_endpgm
	.section	.rodata,"a",@progbits
	.p2align	6, 0x0
	.amdhsa_kernel _ZN9rocsolver6v33100L17syevj_diag_kernelI19rocblas_complex_numIdEdPS3_EEviT1_iilT0_PT_Pi
		.amdhsa_group_segment_fixed_size 0
		.amdhsa_private_segment_fixed_size 0
		.amdhsa_kernarg_size 312
		.amdhsa_user_sgpr_count 6
		.amdhsa_user_sgpr_private_segment_buffer 1
		.amdhsa_user_sgpr_dispatch_ptr 0
		.amdhsa_user_sgpr_queue_ptr 0
		.amdhsa_user_sgpr_kernarg_segment_ptr 1
		.amdhsa_user_sgpr_dispatch_id 0
		.amdhsa_user_sgpr_flat_scratch_init 0
		.amdhsa_user_sgpr_kernarg_preload_length 0
		.amdhsa_user_sgpr_kernarg_preload_offset 0
		.amdhsa_user_sgpr_private_segment_size 0
		.amdhsa_uses_dynamic_stack 0
		.amdhsa_system_sgpr_private_segment_wavefront_offset 0
		.amdhsa_system_sgpr_workgroup_id_x 1
		.amdhsa_system_sgpr_workgroup_id_y 0
		.amdhsa_system_sgpr_workgroup_id_z 1
		.amdhsa_system_sgpr_workgroup_info 0
		.amdhsa_system_vgpr_workitem_id 1
		.amdhsa_next_free_vgpr 52
		.amdhsa_next_free_sgpr 40
		.amdhsa_accum_offset 52
		.amdhsa_reserve_vcc 1
		.amdhsa_reserve_flat_scratch 0
		.amdhsa_float_round_mode_32 0
		.amdhsa_float_round_mode_16_64 0
		.amdhsa_float_denorm_mode_32 3
		.amdhsa_float_denorm_mode_16_64 3
		.amdhsa_dx10_clamp 1
		.amdhsa_ieee_mode 1
		.amdhsa_fp16_overflow 0
		.amdhsa_tg_split 0
		.amdhsa_exception_fp_ieee_invalid_op 0
		.amdhsa_exception_fp_denorm_src 0
		.amdhsa_exception_fp_ieee_div_zero 0
		.amdhsa_exception_fp_ieee_overflow 0
		.amdhsa_exception_fp_ieee_underflow 0
		.amdhsa_exception_fp_ieee_inexact 0
		.amdhsa_exception_int_div_zero 0
	.end_amdhsa_kernel
	.section	.text._ZN9rocsolver6v33100L17syevj_diag_kernelI19rocblas_complex_numIdEdPS3_EEviT1_iilT0_PT_Pi,"axG",@progbits,_ZN9rocsolver6v33100L17syevj_diag_kernelI19rocblas_complex_numIdEdPS3_EEviT1_iilT0_PT_Pi,comdat
.Lfunc_end120:
	.size	_ZN9rocsolver6v33100L17syevj_diag_kernelI19rocblas_complex_numIdEdPS3_EEviT1_iilT0_PT_Pi, .Lfunc_end120-_ZN9rocsolver6v33100L17syevj_diag_kernelI19rocblas_complex_numIdEdPS3_EEviT1_iilT0_PT_Pi
                                        ; -- End function
	.section	.AMDGPU.csdata,"",@progbits
; Kernel info:
; codeLenInByte = 4272
; NumSgprs: 44
; NumVgprs: 52
; NumAgprs: 0
; TotalNumVgprs: 52
; ScratchSize: 0
; MemoryBound: 0
; FloatMode: 240
; IeeeMode: 1
; LDSByteSize: 0 bytes/workgroup (compile time only)
; SGPRBlocks: 5
; VGPRBlocks: 6
; NumSGPRsForWavesPerEU: 44
; NumVGPRsForWavesPerEU: 52
; AccumOffset: 52
; Occupancy: 8
; WaveLimiterHint : 0
; COMPUTE_PGM_RSRC2:SCRATCH_EN: 0
; COMPUTE_PGM_RSRC2:USER_SGPR: 6
; COMPUTE_PGM_RSRC2:TRAP_HANDLER: 0
; COMPUTE_PGM_RSRC2:TGID_X_EN: 1
; COMPUTE_PGM_RSRC2:TGID_Y_EN: 0
; COMPUTE_PGM_RSRC2:TGID_Z_EN: 1
; COMPUTE_PGM_RSRC2:TIDIG_COMP_CNT: 1
; COMPUTE_PGM_RSRC3_GFX90A:ACCUM_OFFSET: 12
; COMPUTE_PGM_RSRC3_GFX90A:TG_SPLIT: 0
	.section	.text._ZN9rocsolver6v33100L21syevj_diag_rotate_orgILb0E19rocblas_complex_numIdEdPS3_EEvbiT2_iilPT0_Pi,"axG",@progbits,_ZN9rocsolver6v33100L21syevj_diag_rotate_orgILb0E19rocblas_complex_numIdEdPS3_EEvbiT2_iilPT0_Pi,comdat
	.globl	_ZN9rocsolver6v33100L21syevj_diag_rotate_orgILb0E19rocblas_complex_numIdEdPS3_EEvbiT2_iilPT0_Pi ; -- Begin function _ZN9rocsolver6v33100L21syevj_diag_rotate_orgILb0E19rocblas_complex_numIdEdPS3_EEvbiT2_iilPT0_Pi
	.p2align	8
	.type	_ZN9rocsolver6v33100L21syevj_diag_rotate_orgILb0E19rocblas_complex_numIdEdPS3_EEvbiT2_iilPT0_Pi,@function
_ZN9rocsolver6v33100L21syevj_diag_rotate_orgILb0E19rocblas_complex_numIdEdPS3_EEvbiT2_iilPT0_Pi: ; @_ZN9rocsolver6v33100L21syevj_diag_rotate_orgILb0E19rocblas_complex_numIdEdPS3_EEvbiT2_iilPT0_Pi
; %bb.0:
	s_load_dwordx2 s[0:1], s[4:5], 0x0
	s_load_dwordx2 s[2:3], s[4:5], 0x28
	s_waitcnt lgkmcnt(0)
	s_bitcmp1_b32 s0, 0
	s_cselect_b64 s[10:11], -1, 0
	s_ashr_i32 s9, s8, 31
	s_lshl_b64 s[12:13], s[8:9], 2
	s_add_u32 s2, s2, s12
	s_addc_u32 s3, s3, s13
	s_load_dword s0, s[2:3], 0x4
	s_waitcnt lgkmcnt(0)
	s_cmp_lg_u32 s0, 0
	s_cselect_b64 s[2:3], -1, 0
	s_cmp_eq_u32 s6, s7
	s_cselect_b64 s[12:13], -1, 0
	s_and_b64 s[10:11], s[12:13], s[10:11]
	s_or_b64 s[2:3], s[10:11], s[2:3]
	s_and_b64 vcc, exec, s[2:3]
	s_cbranch_vccnz .LBB121_6
; %bb.1:
	s_load_dword s0, s[4:5], 0x3c
	s_add_u32 s2, s4, 48
	s_addc_u32 s3, s5, 0
	v_and_b32_e32 v7, 0x3ff, v0
	v_bfe_u32 v6, v0, 10, 10
	s_waitcnt lgkmcnt(0)
	s_and_b32 s10, s0, 0xffff
	s_mul_i32 s0, s6, s10
	s_mul_i32 s11, s7, s10
	v_add_u32_e32 v5, s0, v7
	v_add_u32_e32 v4, s11, v6
	v_max_i32_e32 v0, v5, v4
	v_cmp_gt_i32_e32 vcc, s1, v0
	s_and_saveexec_b64 s[12:13], vcc
	s_cbranch_execz .LBB121_6
; %bb.2:
	s_load_dwordx8 s[12:19], s[4:5], 0x8
	s_sub_i32 s0, s1, s0
	s_min_i32 s4, s0, s10
	v_pk_mov_b32 v[2:3], 0, 0
	v_pk_mov_b32 v[0:1], v[2:3], v[2:3] op_sel:[0,1]
	s_waitcnt lgkmcnt(0)
	s_mul_i32 s5, s8, s17
	s_mul_hi_u32 s11, s8, s16
	s_add_i32 s5, s11, s5
	s_mul_i32 s9, s9, s16
	s_add_i32 s17, s5, s9
	s_mul_i32 s16, s8, s16
	s_ashr_i32 s1, s14, 31
	s_lshl_b64 s[16:17], s[16:17], 4
	s_mov_b32 s0, s14
	s_add_u32 s5, s12, s16
	s_addc_u32 s9, s13, s17
	s_lshl_b64 s[0:1], s[0:1], 4
	s_add_u32 s0, s5, s0
	s_addc_u32 s1, s9, s1
	s_cmp_lt_i32 s4, 1
	s_cbranch_scc1 .LBB121_5
; %bb.3:
	s_load_dword s2, s[2:3], 0x0
	s_mul_i32 s3, s6, s15
	s_add_i32 s3, s7, s3
	s_mul_i32 s3, s3, s10
	v_add_u32_e32 v6, s3, v6
	s_waitcnt lgkmcnt(0)
	s_mul_i32 s2, s2, s8
	s_add_i32 s2, s2, s6
	s_mul_i32 s2, s2, s10
	s_mul_i32 s2, s2, s10
	s_ashr_i32 s3, s2, 31
	s_lshl_b64 s[2:3], s[2:3], 4
	s_add_u32 s2, s18, s2
	v_lshlrev_b32_e32 v0, 4, v7
	s_addc_u32 s3, s19, s3
	v_mov_b32_e32 v1, s3
	v_add_co_u32_e32 v0, vcc, s2, v0
	v_addc_co_u32_e32 v1, vcc, 0, v1, vcc
	s_mov_b32 s5, 0
	v_add_co_u32_e32 v8, vcc, 8, v0
	v_pk_mov_b32 v[2:3], 0, 0
	v_addc_co_u32_e32 v9, vcc, 0, v1, vcc
	s_lshl_b32 s2, s10, 4
	v_mov_b32_e32 v10, s1
	v_mov_b32_e32 v11, s5
	v_pk_mov_b32 v[0:1], v[2:3], v[2:3] op_sel:[0,1]
.LBB121_4:                              ; =>This Inner Loop Header: Depth=1
	v_ashrrev_i32_e32 v7, 31, v6
	v_lshlrev_b64 v[16:17], 4, v[6:7]
	v_add_co_u32_e32 v16, vcc, s0, v16
	v_addc_co_u32_e32 v17, vcc, v10, v17, vcc
	global_load_dwordx4 v[12:15], v[8:9], off offset:-8
	s_add_i32 s4, s4, -1
	global_load_dwordx4 v[16:19], v[16:17], off
	v_add_co_u32_e32 v8, vcc, s2, v8
	v_addc_co_u32_e32 v9, vcc, v9, v11, vcc
	v_add_u32_e32 v6, s15, v6
	s_cmp_lg_u32 s4, 0
	s_waitcnt vmcnt(0)
	v_mul_f64 v[20:21], v[18:19], v[14:15]
	v_mul_f64 v[14:15], v[16:17], v[14:15]
	v_fma_f64 v[16:17], v[16:17], v[12:13], -v[20:21]
	v_fmac_f64_e32 v[14:15], v[18:19], v[12:13]
	v_add_f64 v[0:1], v[0:1], v[16:17]
	v_add_f64 v[2:3], v[2:3], v[14:15]
	s_cbranch_scc1 .LBB121_4
.LBB121_5:
	v_mad_u64_u32 v[4:5], s[2:3], v5, s15, v[4:5]
	v_ashrrev_i32_e32 v5, 31, v4
	v_lshlrev_b64 v[4:5], 4, v[4:5]
	v_mov_b32_e32 v6, s1
	v_add_co_u32_e32 v4, vcc, s0, v4
	v_addc_co_u32_e32 v5, vcc, v6, v5, vcc
	s_barrier
	global_store_dwordx4 v[4:5], v[0:3], off
.LBB121_6:
	s_endpgm
	.section	.rodata,"a",@progbits
	.p2align	6, 0x0
	.amdhsa_kernel _ZN9rocsolver6v33100L21syevj_diag_rotate_orgILb0E19rocblas_complex_numIdEdPS3_EEvbiT2_iilPT0_Pi
		.amdhsa_group_segment_fixed_size 0
		.amdhsa_private_segment_fixed_size 0
		.amdhsa_kernarg_size 304
		.amdhsa_user_sgpr_count 6
		.amdhsa_user_sgpr_private_segment_buffer 1
		.amdhsa_user_sgpr_dispatch_ptr 0
		.amdhsa_user_sgpr_queue_ptr 0
		.amdhsa_user_sgpr_kernarg_segment_ptr 1
		.amdhsa_user_sgpr_dispatch_id 0
		.amdhsa_user_sgpr_flat_scratch_init 0
		.amdhsa_user_sgpr_kernarg_preload_length 0
		.amdhsa_user_sgpr_kernarg_preload_offset 0
		.amdhsa_user_sgpr_private_segment_size 0
		.amdhsa_uses_dynamic_stack 0
		.amdhsa_system_sgpr_private_segment_wavefront_offset 0
		.amdhsa_system_sgpr_workgroup_id_x 1
		.amdhsa_system_sgpr_workgroup_id_y 1
		.amdhsa_system_sgpr_workgroup_id_z 1
		.amdhsa_system_sgpr_workgroup_info 0
		.amdhsa_system_vgpr_workitem_id 1
		.amdhsa_next_free_vgpr 22
		.amdhsa_next_free_sgpr 20
		.amdhsa_accum_offset 24
		.amdhsa_reserve_vcc 1
		.amdhsa_reserve_flat_scratch 0
		.amdhsa_float_round_mode_32 0
		.amdhsa_float_round_mode_16_64 0
		.amdhsa_float_denorm_mode_32 3
		.amdhsa_float_denorm_mode_16_64 3
		.amdhsa_dx10_clamp 1
		.amdhsa_ieee_mode 1
		.amdhsa_fp16_overflow 0
		.amdhsa_tg_split 0
		.amdhsa_exception_fp_ieee_invalid_op 0
		.amdhsa_exception_fp_denorm_src 0
		.amdhsa_exception_fp_ieee_div_zero 0
		.amdhsa_exception_fp_ieee_overflow 0
		.amdhsa_exception_fp_ieee_underflow 0
		.amdhsa_exception_fp_ieee_inexact 0
		.amdhsa_exception_int_div_zero 0
	.end_amdhsa_kernel
	.section	.text._ZN9rocsolver6v33100L21syevj_diag_rotate_orgILb0E19rocblas_complex_numIdEdPS3_EEvbiT2_iilPT0_Pi,"axG",@progbits,_ZN9rocsolver6v33100L21syevj_diag_rotate_orgILb0E19rocblas_complex_numIdEdPS3_EEvbiT2_iilPT0_Pi,comdat
.Lfunc_end121:
	.size	_ZN9rocsolver6v33100L21syevj_diag_rotate_orgILb0E19rocblas_complex_numIdEdPS3_EEvbiT2_iilPT0_Pi, .Lfunc_end121-_ZN9rocsolver6v33100L21syevj_diag_rotate_orgILb0E19rocblas_complex_numIdEdPS3_EEvbiT2_iilPT0_Pi
                                        ; -- End function
	.section	.AMDGPU.csdata,"",@progbits
; Kernel info:
; codeLenInByte = 536
; NumSgprs: 24
; NumVgprs: 22
; NumAgprs: 0
; TotalNumVgprs: 22
; ScratchSize: 0
; MemoryBound: 0
; FloatMode: 240
; IeeeMode: 1
; LDSByteSize: 0 bytes/workgroup (compile time only)
; SGPRBlocks: 2
; VGPRBlocks: 2
; NumSGPRsForWavesPerEU: 24
; NumVGPRsForWavesPerEU: 22
; AccumOffset: 24
; Occupancy: 8
; WaveLimiterHint : 0
; COMPUTE_PGM_RSRC2:SCRATCH_EN: 0
; COMPUTE_PGM_RSRC2:USER_SGPR: 6
; COMPUTE_PGM_RSRC2:TRAP_HANDLER: 0
; COMPUTE_PGM_RSRC2:TGID_X_EN: 1
; COMPUTE_PGM_RSRC2:TGID_Y_EN: 1
; COMPUTE_PGM_RSRC2:TGID_Z_EN: 1
; COMPUTE_PGM_RSRC2:TIDIG_COMP_CNT: 1
; COMPUTE_PGM_RSRC3_GFX90A:ACCUM_OFFSET: 5
; COMPUTE_PGM_RSRC3_GFX90A:TG_SPLIT: 0
	.section	.text._ZN9rocsolver6v33100L21syevj_diag_rotate_orgILb1E19rocblas_complex_numIdEdPS3_EEvbiT2_iilPT0_Pi,"axG",@progbits,_ZN9rocsolver6v33100L21syevj_diag_rotate_orgILb1E19rocblas_complex_numIdEdPS3_EEvbiT2_iilPT0_Pi,comdat
	.globl	_ZN9rocsolver6v33100L21syevj_diag_rotate_orgILb1E19rocblas_complex_numIdEdPS3_EEvbiT2_iilPT0_Pi ; -- Begin function _ZN9rocsolver6v33100L21syevj_diag_rotate_orgILb1E19rocblas_complex_numIdEdPS3_EEvbiT2_iilPT0_Pi
	.p2align	8
	.type	_ZN9rocsolver6v33100L21syevj_diag_rotate_orgILb1E19rocblas_complex_numIdEdPS3_EEvbiT2_iilPT0_Pi,@function
_ZN9rocsolver6v33100L21syevj_diag_rotate_orgILb1E19rocblas_complex_numIdEdPS3_EEvbiT2_iilPT0_Pi: ; @_ZN9rocsolver6v33100L21syevj_diag_rotate_orgILb1E19rocblas_complex_numIdEdPS3_EEvbiT2_iilPT0_Pi
; %bb.0:
	s_load_dwordx2 s[2:3], s[4:5], 0x0
	s_load_dwordx2 s[0:1], s[4:5], 0x28
	s_waitcnt lgkmcnt(0)
	s_bitcmp1_b32 s2, 0
	s_cselect_b64 s[10:11], -1, 0
	s_ashr_i32 s9, s8, 31
	s_lshl_b64 s[12:13], s[8:9], 2
	s_add_u32 s0, s0, s12
	s_addc_u32 s1, s1, s13
	s_load_dword s0, s[0:1], 0x4
	s_waitcnt lgkmcnt(0)
	s_cmp_lg_u32 s0, 0
	s_cselect_b64 s[0:1], -1, 0
	s_cmp_eq_u32 s6, s7
	s_cselect_b64 s[12:13], -1, 0
	s_and_b64 s[10:11], s[12:13], s[10:11]
	s_or_b64 s[0:1], s[10:11], s[0:1]
	s_and_b64 vcc, exec, s[0:1]
	s_cbranch_vccnz .LBB122_6
; %bb.1:
	s_load_dword s2, s[4:5], 0x3c
	s_add_u32 s0, s4, 48
	s_addc_u32 s1, s5, 0
	v_and_b32_e32 v4, 0x3ff, v0
	v_bfe_u32 v0, v0, 10, 10
	s_waitcnt lgkmcnt(0)
	s_and_b32 s11, s2, 0xffff
	s_mul_i32 s10, s6, s11
	s_mul_i32 s7, s7, s11
	v_add_u32_e32 v8, s10, v4
	v_add_u32_e32 v0, s7, v0
	v_max_i32_e32 v1, v8, v0
	v_cmp_gt_i32_e32 vcc, s3, v1
	s_and_saveexec_b64 s[12:13], vcc
	s_cbranch_execz .LBB122_6
; %bb.2:
	s_load_dwordx8 s[12:19], s[4:5], 0x8
	s_sub_i32 s2, s3, s10
	s_min_i32 s3, s2, s11
	v_pk_mov_b32 v[2:3], 0, 0
	s_waitcnt lgkmcnt(0)
	s_mul_i32 s2, s8, s17
	s_mul_hi_u32 s7, s8, s16
	s_add_i32 s2, s7, s2
	s_mul_i32 s7, s9, s16
	s_add_i32 s17, s2, s7
	s_mul_i32 s16, s8, s16
	s_ashr_i32 s5, s14, 31
	s_lshl_b64 s[16:17], s[16:17], 4
	s_mov_b32 s4, s14
	s_add_u32 s2, s12, s16
	s_addc_u32 s7, s13, s17
	s_lshl_b64 s[4:5], s[4:5], 4
	s_add_u32 s2, s2, s4
	s_addc_u32 s4, s7, s5
	s_cmp_lt_i32 s3, 1
	v_mul_lo_u32 v9, v0, s15
	v_pk_mov_b32 v[0:1], v[2:3], v[2:3] op_sel:[0,1]
	s_cbranch_scc1 .LBB122_5
; %bb.3:
	s_load_dword s0, s[0:1], 0x0
	v_lshlrev_b32_e32 v0, 4, v4
	s_mov_b32 s5, 0
	v_pk_mov_b32 v[2:3], 0, 0
	v_add_u32_e32 v6, s10, v9
	s_waitcnt lgkmcnt(0)
	s_mul_i32 s0, s0, s8
	s_add_i32 s0, s0, s6
	s_mul_i32 s0, s0, s11
	s_mul_i32 s0, s0, s11
	s_ashr_i32 s1, s0, 31
	s_lshl_b64 s[0:1], s[0:1], 4
	s_add_u32 s0, s18, s0
	s_addc_u32 s1, s19, s1
	v_mov_b32_e32 v1, s1
	v_add_co_u32_e32 v0, vcc, s0, v0
	v_addc_co_u32_e32 v1, vcc, 0, v1, vcc
	v_add_co_u32_e32 v4, vcc, 8, v0
	v_addc_co_u32_e32 v5, vcc, 0, v1, vcc
	s_lshl_b32 s0, s11, 4
	v_mov_b32_e32 v10, s4
	v_mov_b32_e32 v11, s5
	v_pk_mov_b32 v[0:1], v[2:3], v[2:3] op_sel:[0,1]
.LBB122_4:                              ; =>This Inner Loop Header: Depth=1
	v_ashrrev_i32_e32 v7, 31, v6
	v_lshlrev_b64 v[16:17], 4, v[6:7]
	v_add_co_u32_e32 v16, vcc, s2, v16
	v_addc_co_u32_e32 v17, vcc, v10, v17, vcc
	global_load_dwordx4 v[12:15], v[4:5], off offset:-8
	s_add_i32 s3, s3, -1
	global_load_dwordx4 v[16:19], v[16:17], off
	v_add_co_u32_e32 v4, vcc, s0, v4
	v_addc_co_u32_e32 v5, vcc, v5, v11, vcc
	v_add_u32_e32 v6, 1, v6
	s_cmp_lg_u32 s3, 0
	s_waitcnt vmcnt(0)
	v_mul_f64 v[20:21], v[14:15], v[18:19]
	v_mul_f64 v[14:15], v[14:15], v[16:17]
	v_fmac_f64_e32 v[20:21], v[12:13], v[16:17]
	v_fma_f64 v[12:13], v[12:13], v[18:19], -v[14:15]
	v_add_f64 v[0:1], v[0:1], v[20:21]
	v_add_f64 v[2:3], v[2:3], v[12:13]
	s_cbranch_scc1 .LBB122_4
.LBB122_5:
	v_add_u32_e32 v4, v9, v8
	v_ashrrev_i32_e32 v5, 31, v4
	v_lshlrev_b64 v[4:5], 4, v[4:5]
	v_mov_b32_e32 v6, s4
	v_add_co_u32_e32 v4, vcc, s2, v4
	v_addc_co_u32_e32 v5, vcc, v6, v5, vcc
	s_barrier
	global_store_dwordx4 v[4:5], v[0:3], off
.LBB122_6:
	s_endpgm
	.section	.rodata,"a",@progbits
	.p2align	6, 0x0
	.amdhsa_kernel _ZN9rocsolver6v33100L21syevj_diag_rotate_orgILb1E19rocblas_complex_numIdEdPS3_EEvbiT2_iilPT0_Pi
		.amdhsa_group_segment_fixed_size 0
		.amdhsa_private_segment_fixed_size 0
		.amdhsa_kernarg_size 304
		.amdhsa_user_sgpr_count 6
		.amdhsa_user_sgpr_private_segment_buffer 1
		.amdhsa_user_sgpr_dispatch_ptr 0
		.amdhsa_user_sgpr_queue_ptr 0
		.amdhsa_user_sgpr_kernarg_segment_ptr 1
		.amdhsa_user_sgpr_dispatch_id 0
		.amdhsa_user_sgpr_flat_scratch_init 0
		.amdhsa_user_sgpr_kernarg_preload_length 0
		.amdhsa_user_sgpr_kernarg_preload_offset 0
		.amdhsa_user_sgpr_private_segment_size 0
		.amdhsa_uses_dynamic_stack 0
		.amdhsa_system_sgpr_private_segment_wavefront_offset 0
		.amdhsa_system_sgpr_workgroup_id_x 1
		.amdhsa_system_sgpr_workgroup_id_y 1
		.amdhsa_system_sgpr_workgroup_id_z 1
		.amdhsa_system_sgpr_workgroup_info 0
		.amdhsa_system_vgpr_workitem_id 1
		.amdhsa_next_free_vgpr 22
		.amdhsa_next_free_sgpr 20
		.amdhsa_accum_offset 24
		.amdhsa_reserve_vcc 1
		.amdhsa_reserve_flat_scratch 0
		.amdhsa_float_round_mode_32 0
		.amdhsa_float_round_mode_16_64 0
		.amdhsa_float_denorm_mode_32 3
		.amdhsa_float_denorm_mode_16_64 3
		.amdhsa_dx10_clamp 1
		.amdhsa_ieee_mode 1
		.amdhsa_fp16_overflow 0
		.amdhsa_tg_split 0
		.amdhsa_exception_fp_ieee_invalid_op 0
		.amdhsa_exception_fp_denorm_src 0
		.amdhsa_exception_fp_ieee_div_zero 0
		.amdhsa_exception_fp_ieee_overflow 0
		.amdhsa_exception_fp_ieee_underflow 0
		.amdhsa_exception_fp_ieee_inexact 0
		.amdhsa_exception_int_div_zero 0
	.end_amdhsa_kernel
	.section	.text._ZN9rocsolver6v33100L21syevj_diag_rotate_orgILb1E19rocblas_complex_numIdEdPS3_EEvbiT2_iilPT0_Pi,"axG",@progbits,_ZN9rocsolver6v33100L21syevj_diag_rotate_orgILb1E19rocblas_complex_numIdEdPS3_EEvbiT2_iilPT0_Pi,comdat
.Lfunc_end122:
	.size	_ZN9rocsolver6v33100L21syevj_diag_rotate_orgILb1E19rocblas_complex_numIdEdPS3_EEvbiT2_iilPT0_Pi, .Lfunc_end122-_ZN9rocsolver6v33100L21syevj_diag_rotate_orgILb1E19rocblas_complex_numIdEdPS3_EEvbiT2_iilPT0_Pi
                                        ; -- End function
	.section	.AMDGPU.csdata,"",@progbits
; Kernel info:
; codeLenInByte = 528
; NumSgprs: 24
; NumVgprs: 22
; NumAgprs: 0
; TotalNumVgprs: 22
; ScratchSize: 0
; MemoryBound: 0
; FloatMode: 240
; IeeeMode: 1
; LDSByteSize: 0 bytes/workgroup (compile time only)
; SGPRBlocks: 2
; VGPRBlocks: 2
; NumSGPRsForWavesPerEU: 24
; NumVGPRsForWavesPerEU: 22
; AccumOffset: 24
; Occupancy: 8
; WaveLimiterHint : 0
; COMPUTE_PGM_RSRC2:SCRATCH_EN: 0
; COMPUTE_PGM_RSRC2:USER_SGPR: 6
; COMPUTE_PGM_RSRC2:TRAP_HANDLER: 0
; COMPUTE_PGM_RSRC2:TGID_X_EN: 1
; COMPUTE_PGM_RSRC2:TGID_Y_EN: 1
; COMPUTE_PGM_RSRC2:TGID_Z_EN: 1
; COMPUTE_PGM_RSRC2:TIDIG_COMP_CNT: 1
; COMPUTE_PGM_RSRC3_GFX90A:ACCUM_OFFSET: 5
; COMPUTE_PGM_RSRC3_GFX90A:TG_SPLIT: 0
	.section	.text._ZN9rocsolver6v33100L17syevj_diag_rotateILb0E19rocblas_complex_numIdEdPS3_EEvbiiT2_iilPT0_Pii,"axG",@progbits,_ZN9rocsolver6v33100L17syevj_diag_rotateILb0E19rocblas_complex_numIdEdPS3_EEvbiiT2_iilPT0_Pii,comdat
	.globl	_ZN9rocsolver6v33100L17syevj_diag_rotateILb0E19rocblas_complex_numIdEdPS3_EEvbiiT2_iilPT0_Pii ; -- Begin function _ZN9rocsolver6v33100L17syevj_diag_rotateILb0E19rocblas_complex_numIdEdPS3_EEvbiiT2_iilPT0_Pii
	.p2align	8
	.type	_ZN9rocsolver6v33100L17syevj_diag_rotateILb0E19rocblas_complex_numIdEdPS3_EEvbiiT2_iilPT0_Pii,@function
_ZN9rocsolver6v33100L17syevj_diag_rotateILb0E19rocblas_complex_numIdEdPS3_EEvbiiT2_iilPT0_Pii: ; @_ZN9rocsolver6v33100L17syevj_diag_rotateILb0E19rocblas_complex_numIdEdPS3_EEvbiiT2_iilPT0_Pii
; %bb.0:
	s_load_dwordx4 s[36:39], s[4:5], 0x0
	s_add_u32 flat_scratch_lo, s6, s11
	s_addc_u32 flat_scratch_hi, s7, 0
	s_add_u32 s0, s0, s11
	s_addc_u32 s1, s1, 0
	s_waitcnt lgkmcnt(0)
	s_abs_i32 s27, s37
	v_mov_b32_e32 v41, v0
	v_cvt_f32_u32_e32 v0, s27
	s_mul_i32 s46, s37, s37
	s_mov_b32 s26, s10
	s_mov_b64 s[28:29], s[4:5]
	v_rcp_iflag_f32_e32 v0, v0
	s_mov_b32 s34, s9
	s_mov_b32 s35, s8
	s_cmpk_lt_u32 s46, 0x1001
	v_mul_f32_e32 v0, 0x4f7ffffe, v0
	v_cvt_u32_f32_e32 v0, v0
	s_mov_b64 s[4:5], -1
	s_mov_b32 s32, 0
	v_readfirstlane_b32 s39, v0
	s_cbranch_scc1 .LBB123_2
; %bb.1:
	s_add_u32 s8, s28, 64
	s_addc_u32 s9, s29, 0
	s_getpc_b64 s[4:5]
	s_add_u32 s4, s4, __PRETTY_FUNCTION__._ZN9rocsolver6v33100L17syevj_diag_rotateILb0E19rocblas_complex_numIdEdPS3_EEvbiiT2_iilPT0_Pii@rel32@lo+4
	s_addc_u32 s5, s5, __PRETTY_FUNCTION__._ZN9rocsolver6v33100L17syevj_diag_rotateILb0E19rocblas_complex_numIdEdPS3_EEvbiiT2_iilPT0_Pii@rel32@hi+12
	v_mov_b32_e32 v0, s4
	v_mov_b32_e32 v1, s5
	s_getpc_b64 s[6:7]
	s_add_u32 s6, s6, __assert_fail@rel32@lo+4
	s_addc_u32 s7, s7, __assert_fail@rel32@hi+12
	s_swappc_b64 s[30:31], s[6:7]
	s_mov_b64 s[4:5], 0
	; divergent unreachable
.LBB123_2:
	s_andn2_b64 vcc, exec, s[4:5]
	s_cbranch_vccnz .LBB123_35
; %bb.3:
	s_load_dword s33, s[28:29], 0x38
	s_waitcnt lgkmcnt(0)
	s_cmp_ge_u32 s26, s33
	s_cbranch_scc1 .LBB123_35
; %bb.4:
	s_sub_i32 s4, 0, s27
	s_mul_i32 s4, s4, s39
	s_add_i32 s5, s38, -1
	s_mul_hi_u32 s4, s39, s4
	s_abs_i32 s24, s5
	s_add_i32 s39, s39, s4
	s_ashr_i32 s5, s5, 31
	s_ashr_i32 s25, s37, 31
	s_load_dwordx4 s[16:19], s[28:29], 0x40
	s_cmpk_lt_u32 s46, 0x801
	s_mul_hi_u32 s4, s24, s39
	s_cselect_b64 s[20:21], -1, 0
	s_bitcmp1_b32 s36, 0
	s_cselect_b64 s[22:23], -1, 0
	s_xor_b32 s5, s5, s25
	s_mul_i32 s25, s4, s27
	s_sub_i32 s24, s24, s25
	s_load_dwordx8 s[8:15], s[28:29], 0x10
	s_load_dwordx2 s[6:7], s[28:29], 0x30
	s_waitcnt lgkmcnt(0)
	s_lshr_b32 s36, s19, 16
	s_and_b32 s19, s19, 0xffff
	s_add_i32 s25, s4, 1
	s_sub_i32 s28, s24, s27
	s_cmp_ge_u32 s24, s27
	s_cselect_b32 s4, s25, s4
	s_cselect_b32 s24, s28, s24
	s_add_i32 s25, s4, 1
	s_cmp_ge_u32 s24, s27
	s_cselect_b32 s4, s25, s4
	s_xor_b32 s4, s4, s5
	s_sub_i32 s47, s4, s5
	s_lshl_b32 s4, s46, 4
	s_add_i32 s48, s47, 1
	s_add_i32 s49, s4, 0
	s_mov_b64 s[4:5], src_shared_base
	s_ashr_i32 s41, s10, 31
	s_cmp_lt_u32 s35, s48
	s_mul_i32 s4, s47, s37
	s_cselect_b64 s[28:29], -1, 0
	s_sub_i32 s51, s38, s4
	s_cmp_lt_u32 s34, s48
	s_cselect_b64 s[30:31], -1, 0
	s_ashr_i32 s53, s11, 31
	s_mov_b32 s40, s10
	s_add_u32 s55, s6, 4
	s_addc_u32 s56, s7, 0
	s_lshl_b64 s[6:7], s[40:41], 4
	v_and_b32_e32 v4, 0x3ff, v41
	v_bfe_u32 v5, v41, 10, 10
	s_add_u32 s57, s8, s6
	s_addc_u32 s58, s9, s7
	v_mad_u64_u32 v[0:1], s[6:7], v5, s37, v[4:5]
	v_mad_u32_u24 v8, v5, s19, v4
	s_mul_i32 s52, s36, s19
	s_mul_i32 s6, s37, s36
	s_mov_b32 s25, 0
	s_mov_b32 s50, s5
	v_cmp_gt_u32_e64 s[4:5], s46, v8
	s_mov_b32 s54, s11
	v_lshl_add_u32 v9, v8, 4, s49
	s_lshl_b32 s59, s52, 4
	s_mul_i32 s60, s34, s37
	s_mul_i32 s61, s17, s37
	v_lshl_add_u32 v10, v0, 4, 0
	s_lshl_b32 s62, s6, 4
	s_lshl_b32 s63, s19, 4
	v_lshl_add_u32 v11, v4, 4, 0
	s_lshl_b32 s64, s37, 4
	v_mov_b32_e32 v7, 0
	s_branch .LBB123_6
.LBB123_5:                              ;   in Loop: Header=BB123_6 Depth=1
	s_add_i32 s26, s26, s18
	s_cmp_lt_u32 s26, s33
	s_cbranch_scc0 .LBB123_35
.LBB123_6:                              ; =>This Loop Header: Depth=1
                                        ;     Child Loop BB123_10 Depth 2
                                        ;       Child Loop BB123_13 Depth 3
                                        ;       Child Loop BB123_19 Depth 3
                                        ;         Child Loop BB123_23 Depth 4
                                        ;           Child Loop BB123_25 Depth 5
                                        ;         Child Loop BB123_29 Depth 4
                                        ;           Child Loop BB123_32 Depth 5
                                        ;             Child Loop BB123_34 Depth 6
	s_mov_b32 s27, s25
	s_lshl_b64 s[6:7], s[26:27], 2
	s_add_u32 s6, s55, s6
	s_addc_u32 s7, s56, s7
	global_load_dword v0, v7, s[6:7]
	s_waitcnt vmcnt(0)
	v_cmp_ne_u32_e32 vcc, 0, v0
	s_cbranch_vccnz .LBB123_5
; %bb.7:                                ;   in Loop: Header=BB123_6 Depth=1
	s_andn2_b64 vcc, exec, s[28:29]
	s_cbranch_vccnz .LBB123_5
; %bb.8:                                ;   in Loop: Header=BB123_6 Depth=1
	s_mul_i32 s6, s26, s13
	s_mul_hi_u32 s7, s26, s12
	s_add_i32 s7, s7, s6
	s_mul_i32 s6, s26, s12
	s_lshl_b64 s[6:7], s[6:7], 4
	s_add_u32 s27, s57, s6
	s_addc_u32 s65, s58, s7
	s_mul_i32 s66, s26, s48
	s_mov_b32 s67, s35
	s_branch .LBB123_10
.LBB123_9:                              ;   in Loop: Header=BB123_10 Depth=2
	s_add_i32 s67, s67, s16
	s_cmp_ge_u32 s67, s48
	s_cbranch_scc1 .LBB123_5
.LBB123_10:                             ;   Parent Loop BB123_6 Depth=1
                                        ; =>  This Loop Header: Depth=2
                                        ;       Child Loop BB123_13 Depth 3
                                        ;       Child Loop BB123_19 Depth 3
                                        ;         Child Loop BB123_23 Depth 4
                                        ;           Child Loop BB123_25 Depth 5
                                        ;         Child Loop BB123_29 Depth 4
                                        ;           Child Loop BB123_32 Depth 5
                                        ;             Child Loop BB123_34 Depth 6
	s_add_i32 s6, s67, s66
	s_mul_i32 s24, s6, s46
	s_lshl_b64 s[6:7], s[24:25], 4
	s_add_u32 s10, s14, s6
	s_addc_u32 s11, s15, s7
	s_andn2_b64 vcc, exec, s[20:21]
	s_cbranch_vccnz .LBB123_15
; %bb.11:                               ;   in Loop: Header=BB123_10 Depth=2
	s_barrier
	s_and_saveexec_b64 s[6:7], s[4:5]
	s_cbranch_execz .LBB123_14
; %bb.12:                               ;   in Loop: Header=BB123_10 Depth=2
	s_mov_b64 s[8:9], 0
	v_mov_b32_e32 v0, s11
	v_mov_b32_e32 v1, v9
	;; [unrolled: 1-line block ×3, first 2 shown]
.LBB123_13:                             ;   Parent Loop BB123_6 Depth=1
                                        ;     Parent Loop BB123_10 Depth=2
                                        ; =>    This Inner Loop Header: Depth=3
	v_lshlrev_b64 v[2:3], 4, v[6:7]
	v_add_co_u32_e32 v2, vcc, s10, v2
	v_addc_co_u32_e32 v3, vcc, v0, v3, vcc
	global_load_dwordx4 v[12:15], v[2:3], off
	v_add_u32_e32 v6, s52, v6
	v_cmp_le_u32_e32 vcc, s46, v6
	s_or_b64 s[8:9], vcc, s[8:9]
	s_waitcnt vmcnt(0)
	ds_write2_b64 v1, v[12:13], v[14:15] offset1:1
	v_add_u32_e32 v1, s59, v1
	s_andn2_b64 exec, exec, s[8:9]
	s_cbranch_execnz .LBB123_13
.LBB123_14:                             ;   in Loop: Header=BB123_10 Depth=2
	s_or_b64 exec, exec, s[6:7]
	s_waitcnt lgkmcnt(0)
	s_barrier
.LBB123_15:                             ;   in Loop: Header=BB123_10 Depth=2
	s_andn2_b64 vcc, exec, s[30:31]
	s_cbranch_vccnz .LBB123_9
; %bb.16:                               ;   in Loop: Header=BB123_10 Depth=2
	s_and_b64 s[6:7], s[20:21], exec
	s_cselect_b32 s8, s50, s11
	s_cselect_b32 s24, s49, s10
	s_cmp_eq_u32 s47, s67
	s_cselect_b32 s68, s51, s37
	s_cmp_gt_i32 s68, 0
	s_mul_i32 s69, s67, s37
	v_cmp_gt_u32_e64 s[6:7], s68, v5
	s_cselect_b64 s[10:11], -1, 0
	v_mov_b32_e32 v12, s8
	s_mov_b32 s70, s60
	s_mov_b32 s71, s34
	s_branch .LBB123_19
.LBB123_17:                             ;   in Loop: Header=BB123_19 Depth=3
	s_or_b64 exec, exec, s[38:39]
	s_barrier
.LBB123_18:                             ;   in Loop: Header=BB123_19 Depth=3
	s_add_i32 s71, s71, s17
	s_add_i32 s70, s70, s61
	s_cmp_ge_u32 s71, s48
	s_cbranch_scc1 .LBB123_9
.LBB123_19:                             ;   Parent Loop BB123_6 Depth=1
                                        ;     Parent Loop BB123_10 Depth=2
                                        ; =>    This Loop Header: Depth=3
                                        ;         Child Loop BB123_23 Depth 4
                                        ;           Child Loop BB123_25 Depth 5
                                        ;         Child Loop BB123_29 Depth 4
                                        ;           Child Loop BB123_32 Depth 5
                                        ;             Child Loop BB123_34 Depth 6
	s_cmp_eq_u32 s67, s71
	s_cselect_b64 s[8:9], -1, 0
	s_and_b64 s[8:9], s[8:9], s[22:23]
	s_and_b64 vcc, exec, s[8:9]
	s_cbranch_vccnz .LBB123_18
; %bb.20:                               ;   in Loop: Header=BB123_19 Depth=3
	s_cmp_eq_u32 s47, s71
	s_cselect_b32 s72, s51, s37
	s_barrier
	s_and_saveexec_b64 s[38:39], s[6:7]
	s_cbranch_execz .LBB123_26
; %bb.21:                               ;   in Loop: Header=BB123_19 Depth=3
	v_cmp_gt_u32_e32 vcc, s72, v4
	s_mov_b64 s[40:41], 0
	v_mov_b32_e32 v0, v10
	v_mov_b32_e32 v1, v5
	s_branch .LBB123_23
.LBB123_22:                             ;   in Loop: Header=BB123_23 Depth=4
	s_or_b64 exec, exec, s[42:43]
	v_add_u32_e32 v1, s36, v1
	v_cmp_le_u32_e64 s[8:9], s68, v1
	s_or_b64 s[40:41], s[8:9], s[40:41]
	v_add_u32_e32 v0, s62, v0
	s_andn2_b64 exec, exec, s[40:41]
	s_cbranch_execz .LBB123_26
.LBB123_23:                             ;   Parent Loop BB123_6 Depth=1
                                        ;     Parent Loop BB123_10 Depth=2
                                        ;       Parent Loop BB123_19 Depth=3
                                        ; =>      This Loop Header: Depth=4
                                        ;           Child Loop BB123_25 Depth 5
	s_and_saveexec_b64 s[42:43], vcc
	s_cbranch_execz .LBB123_22
; %bb.24:                               ;   in Loop: Header=BB123_23 Depth=4
	v_add_u32_e32 v13, s69, v1
	v_mad_u64_u32 v[2:3], s[8:9], v13, s54, 0
	v_mov_b32_e32 v6, v3
	v_mad_u64_u32 v[14:15], s[8:9], v13, s53, v[6:7]
	v_mov_b32_e32 v3, v14
	v_lshlrev_b64 v[2:3], 4, v[2:3]
	v_mov_b32_e32 v6, s65
	v_add_co_u32_e64 v2, s[8:9], s27, v2
	v_addc_co_u32_e64 v3, s[8:9], v6, v3, s[8:9]
	s_mov_b64 s[44:45], 0
	v_mov_b32_e32 v13, v0
	v_mov_b32_e32 v14, v4
.LBB123_25:                             ;   Parent Loop BB123_6 Depth=1
                                        ;     Parent Loop BB123_10 Depth=2
                                        ;       Parent Loop BB123_19 Depth=3
                                        ;         Parent Loop BB123_23 Depth=4
                                        ; =>        This Inner Loop Header: Depth=5
	v_add_u32_e32 v6, s70, v14
	v_lshlrev_b64 v[16:17], 4, v[6:7]
	v_add_co_u32_e64 v16, s[8:9], v2, v16
	v_addc_co_u32_e64 v17, s[8:9], v3, v17, s[8:9]
	global_load_dwordx4 v[16:19], v[16:17], off
	v_add_u32_e32 v14, s19, v14
	v_cmp_le_u32_e64 s[8:9], s72, v14
	s_or_b64 s[44:45], s[8:9], s[44:45]
	s_waitcnt vmcnt(0)
	ds_write2_b64 v13, v[16:17], v[18:19] offset1:1
	v_add_u32_e32 v13, s63, v13
	s_andn2_b64 exec, exec, s[44:45]
	s_cbranch_execnz .LBB123_25
	s_branch .LBB123_22
.LBB123_26:                             ;   in Loop: Header=BB123_19 Depth=3
	s_or_b64 exec, exec, s[38:39]
	s_waitcnt lgkmcnt(0)
	s_barrier
	s_and_saveexec_b64 s[38:39], s[6:7]
	s_cbranch_execz .LBB123_17
; %bb.27:                               ;   in Loop: Header=BB123_19 Depth=3
	s_mul_i32 s73, s71, s37
	v_cmp_gt_u32_e64 s[8:9], s72, v4
	s_mov_b64 s[40:41], 0
	v_mov_b32_e32 v13, v5
	s_branch .LBB123_29
.LBB123_28:                             ;   in Loop: Header=BB123_29 Depth=4
	s_or_b64 exec, exec, s[42:43]
	v_add_u32_e32 v13, s36, v13
	v_cmp_le_u32_e32 vcc, s68, v13
	s_or_b64 s[40:41], vcc, s[40:41]
	s_andn2_b64 exec, exec, s[40:41]
	s_cbranch_execz .LBB123_17
.LBB123_29:                             ;   Parent Loop BB123_6 Depth=1
                                        ;     Parent Loop BB123_10 Depth=2
                                        ;       Parent Loop BB123_19 Depth=3
                                        ; =>      This Loop Header: Depth=4
                                        ;           Child Loop BB123_32 Depth 5
                                        ;             Child Loop BB123_34 Depth 6
	s_and_saveexec_b64 s[42:43], s[8:9]
	s_cbranch_execz .LBB123_28
; %bb.30:                               ;   in Loop: Header=BB123_29 Depth=4
	v_add_u32_e32 v3, s69, v13
	v_mad_u64_u32 v[0:1], s[44:45], v3, s54, 0
	v_mov_b32_e32 v2, v1
	v_mad_u64_u32 v[2:3], s[44:45], v3, s53, v[2:3]
	v_mov_b32_e32 v1, v2
	v_lshlrev_b64 v[0:1], 4, v[0:1]
	v_mov_b32_e32 v2, s65
	v_add_co_u32_e32 v14, vcc, s27, v0
	v_addc_co_u32_e32 v15, vcc, v2, v1, vcc
	s_mov_b64 s[44:45], 0
	v_mov_b32_e32 v16, v11
	v_mov_b32_e32 v17, v4
	s_branch .LBB123_32
.LBB123_31:                             ;   in Loop: Header=BB123_32 Depth=5
	v_add_u32_e32 v6, s73, v17
	v_lshlrev_b64 v[18:19], 4, v[6:7]
	v_add_co_u32_e32 v18, vcc, v14, v18
	v_addc_co_u32_e32 v19, vcc, v15, v19, vcc
	v_add_u32_e32 v17, s19, v17
	v_cmp_le_u32_e32 vcc, s72, v17
	s_or_b64 s[44:45], vcc, s[44:45]
	v_add_u32_e32 v16, s63, v16
	global_store_dwordx4 v[18:19], v[0:3], off
	s_andn2_b64 exec, exec, s[44:45]
	s_cbranch_execz .LBB123_28
.LBB123_32:                             ;   Parent Loop BB123_6 Depth=1
                                        ;     Parent Loop BB123_10 Depth=2
                                        ;       Parent Loop BB123_19 Depth=3
                                        ;         Parent Loop BB123_29 Depth=4
                                        ; =>        This Loop Header: Depth=5
                                        ;             Child Loop BB123_34 Depth 6
	v_pk_mov_b32 v[2:3], 0, 0
	s_andn2_b64 vcc, exec, s[10:11]
	v_pk_mov_b32 v[0:1], v[2:3], v[2:3] op_sel:[0,1]
	s_cbranch_vccnz .LBB123_31
; %bb.33:                               ;   in Loop: Header=BB123_32 Depth=5
	v_pk_mov_b32 v[2:3], 0, 0
	v_mov_b32_e32 v18, v16
	v_mov_b32_e32 v6, v13
	s_mov_b32 s74, s68
	v_pk_mov_b32 v[0:1], v[2:3], v[2:3] op_sel:[0,1]
.LBB123_34:                             ;   Parent Loop BB123_6 Depth=1
                                        ;     Parent Loop BB123_10 Depth=2
                                        ;       Parent Loop BB123_19 Depth=3
                                        ;         Parent Loop BB123_29 Depth=4
                                        ;           Parent Loop BB123_32 Depth=5
                                        ; =>          This Inner Loop Header: Depth=6
	v_lshlrev_b64 v[20:21], 4, v[6:7]
	v_add_co_u32_e32 v20, vcc, s24, v20
	v_addc_co_u32_e32 v21, vcc, v12, v21, vcc
	flat_load_dwordx4 v[20:23], v[20:21]
	ds_read2_b64 v[24:27], v18 offset1:1
	s_add_i32 s74, s74, -1
	v_add_u32_e32 v6, s37, v6
	v_add_u32_e32 v18, s64, v18
	s_cmp_eq_u32 s74, 0
	s_waitcnt vmcnt(0) lgkmcnt(0)
	v_mul_f64 v[28:29], v[26:27], v[22:23]
	v_mul_f64 v[22:23], v[24:25], v[22:23]
	v_fma_f64 v[24:25], v[24:25], v[20:21], -v[28:29]
	v_fmac_f64_e32 v[22:23], v[26:27], v[20:21]
	v_add_f64 v[0:1], v[0:1], v[24:25]
	v_add_f64 v[2:3], v[2:3], v[22:23]
	s_cbranch_scc0 .LBB123_34
	s_branch .LBB123_31
.LBB123_35:
	s_endpgm
	.section	.rodata,"a",@progbits
	.p2align	6, 0x0
	.amdhsa_kernel _ZN9rocsolver6v33100L17syevj_diag_rotateILb0E19rocblas_complex_numIdEdPS3_EEvbiiT2_iilPT0_Pii
		.amdhsa_group_segment_fixed_size 0
		.amdhsa_private_segment_fixed_size 64
		.amdhsa_kernarg_size 320
		.amdhsa_user_sgpr_count 8
		.amdhsa_user_sgpr_private_segment_buffer 1
		.amdhsa_user_sgpr_dispatch_ptr 0
		.amdhsa_user_sgpr_queue_ptr 0
		.amdhsa_user_sgpr_kernarg_segment_ptr 1
		.amdhsa_user_sgpr_dispatch_id 0
		.amdhsa_user_sgpr_flat_scratch_init 1
		.amdhsa_user_sgpr_kernarg_preload_length 0
		.amdhsa_user_sgpr_kernarg_preload_offset 0
		.amdhsa_user_sgpr_private_segment_size 0
		.amdhsa_uses_dynamic_stack 0
		.amdhsa_system_sgpr_private_segment_wavefront_offset 1
		.amdhsa_system_sgpr_workgroup_id_x 1
		.amdhsa_system_sgpr_workgroup_id_y 1
		.amdhsa_system_sgpr_workgroup_id_z 1
		.amdhsa_system_sgpr_workgroup_info 0
		.amdhsa_system_vgpr_workitem_id 1
		.amdhsa_next_free_vgpr 42
		.amdhsa_next_free_sgpr 75
		.amdhsa_accum_offset 44
		.amdhsa_reserve_vcc 1
		.amdhsa_reserve_flat_scratch 1
		.amdhsa_float_round_mode_32 0
		.amdhsa_float_round_mode_16_64 0
		.amdhsa_float_denorm_mode_32 3
		.amdhsa_float_denorm_mode_16_64 3
		.amdhsa_dx10_clamp 1
		.amdhsa_ieee_mode 1
		.amdhsa_fp16_overflow 0
		.amdhsa_tg_split 0
		.amdhsa_exception_fp_ieee_invalid_op 0
		.amdhsa_exception_fp_denorm_src 0
		.amdhsa_exception_fp_ieee_div_zero 0
		.amdhsa_exception_fp_ieee_overflow 0
		.amdhsa_exception_fp_ieee_underflow 0
		.amdhsa_exception_fp_ieee_inexact 0
		.amdhsa_exception_int_div_zero 0
	.end_amdhsa_kernel
	.section	.text._ZN9rocsolver6v33100L17syevj_diag_rotateILb0E19rocblas_complex_numIdEdPS3_EEvbiiT2_iilPT0_Pii,"axG",@progbits,_ZN9rocsolver6v33100L17syevj_diag_rotateILb0E19rocblas_complex_numIdEdPS3_EEvbiiT2_iilPT0_Pii,comdat
.Lfunc_end123:
	.size	_ZN9rocsolver6v33100L17syevj_diag_rotateILb0E19rocblas_complex_numIdEdPS3_EEvbiiT2_iilPT0_Pii, .Lfunc_end123-_ZN9rocsolver6v33100L17syevj_diag_rotateILb0E19rocblas_complex_numIdEdPS3_EEvbiiT2_iilPT0_Pii
                                        ; -- End function
	.section	.AMDGPU.csdata,"",@progbits
; Kernel info:
; codeLenInByte = 1444
; NumSgprs: 81
; NumVgprs: 42
; NumAgprs: 0
; TotalNumVgprs: 42
; ScratchSize: 64
; MemoryBound: 0
; FloatMode: 240
; IeeeMode: 1
; LDSByteSize: 0 bytes/workgroup (compile time only)
; SGPRBlocks: 10
; VGPRBlocks: 5
; NumSGPRsForWavesPerEU: 81
; NumVGPRsForWavesPerEU: 42
; AccumOffset: 44
; Occupancy: 8
; WaveLimiterHint : 1
; COMPUTE_PGM_RSRC2:SCRATCH_EN: 1
; COMPUTE_PGM_RSRC2:USER_SGPR: 8
; COMPUTE_PGM_RSRC2:TRAP_HANDLER: 0
; COMPUTE_PGM_RSRC2:TGID_X_EN: 1
; COMPUTE_PGM_RSRC2:TGID_Y_EN: 1
; COMPUTE_PGM_RSRC2:TGID_Z_EN: 1
; COMPUTE_PGM_RSRC2:TIDIG_COMP_CNT: 1
; COMPUTE_PGM_RSRC3_GFX90A:ACCUM_OFFSET: 10
; COMPUTE_PGM_RSRC3_GFX90A:TG_SPLIT: 0
	.section	.text._ZN9rocsolver6v33100L17syevj_diag_rotateILb1E19rocblas_complex_numIdEdPS3_EEvbiiT2_iilPT0_Pii,"axG",@progbits,_ZN9rocsolver6v33100L17syevj_diag_rotateILb1E19rocblas_complex_numIdEdPS3_EEvbiiT2_iilPT0_Pii,comdat
	.globl	_ZN9rocsolver6v33100L17syevj_diag_rotateILb1E19rocblas_complex_numIdEdPS3_EEvbiiT2_iilPT0_Pii ; -- Begin function _ZN9rocsolver6v33100L17syevj_diag_rotateILb1E19rocblas_complex_numIdEdPS3_EEvbiiT2_iilPT0_Pii
	.p2align	8
	.type	_ZN9rocsolver6v33100L17syevj_diag_rotateILb1E19rocblas_complex_numIdEdPS3_EEvbiiT2_iilPT0_Pii,@function
_ZN9rocsolver6v33100L17syevj_diag_rotateILb1E19rocblas_complex_numIdEdPS3_EEvbiiT2_iilPT0_Pii: ; @_ZN9rocsolver6v33100L17syevj_diag_rotateILb1E19rocblas_complex_numIdEdPS3_EEvbiiT2_iilPT0_Pii
; %bb.0:
	s_load_dwordx4 s[36:39], s[4:5], 0x0
	s_add_u32 flat_scratch_lo, s6, s11
	s_addc_u32 flat_scratch_hi, s7, 0
	s_add_u32 s0, s0, s11
	s_addc_u32 s1, s1, 0
	s_waitcnt lgkmcnt(0)
	s_abs_i32 s27, s37
	v_mov_b32_e32 v41, v0
	v_cvt_f32_u32_e32 v0, s27
	s_mul_i32 s46, s37, s37
	s_mov_b32 s26, s10
	s_mov_b64 s[28:29], s[4:5]
	v_rcp_iflag_f32_e32 v0, v0
	s_mov_b32 s34, s9
	s_mov_b32 s35, s8
	s_cmpk_lt_u32 s46, 0x1001
	v_mul_f32_e32 v0, 0x4f7ffffe, v0
	v_cvt_u32_f32_e32 v0, v0
	s_mov_b64 s[4:5], -1
	s_mov_b32 s32, 0
	v_readfirstlane_b32 s39, v0
	s_cbranch_scc1 .LBB124_2
; %bb.1:
	s_add_u32 s8, s28, 64
	s_addc_u32 s9, s29, 0
	s_getpc_b64 s[4:5]
	s_add_u32 s4, s4, __PRETTY_FUNCTION__._ZN9rocsolver6v33100L17syevj_diag_rotateILb1E19rocblas_complex_numIdEdPS3_EEvbiiT2_iilPT0_Pii@rel32@lo+4
	s_addc_u32 s5, s5, __PRETTY_FUNCTION__._ZN9rocsolver6v33100L17syevj_diag_rotateILb1E19rocblas_complex_numIdEdPS3_EEvbiiT2_iilPT0_Pii@rel32@hi+12
	v_mov_b32_e32 v0, s4
	v_mov_b32_e32 v1, s5
	s_getpc_b64 s[6:7]
	s_add_u32 s6, s6, __assert_fail@rel32@lo+4
	s_addc_u32 s7, s7, __assert_fail@rel32@hi+12
	s_swappc_b64 s[30:31], s[6:7]
	s_mov_b64 s[4:5], 0
	; divergent unreachable
.LBB124_2:
	s_andn2_b64 vcc, exec, s[4:5]
	s_cbranch_vccnz .LBB124_35
; %bb.3:
	s_load_dword s33, s[28:29], 0x38
	s_waitcnt lgkmcnt(0)
	s_cmp_ge_u32 s26, s33
	s_cbranch_scc1 .LBB124_35
; %bb.4:
	s_sub_i32 s4, 0, s27
	s_mul_i32 s4, s4, s39
	s_add_i32 s5, s38, -1
	s_mul_hi_u32 s4, s39, s4
	s_abs_i32 s24, s5
	s_add_i32 s39, s39, s4
	s_ashr_i32 s5, s5, 31
	s_ashr_i32 s25, s37, 31
	s_load_dwordx4 s[16:19], s[28:29], 0x40
	s_cmpk_lt_u32 s46, 0x801
	s_mul_hi_u32 s4, s24, s39
	s_cselect_b64 s[20:21], -1, 0
	s_bitcmp1_b32 s36, 0
	s_cselect_b64 s[22:23], -1, 0
	s_xor_b32 s5, s5, s25
	s_mul_i32 s25, s4, s27
	s_sub_i32 s24, s24, s25
	s_load_dwordx8 s[8:15], s[28:29], 0x10
	s_load_dwordx2 s[6:7], s[28:29], 0x30
	s_waitcnt lgkmcnt(0)
	s_lshr_b32 s36, s19, 16
	s_and_b32 s19, s19, 0xffff
	s_add_i32 s25, s4, 1
	s_sub_i32 s28, s24, s27
	s_cmp_ge_u32 s24, s27
	s_cselect_b32 s4, s25, s4
	s_cselect_b32 s24, s28, s24
	s_add_i32 s25, s4, 1
	s_cmp_ge_u32 s24, s27
	s_cselect_b32 s4, s25, s4
	s_xor_b32 s4, s4, s5
	s_sub_i32 s47, s4, s5
	s_lshl_b32 s4, s46, 4
	s_add_i32 s48, s47, 1
	s_add_i32 s49, s4, 0
	s_mov_b64 s[4:5], src_shared_base
	s_ashr_i32 s41, s10, 31
	s_cmp_lt_u32 s35, s48
	s_mul_i32 s4, s47, s37
	s_cselect_b64 s[28:29], -1, 0
	s_sub_i32 s51, s38, s4
	s_cmp_lt_u32 s34, s48
	s_cselect_b64 s[30:31], -1, 0
	s_ashr_i32 s53, s11, 31
	v_bfe_u32 v7, v41, 10, 10
	s_mov_b32 s40, s10
	s_add_u32 s55, s6, 4
	v_and_b32_e32 v6, 0x3ff, v41
	s_addc_u32 s56, s7, 0
	s_lshl_b64 s[6:7], s[40:41], 4
	v_mul_lo_u32 v0, v7, s37
	v_mad_u32_u24 v8, v7, s19, v6
	s_mul_i32 s52, s36, s19
	s_add_u32 s57, s8, s6
	v_add_u32_e32 v1, v6, v0
	s_mul_i32 s6, s37, s36
	s_mov_b32 s25, 0
	s_mov_b32 s50, s5
	v_cmp_gt_u32_e64 s[4:5], s46, v8
	s_mov_b32 s54, s11
	s_addc_u32 s58, s9, s7
	v_lshl_add_u32 v9, v8, 4, s49
	s_lshl_b32 s59, s52, 4
	s_mul_i32 s60, s35, s37
	s_mul_i32 s61, s16, s37
	v_lshl_add_u32 v10, v1, 4, 0
	s_lshl_b32 s62, s6, 4
	s_lshl_b32 s63, s19, 4
	v_lshl_add_u32 v11, v0, 4, 0
	v_mov_b32_e32 v5, 0
	s_branch .LBB124_6
.LBB124_5:                              ;   in Loop: Header=BB124_6 Depth=1
	s_add_i32 s26, s26, s18
	s_cmp_lt_u32 s26, s33
	s_cbranch_scc0 .LBB124_35
.LBB124_6:                              ; =>This Loop Header: Depth=1
                                        ;     Child Loop BB124_10 Depth 2
                                        ;       Child Loop BB124_13 Depth 3
                                        ;       Child Loop BB124_19 Depth 3
                                        ;         Child Loop BB124_23 Depth 4
                                        ;           Child Loop BB124_25 Depth 5
                                        ;         Child Loop BB124_29 Depth 4
                                        ;           Child Loop BB124_32 Depth 5
                                        ;             Child Loop BB124_34 Depth 6
	s_mov_b32 s27, s25
	s_lshl_b64 s[6:7], s[26:27], 2
	s_add_u32 s6, s55, s6
	s_addc_u32 s7, s56, s7
	global_load_dword v0, v5, s[6:7]
	s_waitcnt vmcnt(0)
	v_cmp_ne_u32_e32 vcc, 0, v0
	s_cbranch_vccnz .LBB124_5
; %bb.7:                                ;   in Loop: Header=BB124_6 Depth=1
	s_andn2_b64 vcc, exec, s[28:29]
	s_cbranch_vccnz .LBB124_5
; %bb.8:                                ;   in Loop: Header=BB124_6 Depth=1
	s_mul_i32 s6, s26, s13
	s_mul_hi_u32 s7, s26, s12
	s_add_i32 s7, s7, s6
	s_mul_i32 s6, s26, s12
	s_lshl_b64 s[6:7], s[6:7], 4
	s_add_u32 s27, s57, s6
	s_addc_u32 s64, s58, s7
	s_mul_i32 s65, s26, s48
	s_mov_b32 s66, s60
	s_mov_b32 s67, s35
	s_branch .LBB124_10
.LBB124_9:                              ;   in Loop: Header=BB124_10 Depth=2
	s_add_i32 s67, s67, s16
	s_add_i32 s66, s66, s61
	s_cmp_ge_u32 s67, s48
	s_cbranch_scc1 .LBB124_5
.LBB124_10:                             ;   Parent Loop BB124_6 Depth=1
                                        ; =>  This Loop Header: Depth=2
                                        ;       Child Loop BB124_13 Depth 3
                                        ;       Child Loop BB124_19 Depth 3
                                        ;         Child Loop BB124_23 Depth 4
                                        ;           Child Loop BB124_25 Depth 5
                                        ;         Child Loop BB124_29 Depth 4
                                        ;           Child Loop BB124_32 Depth 5
                                        ;             Child Loop BB124_34 Depth 6
	s_add_i32 s6, s67, s65
	s_mul_i32 s24, s6, s46
	s_lshl_b64 s[6:7], s[24:25], 4
	s_add_u32 s10, s14, s6
	s_addc_u32 s11, s15, s7
	s_andn2_b64 vcc, exec, s[20:21]
	s_cbranch_vccnz .LBB124_15
; %bb.11:                               ;   in Loop: Header=BB124_10 Depth=2
	s_barrier
	s_and_saveexec_b64 s[6:7], s[4:5]
	s_cbranch_execz .LBB124_14
; %bb.12:                               ;   in Loop: Header=BB124_10 Depth=2
	s_mov_b64 s[8:9], 0
	v_mov_b32_e32 v0, s11
	v_mov_b32_e32 v1, v9
	;; [unrolled: 1-line block ×3, first 2 shown]
.LBB124_13:                             ;   Parent Loop BB124_6 Depth=1
                                        ;     Parent Loop BB124_10 Depth=2
                                        ; =>    This Inner Loop Header: Depth=3
	v_lshlrev_b64 v[2:3], 4, v[4:5]
	v_add_co_u32_e32 v2, vcc, s10, v2
	v_addc_co_u32_e32 v3, vcc, v0, v3, vcc
	global_load_dwordx4 v[12:15], v[2:3], off
	v_add_u32_e32 v4, s52, v4
	v_cmp_le_u32_e32 vcc, s46, v4
	s_or_b64 s[8:9], vcc, s[8:9]
	s_waitcnt vmcnt(0)
	ds_write2_b64 v1, v[12:13], v[14:15] offset1:1
	v_add_u32_e32 v1, s59, v1
	s_andn2_b64 exec, exec, s[8:9]
	s_cbranch_execnz .LBB124_13
.LBB124_14:                             ;   in Loop: Header=BB124_10 Depth=2
	s_or_b64 exec, exec, s[6:7]
	s_waitcnt lgkmcnt(0)
	s_barrier
.LBB124_15:                             ;   in Loop: Header=BB124_10 Depth=2
	s_andn2_b64 vcc, exec, s[30:31]
	s_cbranch_vccnz .LBB124_9
; %bb.16:                               ;   in Loop: Header=BB124_10 Depth=2
	s_and_b64 s[6:7], s[20:21], exec
	s_cselect_b32 s24, s50, s11
	s_cselect_b32 s68, s49, s10
	s_cmp_eq_u32 s47, s67
	s_cselect_b32 s69, s51, s37
	s_cmp_gt_i32 s69, 0
	s_mul_i32 s70, s67, s37
	v_cmp_gt_u32_e64 s[6:7], s69, v6
	s_cselect_b64 s[10:11], -1, 0
	s_mov_b32 s71, s34
	s_branch .LBB124_19
.LBB124_17:                             ;   in Loop: Header=BB124_19 Depth=3
	s_or_b64 exec, exec, s[8:9]
	s_barrier
.LBB124_18:                             ;   in Loop: Header=BB124_19 Depth=3
	s_add_i32 s71, s71, s17
	s_cmp_ge_u32 s71, s48
	s_cbranch_scc1 .LBB124_9
.LBB124_19:                             ;   Parent Loop BB124_6 Depth=1
                                        ;     Parent Loop BB124_10 Depth=2
                                        ; =>    This Loop Header: Depth=3
                                        ;         Child Loop BB124_23 Depth 4
                                        ;           Child Loop BB124_25 Depth 5
                                        ;         Child Loop BB124_29 Depth 4
                                        ;           Child Loop BB124_32 Depth 5
                                        ;             Child Loop BB124_34 Depth 6
	s_cmp_eq_u32 s67, s71
	s_cselect_b64 s[8:9], -1, 0
	s_and_b64 s[8:9], s[8:9], s[22:23]
	s_and_b64 vcc, exec, s[8:9]
	s_cbranch_vccnz .LBB124_18
; %bb.20:                               ;   in Loop: Header=BB124_19 Depth=3
	s_cmp_eq_u32 s47, s71
	s_cselect_b32 s73, s51, s37
	s_mul_i32 s72, s71, s37
	v_cmp_gt_u32_e32 vcc, s73, v7
	s_barrier
	s_and_saveexec_b64 s[38:39], vcc
	s_cbranch_execz .LBB124_26
; %bb.21:                               ;   in Loop: Header=BB124_19 Depth=3
	s_mov_b64 s[40:41], 0
	v_mov_b32_e32 v0, v10
	v_mov_b32_e32 v1, v7
	s_branch .LBB124_23
.LBB124_22:                             ;   in Loop: Header=BB124_23 Depth=4
	s_or_b64 exec, exec, s[42:43]
	v_add_u32_e32 v1, s36, v1
	v_cmp_le_u32_e64 s[8:9], s73, v1
	s_or_b64 s[40:41], s[8:9], s[40:41]
	v_add_u32_e32 v0, s62, v0
	s_andn2_b64 exec, exec, s[40:41]
	s_cbranch_execz .LBB124_26
.LBB124_23:                             ;   Parent Loop BB124_6 Depth=1
                                        ;     Parent Loop BB124_10 Depth=2
                                        ;       Parent Loop BB124_19 Depth=3
                                        ; =>      This Loop Header: Depth=4
                                        ;           Child Loop BB124_25 Depth 5
	s_and_saveexec_b64 s[42:43], s[6:7]
	s_cbranch_execz .LBB124_22
; %bb.24:                               ;   in Loop: Header=BB124_23 Depth=4
	v_add_u32_e32 v12, s72, v1
	v_mad_u64_u32 v[2:3], s[8:9], v12, s54, 0
	v_mov_b32_e32 v4, v3
	v_mad_u64_u32 v[12:13], s[8:9], v12, s53, v[4:5]
	v_mov_b32_e32 v3, v12
	v_lshlrev_b64 v[2:3], 4, v[2:3]
	v_mov_b32_e32 v4, s64
	v_add_co_u32_e64 v2, s[8:9], s27, v2
	v_addc_co_u32_e64 v3, s[8:9], v4, v3, s[8:9]
	s_mov_b64 s[44:45], 0
	v_mov_b32_e32 v12, v0
	v_mov_b32_e32 v13, v6
.LBB124_25:                             ;   Parent Loop BB124_6 Depth=1
                                        ;     Parent Loop BB124_10 Depth=2
                                        ;       Parent Loop BB124_19 Depth=3
                                        ;         Parent Loop BB124_23 Depth=4
                                        ; =>        This Inner Loop Header: Depth=5
	v_add_u32_e32 v4, s66, v13
	v_lshlrev_b64 v[14:15], 4, v[4:5]
	v_add_co_u32_e64 v14, s[8:9], v2, v14
	v_addc_co_u32_e64 v15, s[8:9], v3, v15, s[8:9]
	global_load_dwordx4 v[14:17], v[14:15], off
	v_add_u32_e32 v13, s19, v13
	v_cmp_le_u32_e64 s[8:9], s69, v13
	s_or_b64 s[44:45], s[8:9], s[44:45]
	s_waitcnt vmcnt(0)
	ds_write2_b64 v12, v[14:15], v[16:17] offset1:1
	v_add_u32_e32 v12, s63, v12
	s_andn2_b64 exec, exec, s[44:45]
	s_cbranch_execnz .LBB124_25
	s_branch .LBB124_22
.LBB124_26:                             ;   in Loop: Header=BB124_19 Depth=3
	s_or_b64 exec, exec, s[38:39]
	s_waitcnt lgkmcnt(0)
	s_barrier
	s_and_saveexec_b64 s[8:9], vcc
	s_cbranch_execz .LBB124_17
; %bb.27:                               ;   in Loop: Header=BB124_19 Depth=3
	s_mov_b64 s[38:39], 0
	v_mov_b32_e32 v12, v11
	v_mov_b32_e32 v13, v7
	s_branch .LBB124_29
.LBB124_28:                             ;   in Loop: Header=BB124_29 Depth=4
	s_or_b64 exec, exec, s[40:41]
	v_add_u32_e32 v13, s36, v13
	v_cmp_le_u32_e32 vcc, s73, v13
	s_or_b64 s[38:39], vcc, s[38:39]
	v_add_u32_e32 v12, s62, v12
	s_andn2_b64 exec, exec, s[38:39]
	s_cbranch_execz .LBB124_17
.LBB124_29:                             ;   Parent Loop BB124_6 Depth=1
                                        ;     Parent Loop BB124_10 Depth=2
                                        ;       Parent Loop BB124_19 Depth=3
                                        ; =>      This Loop Header: Depth=4
                                        ;           Child Loop BB124_32 Depth 5
                                        ;             Child Loop BB124_34 Depth 6
	s_and_saveexec_b64 s[40:41], s[6:7]
	s_cbranch_execz .LBB124_28
; %bb.30:                               ;   in Loop: Header=BB124_29 Depth=4
	v_add_u32_e32 v3, s72, v13
	v_mad_u64_u32 v[0:1], s[42:43], v3, s54, 0
	v_mov_b32_e32 v2, v1
	v_mad_u64_u32 v[2:3], s[42:43], v3, s53, v[2:3]
	v_mov_b32_e32 v1, v2
	v_lshlrev_b64 v[0:1], 4, v[0:1]
	v_mov_b32_e32 v2, s64
	v_add_co_u32_e32 v14, vcc, s27, v0
	v_addc_co_u32_e32 v15, vcc, v2, v1, vcc
	s_mov_b64 s[42:43], 0
	v_mov_b32_e32 v16, v6
	s_branch .LBB124_32
.LBB124_31:                             ;   in Loop: Header=BB124_32 Depth=5
	v_add_u32_e32 v4, s70, v16
	v_lshlrev_b64 v[18:19], 4, v[4:5]
	v_add_co_u32_e32 v18, vcc, v14, v18
	v_addc_co_u32_e32 v19, vcc, v15, v19, vcc
	v_add_u32_e32 v16, s19, v16
	v_cmp_le_u32_e32 vcc, s69, v16
	s_or_b64 s[42:43], vcc, s[42:43]
	global_store_dwordx4 v[18:19], v[0:3], off
	s_andn2_b64 exec, exec, s[42:43]
	s_cbranch_execz .LBB124_28
.LBB124_32:                             ;   Parent Loop BB124_6 Depth=1
                                        ;     Parent Loop BB124_10 Depth=2
                                        ;       Parent Loop BB124_19 Depth=3
                                        ;         Parent Loop BB124_29 Depth=4
                                        ; =>        This Loop Header: Depth=5
                                        ;             Child Loop BB124_34 Depth 6
	v_pk_mov_b32 v[2:3], 0, 0
	s_andn2_b64 vcc, exec, s[10:11]
	v_pk_mov_b32 v[0:1], v[2:3], v[2:3] op_sel:[0,1]
	s_cbranch_vccnz .LBB124_31
; %bb.33:                               ;   in Loop: Header=BB124_32 Depth=5
	v_pk_mov_b32 v[2:3], 0, 0
	v_mov_b32_e32 v17, v12
	v_mov_b32_e32 v4, v16
	s_mov_b32 s44, s69
	v_pk_mov_b32 v[0:1], v[2:3], v[2:3] op_sel:[0,1]
.LBB124_34:                             ;   Parent Loop BB124_6 Depth=1
                                        ;     Parent Loop BB124_10 Depth=2
                                        ;       Parent Loop BB124_19 Depth=3
                                        ;         Parent Loop BB124_29 Depth=4
                                        ;           Parent Loop BB124_32 Depth=5
                                        ; =>          This Inner Loop Header: Depth=6
	v_lshlrev_b64 v[18:19], 4, v[4:5]
	v_mov_b32_e32 v20, s24
	v_add_co_u32_e32 v18, vcc, s68, v18
	v_addc_co_u32_e32 v19, vcc, v20, v19, vcc
	flat_load_dwordx4 v[18:21], v[18:19]
	ds_read2_b64 v[22:25], v17 offset1:1
	s_add_i32 s44, s44, -1
	v_add_u32_e32 v4, s37, v4
	v_add_u32_e32 v17, 16, v17
	s_cmp_eq_u32 s44, 0
	s_waitcnt vmcnt(0) lgkmcnt(0)
	v_mul_f64 v[26:27], v[20:21], v[24:25]
	v_mul_f64 v[20:21], v[20:21], v[22:23]
	v_fmac_f64_e32 v[26:27], v[18:19], v[22:23]
	v_fma_f64 v[18:19], v[18:19], v[24:25], -v[20:21]
	v_add_f64 v[0:1], v[0:1], v[26:27]
	v_add_f64 v[2:3], v[2:3], v[18:19]
	s_cbranch_scc0 .LBB124_34
	s_branch .LBB124_31
.LBB124_35:
	s_endpgm
	.section	.rodata,"a",@progbits
	.p2align	6, 0x0
	.amdhsa_kernel _ZN9rocsolver6v33100L17syevj_diag_rotateILb1E19rocblas_complex_numIdEdPS3_EEvbiiT2_iilPT0_Pii
		.amdhsa_group_segment_fixed_size 0
		.amdhsa_private_segment_fixed_size 64
		.amdhsa_kernarg_size 320
		.amdhsa_user_sgpr_count 8
		.amdhsa_user_sgpr_private_segment_buffer 1
		.amdhsa_user_sgpr_dispatch_ptr 0
		.amdhsa_user_sgpr_queue_ptr 0
		.amdhsa_user_sgpr_kernarg_segment_ptr 1
		.amdhsa_user_sgpr_dispatch_id 0
		.amdhsa_user_sgpr_flat_scratch_init 1
		.amdhsa_user_sgpr_kernarg_preload_length 0
		.amdhsa_user_sgpr_kernarg_preload_offset 0
		.amdhsa_user_sgpr_private_segment_size 0
		.amdhsa_uses_dynamic_stack 0
		.amdhsa_system_sgpr_private_segment_wavefront_offset 1
		.amdhsa_system_sgpr_workgroup_id_x 1
		.amdhsa_system_sgpr_workgroup_id_y 1
		.amdhsa_system_sgpr_workgroup_id_z 1
		.amdhsa_system_sgpr_workgroup_info 0
		.amdhsa_system_vgpr_workitem_id 1
		.amdhsa_next_free_vgpr 42
		.amdhsa_next_free_sgpr 74
		.amdhsa_accum_offset 44
		.amdhsa_reserve_vcc 1
		.amdhsa_reserve_flat_scratch 1
		.amdhsa_float_round_mode_32 0
		.amdhsa_float_round_mode_16_64 0
		.amdhsa_float_denorm_mode_32 3
		.amdhsa_float_denorm_mode_16_64 3
		.amdhsa_dx10_clamp 1
		.amdhsa_ieee_mode 1
		.amdhsa_fp16_overflow 0
		.amdhsa_tg_split 0
		.amdhsa_exception_fp_ieee_invalid_op 0
		.amdhsa_exception_fp_denorm_src 0
		.amdhsa_exception_fp_ieee_div_zero 0
		.amdhsa_exception_fp_ieee_overflow 0
		.amdhsa_exception_fp_ieee_underflow 0
		.amdhsa_exception_fp_ieee_inexact 0
		.amdhsa_exception_int_div_zero 0
	.end_amdhsa_kernel
	.section	.text._ZN9rocsolver6v33100L17syevj_diag_rotateILb1E19rocblas_complex_numIdEdPS3_EEvbiiT2_iilPT0_Pii,"axG",@progbits,_ZN9rocsolver6v33100L17syevj_diag_rotateILb1E19rocblas_complex_numIdEdPS3_EEvbiiT2_iilPT0_Pii,comdat
.Lfunc_end124:
	.size	_ZN9rocsolver6v33100L17syevj_diag_rotateILb1E19rocblas_complex_numIdEdPS3_EEvbiiT2_iilPT0_Pii, .Lfunc_end124-_ZN9rocsolver6v33100L17syevj_diag_rotateILb1E19rocblas_complex_numIdEdPS3_EEvbiiT2_iilPT0_Pii
                                        ; -- End function
	.section	.AMDGPU.csdata,"",@progbits
; Kernel info:
; codeLenInByte = 1436
; NumSgprs: 80
; NumVgprs: 42
; NumAgprs: 0
; TotalNumVgprs: 42
; ScratchSize: 64
; MemoryBound: 0
; FloatMode: 240
; IeeeMode: 1
; LDSByteSize: 0 bytes/workgroup (compile time only)
; SGPRBlocks: 9
; VGPRBlocks: 5
; NumSGPRsForWavesPerEU: 80
; NumVGPRsForWavesPerEU: 42
; AccumOffset: 44
; Occupancy: 8
; WaveLimiterHint : 1
; COMPUTE_PGM_RSRC2:SCRATCH_EN: 1
; COMPUTE_PGM_RSRC2:USER_SGPR: 8
; COMPUTE_PGM_RSRC2:TRAP_HANDLER: 0
; COMPUTE_PGM_RSRC2:TGID_X_EN: 1
; COMPUTE_PGM_RSRC2:TGID_Y_EN: 1
; COMPUTE_PGM_RSRC2:TGID_Z_EN: 1
; COMPUTE_PGM_RSRC2:TIDIG_COMP_CNT: 1
; COMPUTE_PGM_RSRC3_GFX90A:ACCUM_OFFSET: 10
; COMPUTE_PGM_RSRC3_GFX90A:TG_SPLIT: 0
	.section	.text._ZN9rocsolver6v33100L21syevj_offd_kernel_orgI19rocblas_complex_numIdEdPS3_EEviiT1_iilT0_PT_PiS9_S9_,"axG",@progbits,_ZN9rocsolver6v33100L21syevj_offd_kernel_orgI19rocblas_complex_numIdEdPS3_EEviiT1_iilT0_PT_PiS9_S9_,comdat
	.globl	_ZN9rocsolver6v33100L21syevj_offd_kernel_orgI19rocblas_complex_numIdEdPS3_EEviiT1_iilT0_PT_PiS9_S9_ ; -- Begin function _ZN9rocsolver6v33100L21syevj_offd_kernel_orgI19rocblas_complex_numIdEdPS3_EEviiT1_iilT0_PT_PiS9_S9_
	.p2align	8
	.type	_ZN9rocsolver6v33100L21syevj_offd_kernel_orgI19rocblas_complex_numIdEdPS3_EEviiT1_iilT0_PT_PiS9_S9_,@function
_ZN9rocsolver6v33100L21syevj_offd_kernel_orgI19rocblas_complex_numIdEdPS3_EEviiT1_iilT0_PT_PiS9_S9_: ; @_ZN9rocsolver6v33100L21syevj_offd_kernel_orgI19rocblas_complex_numIdEdPS3_EEviiT1_iilT0_PT_PiS9_S9_
; %bb.0:
	s_load_dwordx4 s[0:3], s[4:5], 0x38
	s_mov_b32 s26, s7
	s_ashr_i32 s27, s7, 31
	s_lshl_b64 s[8:9], s[26:27], 2
	s_mov_b32 s7, 0
	s_waitcnt lgkmcnt(0)
	s_add_u32 s2, s2, s8
	s_addc_u32 s3, s3, s9
	s_load_dword s2, s[2:3], 0x4
	s_waitcnt lgkmcnt(0)
	s_cmp_lg_u32 s2, 0
	s_cbranch_scc1 .LBB125_49
; %bb.1:
	s_load_dwordx8 s[8:15], s[4:5], 0x18
	s_lshl_b64 s[16:17], s[6:7], 2
	s_waitcnt lgkmcnt(0)
	s_add_u32 s2, s14, s16
	s_addc_u32 s3, s15, s17
	s_add_u32 s0, s0, s16
	s_load_dword s2, s[2:3], 0x0
	s_addc_u32 s1, s1, s17
	s_load_dword s3, s[0:1], 0x0
	s_load_dwordx2 s[20:21], s[4:5], 0x0
	s_waitcnt lgkmcnt(0)
	s_max_i32 s34, s2, s3
	s_cmp_ge_i32 s34, s20
	s_cbranch_scc1 .LBB125_49
; %bb.2:
	s_load_dword s7, s[4:5], 0x54
	s_add_u32 s0, s4, 0x48
	s_addc_u32 s1, s5, 0
	s_min_i32 s2, s2, s3
	v_bfe_u32 v1, v0, 10, 10
	s_waitcnt lgkmcnt(0)
	s_and_b32 s20, s7, 0xffff
	s_mul_i32 s2, s2, s20
	v_add_u32_e32 v9, s2, v1
	v_cmp_gt_i32_e32 vcc, s21, v9
	s_and_saveexec_b64 s[14:15], vcc
	s_cbranch_execz .LBB125_49
; %bb.3:
	s_cmp_eq_u64 s[12:13], 0
	s_mov_b64 s[22:23], 0
	s_cbranch_scc1 .LBB125_5
; %bb.4:
	s_load_dword s0, s[0:1], 0x0
	s_waitcnt lgkmcnt(0)
	s_mul_i32 s0, s0, s26
	s_add_i32 s0, s0, s6
	s_mul_i32 s0, s0, s20
	s_mul_i32 s0, s0, s20
	s_lshl_b32 s0, s0, 2
	s_ashr_i32 s1, s0, 31
	s_lshl_b64 s[0:1], s[0:1], 4
	s_add_u32 s22, s12, s0
	s_addc_u32 s23, s13, s1
.LBB125_5:
	s_lshl_b32 s6, s20, 1
	v_and_b32_e32 v8, 0x3ff, v0
	v_add_u32_e32 v0, s20, v1
	s_cmp_lg_u64 s[22:23], 0
	v_mul_u32_u24_e32 v15, s6, v1
	s_cselect_b64 s[24:25], -1, 0
	s_cmp_eq_u64 s[22:23], 0
	v_mad_u32_u24 v10, v0, s6, v8
	v_add_lshl_u32 v2, v15, v8, 4
	s_cbranch_scc1 .LBB125_7
; %bb.6:
	v_mov_b32_e32 v5, 0x3ff00000
	v_cmp_eq_u32_e32 vcc, v8, v1
	v_mov_b32_e32 v4, 0
	v_cndmask_b32_e32 v5, 0, v5, vcc
	v_mov_b32_e32 v14, s23
	v_add_co_u32_e32 v12, vcc, s22, v2
	s_mov_b32 s12, 0
	v_addc_co_u32_e32 v13, vcc, 0, v14, vcc
	v_mov_b32_e32 v6, v4
	v_mov_b32_e32 v7, v4
	;; [unrolled: 1-line block ×3, first 2 shown]
	flat_store_dwordx4 v[12:13], v[4:7]
	v_lshlrev_b64 v[12:13], 4, v[10:11]
	s_mov_b32 s14, s12
	s_mov_b32 s15, s12
	v_add_u32_e32 v3, s20, v8
	v_add_co_u32_e32 v12, vcc, s22, v12
	s_mov_b32 s13, s12
	v_pk_mov_b32 v[18:19], s[14:15], s[14:15] op_sel:[0,1]
	v_addc_co_u32_e32 v13, vcc, v14, v13, vcc
	v_pk_mov_b32 v[16:17], s[12:13], s[12:13] op_sel:[0,1]
	v_add_lshl_u32 v11, v15, v3, 4
	flat_store_dwordx4 v[12:13], v[16:19]
	v_add_co_u32_e32 v12, vcc, s22, v11
	v_addc_co_u32_e32 v13, vcc, 0, v14, vcc
	flat_store_dwordx4 v[12:13], v[16:19]
	v_mad_u32_u24 v12, v0, s6, v3
	v_mov_b32_e32 v13, v4
	v_lshlrev_b64 v[12:13], 4, v[12:13]
	v_add_co_u32_e32 v12, vcc, s22, v12
	v_addc_co_u32_e32 v13, vcc, v14, v13, vcc
	flat_store_dwordx4 v[12:13], v[4:7]
.LBB125_7:
	s_cmp_eq_u32 s20, 0
	s_mov_b32 s12, 0
	s_cbranch_scc1 .LBB125_49
; %bb.8:
	s_mov_b32 s0, 0
	s_mov_b32 s1, 0x100000
	v_pk_mov_b32 v[4:5], s[0:1], s[0:1] op_sel:[0,1]
	v_div_scale_f64 v[6:7], s[14:15], s[10:11], s[10:11], v[4:5]
	v_rcp_f64_e32 v[12:13], v[6:7]
	s_load_dwordx4 s[16:19], s[4:5], 0x8
	v_pk_mov_b32 v[16:17], s[10:11], s[10:11] op_sel:[0,1]
	s_mul_i32 s3, s26, s9
	v_fma_f64 v[18:19], -v[6:7], v[12:13], 1.0
	v_fmac_f64_e32 v[12:13], v[12:13], v[18:19]
	v_fma_f64 v[18:19], -v[6:7], v[12:13], 1.0
	s_mul_hi_u32 s4, s26, s8
	v_fmac_f64_e32 v[12:13], v[12:13], v[18:19]
	v_div_scale_f64 v[16:17], vcc, s[0:1], v[16:17], s[0:1]
	s_add_i32 s3, s4, s3
	s_mul_i32 s4, s27, s8
	v_mul_f64 v[18:19], v[16:17], v[12:13]
	s_lshl_b32 s0, s20, 3
	s_add_i32 s5, s3, s4
	s_mul_i32 s4, s26, s8
	v_fma_f64 v[6:7], -v[6:7], v[18:19], v[16:17]
	s_add_i32 s7, s0, 0
	s_waitcnt lgkmcnt(0)
	s_ashr_i32 s1, s18, 31
	s_lshl_b64 s[4:5], s[4:5], 4
	v_add_u32_e32 v14, s2, v8
	v_div_fmas_f64 v[6:7], v[6:7], v[12:13], v[18:19]
	s_mov_b32 s0, s18
	s_add_u32 s3, s16, s4
	v_mul_lo_u32 v45, v14, s19
	v_div_fixup_f64 v[12:13], v[6:7], s[10:11], v[4:5]
	s_addc_u32 s4, s17, s5
	s_lshl_b64 s[0:1], s[0:1], 4
	v_add_u32_e32 v4, v45, v14
	s_add_u32 s18, s3, s0
	v_ashrrev_i32_e32 v5, 31, v4
	s_addc_u32 s33, s4, s1
	s_mul_i32 s34, s34, s20
	v_lshlrev_b64 v[4:5], 4, v[4:5]
	v_add_u32_e32 v44, s34, v1
	v_cmp_eq_u32_e64 s[0:1], 0, v1
	v_mov_b32_e32 v1, s33
	v_add_co_u32_e32 v16, vcc, s18, v4
	v_addc_co_u32_e32 v17, vcc, v1, v5, vcc
	v_mov_b32_e32 v11, 0
	v_mov_b32_e32 v3, s23
	v_add_co_u32_e32 v18, vcc, s22, v2
	v_addc_co_u32_e32 v19, vcc, 0, v3, vcc
	v_mul_u32_u24_e32 v48, s6, v0
	v_lshlrev_b64 v[0:1], 4, v[10:11]
	v_add_co_u32_e32 v20, vcc, s22, v0
	v_add_u32_e32 v0, v45, v9
	v_addc_co_u32_e32 v21, vcc, v3, v1, vcc
	v_ashrrev_i32_e32 v1, 31, v0
	v_lshlrev_b64 v[0:1], 4, v[0:1]
	v_mov_b32_e32 v2, s33
	v_add_co_u32_e32 v22, vcc, s18, v0
	v_add_u32_e32 v0, v45, v44
	v_addc_co_u32_e32 v23, vcc, v2, v1, vcc
	v_ashrrev_i32_e32 v1, 31, v0
	v_lshlrev_b64 v[0:1], 4, v[0:1]
	v_mul_lo_u32 v49, v9, s19
	v_add_co_u32_e32 v24, vcc, s18, v0
	v_add_u32_e32 v0, v49, v14
	v_cvt_f32_u32_e32 v3, s20
	v_addc_co_u32_e32 v25, vcc, v2, v1, vcc
	v_ashrrev_i32_e32 v1, 31, v0
	v_lshlrev_b64 v[0:1], 4, v[0:1]
	v_add_co_u32_e32 v26, vcc, s18, v0
	v_addc_co_u32_e32 v27, vcc, v2, v1, vcc
	v_rcp_iflag_f32_e32 v2, v3
	v_mul_lo_u32 v50, v44, s19
	v_add_u32_e32 v0, v50, v14
	v_ashrrev_i32_e32 v1, 31, v0
	v_mul_f32_e32 v2, 0x4f7ffffe, v2
	v_cvt_u32_f32_e32 v2, v2
	v_lshlrev_b64 v[0:1], 4, v[0:1]
	s_sub_i32 s6, 0, s20
	v_add_co_u32_e32 v28, vcc, s18, v0
	v_mul_lo_u32 v0, s6, v2
	v_mul_hi_u32 v0, v2, v0
	v_cmp_gt_i32_e64 s[2:3], s21, v14
	v_mov_b32_e32 v3, s33
	v_add_u32_e32 v51, v2, v0
	s_mov_b32 s16, 0
	v_lshl_add_u32 v46, v8, 3, 0
	v_lshl_add_u32 v47, v8, 4, s7
	v_cmp_gt_i32_e64 s[4:5], s21, v44
	v_addc_co_u32_e32 v29, vcc, v3, v1, vcc
	s_and_b64 s[10:11], s[0:1], s[2:3]
	v_mad_u64_u32 v[30:31], s[6:7], v8, v51, 0
	s_brev_b32 s17, 8
	v_mov_b32_e32 v52, 0x260
	s_movk_i32 s35, 0x204
	v_mov_b32_e32 v53, 0xffffff80
	v_mov_b32_e32 v54, 0x7ff80000
	;; [unrolled: 1-line block ×5, first 2 shown]
	s_mov_b32 s36, s20
                                        ; implicit-def: $vgpr36_vgpr37
                                        ; implicit-def: $vgpr2_vgpr3
                                        ; implicit-def: $vgpr32_vgpr33
                                        ; implicit-def: $vgpr34_vgpr35
	s_branch .LBB125_10
.LBB125_9:                              ;   in Loop: Header=BB125_10 Depth=1
	s_or_b64 exec, exec, s[6:7]
	s_add_i32 s36, s36, -1
	v_add_co_u32_e32 v30, vcc, v30, v51
	v_add_u32_e32 v8, 1, v8
	s_cmp_lg_u32 s36, 0
	v_addc_co_u32_e32 v31, vcc, 0, v31, vcc
	s_cbranch_scc0 .LBB125_49
.LBB125_10:                             ; =>This Inner Loop Header: Depth=1
	v_mul_lo_u32 v4, s20, v31
	v_sub_u32_e32 v6, v8, v4
	v_not_b32_e32 v4, v31
	v_mad_u64_u32 v[4:5], s[6:7], s20, v4, v[8:9]
	v_cmp_le_u32_e32 vcc, s20, v6
	v_cndmask_b32_e32 v4, v6, v4, vcc
	v_subrev_u32_e32 v5, s20, v4
	v_cmp_le_u32_e32 vcc, s20, v4
	v_cndmask_b32_e32 v10, v4, v5, vcc
	v_add_u32_e32 v58, s34, v10
	v_cmp_gt_i32_e64 s[6:7], s21, v58
	s_and_b64 s[8:9], s[10:11], s[6:7]
	v_mul_lo_u32 v59, v58, s19
	s_and_saveexec_b64 s[14:15], s[8:9]
	s_cbranch_execz .LBB125_36
; %bb.11:                               ;   in Loop: Header=BB125_10 Depth=1
	v_add_u32_e32 v0, v59, v14
	v_ashrrev_i32_e32 v1, 31, v0
	v_lshlrev_b64 v[0:1], 4, v[0:1]
	v_mov_b32_e32 v2, s33
	v_add_co_u32_e32 v0, vcc, s18, v0
	v_addc_co_u32_e32 v1, vcc, v2, v1, vcc
	global_load_dwordx4 v[4:7], v[0:1], off
                                        ; implicit-def: $vgpr38_vgpr39
	s_waitcnt vmcnt(0)
	v_xor_b32_e32 v1, 0x80000000, v5
	v_cmp_gt_f64_e32 vcc, 0, v[4:5]
	v_xor_b32_e32 v2, 0x80000000, v7
	v_cndmask_b32_e32 v1, v5, v1, vcc
	v_cmp_gt_f64_e32 vcc, 0, v[6:7]
	v_mov_b32_e32 v0, v4
	v_cndmask_b32_e32 v3, v7, v2, vcc
	v_mov_b32_e32 v2, v6
	v_cmp_ngt_f64_e32 vcc, v[0:1], v[2:3]
	s_and_saveexec_b64 s[8:9], vcc
	s_xor_b64 s[8:9], exec, s[8:9]
	s_cbranch_execz .LBB125_15
; %bb.12:                               ;   in Loop: Header=BB125_10 Depth=1
	v_cmp_neq_f64_e32 vcc, 0, v[6:7]
	v_pk_mov_b32 v[38:39], 0, 0
	s_and_saveexec_b64 s[26:27], vcc
	s_cbranch_execz .LBB125_14
; %bb.13:                               ;   in Loop: Header=BB125_10 Depth=1
	v_div_scale_f64 v[36:37], s[28:29], v[2:3], v[2:3], v[0:1]
	v_rcp_f64_e32 v[38:39], v[36:37]
	v_div_scale_f64 v[40:41], vcc, v[0:1], v[2:3], v[0:1]
	v_fma_f64 v[42:43], -v[36:37], v[38:39], 1.0
	v_fmac_f64_e32 v[38:39], v[38:39], v[42:43]
	v_fma_f64 v[42:43], -v[36:37], v[38:39], 1.0
	v_fmac_f64_e32 v[38:39], v[38:39], v[42:43]
	v_mul_f64 v[42:43], v[40:41], v[38:39]
	v_fma_f64 v[36:37], -v[36:37], v[42:43], v[40:41]
	v_div_fmas_f64 v[36:37], v[36:37], v[38:39], v[42:43]
	v_div_fixup_f64 v[0:1], v[36:37], v[2:3], v[0:1]
	v_fma_f64 v[0:1], v[0:1], v[0:1], 1.0
	v_cmp_gt_f64_e32 vcc, s[16:17], v[0:1]
	v_cndmask_b32_e64 v36, 0, 1, vcc
	v_lshlrev_b32_e32 v36, 8, v36
	v_ldexp_f64 v[0:1], v[0:1], v36
	v_rsq_f64_e32 v[36:37], v[0:1]
	v_mul_f64 v[38:39], v[0:1], v[36:37]
	v_mul_f64 v[36:37], v[36:37], 0.5
	v_fma_f64 v[40:41], -v[36:37], v[38:39], 0.5
	v_fmac_f64_e32 v[38:39], v[38:39], v[40:41]
	v_fma_f64 v[42:43], -v[38:39], v[38:39], v[0:1]
	v_fmac_f64_e32 v[36:37], v[36:37], v[40:41]
	v_fmac_f64_e32 v[38:39], v[42:43], v[36:37]
	v_fma_f64 v[40:41], -v[38:39], v[38:39], v[0:1]
	v_fmac_f64_e32 v[38:39], v[40:41], v[36:37]
	v_cndmask_b32_e32 v36, 0, v53, vcc
	v_ldexp_f64 v[36:37], v[38:39], v36
	v_cmp_class_f64_e32 vcc, v[0:1], v52
	v_cndmask_b32_e32 v1, v37, v1, vcc
	v_cndmask_b32_e32 v0, v36, v0, vcc
	v_mul_f64 v[38:39], v[2:3], v[0:1]
.LBB125_14:                             ;   in Loop: Header=BB125_10 Depth=1
	s_or_b64 exec, exec, s[26:27]
                                        ; implicit-def: $vgpr0_vgpr1
                                        ; implicit-def: $vgpr2_vgpr3
.LBB125_15:                             ;   in Loop: Header=BB125_10 Depth=1
	s_andn2_saveexec_b64 s[8:9], s[8:9]
	s_cbranch_execz .LBB125_17
; %bb.16:                               ;   in Loop: Header=BB125_10 Depth=1
	v_div_scale_f64 v[36:37], s[26:27], v[0:1], v[0:1], v[2:3]
	v_rcp_f64_e32 v[38:39], v[36:37]
	v_div_scale_f64 v[40:41], vcc, v[2:3], v[0:1], v[2:3]
	v_fma_f64 v[42:43], -v[36:37], v[38:39], 1.0
	v_fmac_f64_e32 v[38:39], v[38:39], v[42:43]
	v_fma_f64 v[42:43], -v[36:37], v[38:39], 1.0
	v_fmac_f64_e32 v[38:39], v[38:39], v[42:43]
	v_mul_f64 v[42:43], v[40:41], v[38:39]
	v_fma_f64 v[36:37], -v[36:37], v[42:43], v[40:41]
	v_div_fmas_f64 v[36:37], v[36:37], v[38:39], v[42:43]
	v_div_fixup_f64 v[2:3], v[36:37], v[0:1], v[2:3]
	v_fma_f64 v[2:3], v[2:3], v[2:3], 1.0
	v_cmp_gt_f64_e32 vcc, s[16:17], v[2:3]
	v_cndmask_b32_e64 v36, 0, 1, vcc
	v_lshlrev_b32_e32 v36, 8, v36
	v_ldexp_f64 v[2:3], v[2:3], v36
	v_rsq_f64_e32 v[36:37], v[2:3]
	v_mul_f64 v[38:39], v[2:3], v[36:37]
	v_mul_f64 v[36:37], v[36:37], 0.5
	v_fma_f64 v[40:41], -v[36:37], v[38:39], 0.5
	v_fmac_f64_e32 v[38:39], v[38:39], v[40:41]
	v_fma_f64 v[42:43], -v[38:39], v[38:39], v[2:3]
	v_fmac_f64_e32 v[36:37], v[36:37], v[40:41]
	v_fmac_f64_e32 v[38:39], v[42:43], v[36:37]
	v_fma_f64 v[40:41], -v[38:39], v[38:39], v[2:3]
	v_fmac_f64_e32 v[38:39], v[40:41], v[36:37]
	v_cndmask_b32_e32 v36, 0, v53, vcc
	v_ldexp_f64 v[36:37], v[38:39], v36
	v_cmp_class_f64_e32 vcc, v[2:3], v52
	v_cndmask_b32_e32 v3, v37, v3, vcc
	v_cndmask_b32_e32 v2, v36, v2, vcc
	v_mul_f64 v[38:39], v[0:1], v[2:3]
.LBB125_17:                             ;   in Loop: Header=BB125_10 Depth=1
	s_or_b64 exec, exec, s[8:9]
	v_mul_f64 v[0:1], v[38:39], v[38:39]
	v_mov_b32_e32 v36, 0
	v_pk_mov_b32 v[2:3], 0, 0
	v_cmp_nlt_f64_e32 vcc, v[0:1], v[12:13]
	v_mov_b32_e32 v37, 0x3ff00000
	v_pk_mov_b32 v[0:1], v[2:3], v[2:3] op_sel:[0,1]
	s_and_saveexec_b64 s[26:27], vcc
	s_cbranch_execz .LBB125_35
; %bb.18:                               ;   in Loop: Header=BB125_10 Depth=1
	v_add_u32_e32 v0, v59, v58
	v_ashrrev_i32_e32 v1, 31, v0
	v_lshlrev_b64 v[0:1], 4, v[0:1]
	v_mov_b32_e32 v2, s33
	v_add_co_u32_e32 v0, vcc, s18, v0
	v_addc_co_u32_e32 v1, vcc, v2, v1, vcc
	global_load_dwordx2 v[2:3], v[16:17], off
	global_load_dwordx2 v[36:37], v[0:1], off
	v_add_f64 v[0:1], v[38:39], v[38:39]
	s_waitcnt vmcnt(0)
	v_add_f64 v[2:3], v[36:37], -v[2:3]
	v_max_f64 v[36:37], |v[2:3]|, |v[0:1]|
	v_frexp_exp_i32_f64_e32 v42, v[36:37]
	v_sub_u32_e32 v40, 0, v42
	v_ldexp_f64 v[36:37], |v[2:3]|, v40
	v_ldexp_f64 v[40:41], |v[0:1]|, v40
	v_mul_f64 v[40:41], v[40:41], v[40:41]
	v_fmac_f64_e32 v[40:41], v[36:37], v[36:37]
	v_rsq_f64_e32 v[36:37], v[40:41]
	v_cmp_eq_f64_e64 s[8:9], 0, v[40:41]
	v_cmp_ngt_f64_e32 vcc, 0, v[2:3]
	v_cmp_class_f64_e64 s[28:29], v[2:3], s35
	v_mul_f64 v[60:61], v[40:41], v[36:37]
	v_mul_f64 v[36:37], v[36:37], 0.5
	v_fma_f64 v[62:63], -v[36:37], v[60:61], 0.5
	v_fmac_f64_e32 v[60:61], v[60:61], v[62:63]
	v_fmac_f64_e32 v[36:37], v[36:37], v[62:63]
	v_fma_f64 v[62:63], -v[60:61], v[60:61], v[40:41]
	v_fmac_f64_e32 v[60:61], v[62:63], v[36:37]
	v_cndmask_b32_e64 v37, v61, v41, s[8:9]
	v_cndmask_b32_e64 v36, v60, v40, s[8:9]
	v_cmp_class_f64_e64 s[8:9], v[0:1], s35
                                        ; implicit-def: $vgpr40_vgpr41
	s_and_saveexec_b64 s[30:31], vcc
	s_xor_b64 s[30:31], exec, s[30:31]
; %bb.19:                               ;   in Loop: Header=BB125_10 Depth=1
	v_ldexp_f64 v[36:37], v[36:37], v42
	v_cmp_o_f64_e32 vcc, v[2:3], v[0:1]
	v_cndmask_b32_e32 v36, 0, v36, vcc
	v_cndmask_b32_e32 v37, v54, v37, vcc
	s_or_b64 vcc, s[8:9], s[28:29]
	v_cndmask_b32_e32 v41, v37, v55, vcc
	v_cndmask_b32_e64 v40, v36, 0, vcc
                                        ; implicit-def: $vgpr36_vgpr37
                                        ; implicit-def: $vgpr42
; %bb.20:                               ;   in Loop: Header=BB125_10 Depth=1
	s_andn2_saveexec_b64 s[30:31], s[30:31]
; %bb.21:                               ;   in Loop: Header=BB125_10 Depth=1
	v_ldexp_f64 v[36:37], -v[36:37], v42
	v_cmp_o_f64_e32 vcc, v[0:1], v[0:1]
	v_cndmask_b32_e32 v36, 0, v36, vcc
	v_cndmask_b32_e32 v37, v56, v37, vcc
	s_or_b64 vcc, s[8:9], s[28:29]
	v_cndmask_b32_e32 v41, v37, v57, vcc
	v_cndmask_b32_e64 v40, v36, 0, vcc
; %bb.22:                               ;   in Loop: Header=BB125_10 Depth=1
	s_or_b64 exec, exec, s[30:31]
	v_mov_b32_e32 v36, 0
	v_cmp_neq_f64_e32 vcc, 0, v[0:1]
	v_pk_mov_b32 v[42:43], 0, 0
	v_mov_b32_e32 v37, 0x3ff00000
	s_and_saveexec_b64 s[8:9], vcc
	s_cbranch_execz .LBB125_30
; %bb.23:                               ;   in Loop: Header=BB125_10 Depth=1
	v_add_f64 v[2:3], v[2:3], v[40:41]
	v_mov_b32_e32 v42, 0
	v_cmp_neq_f64_e32 vcc, 0, v[2:3]
	v_pk_mov_b32 v[36:37], 0, 0
	v_mov_b32_e32 v43, 0x3ff00000
	s_and_saveexec_b64 s[28:29], vcc
	s_cbranch_execz .LBB125_29
; %bb.24:                               ;   in Loop: Header=BB125_10 Depth=1
	v_cmp_ngt_f64_e64 s[30:31], |v[0:1]|, |v[2:3]|
                                        ; implicit-def: $vgpr36_vgpr37
                                        ; implicit-def: $vgpr42_vgpr43
	s_and_saveexec_b64 s[38:39], s[30:31]
	s_xor_b64 s[30:31], exec, s[38:39]
	s_cbranch_execz .LBB125_26
; %bb.25:                               ;   in Loop: Header=BB125_10 Depth=1
	v_div_scale_f64 v[36:37], s[38:39], v[2:3], v[2:3], -v[0:1]
	v_rcp_f64_e32 v[40:41], v[36:37]
	v_div_scale_f64 v[42:43], vcc, -v[0:1], v[2:3], -v[0:1]
	v_fma_f64 v[60:61], -v[36:37], v[40:41], 1.0
	v_fmac_f64_e32 v[40:41], v[40:41], v[60:61]
	v_fma_f64 v[60:61], -v[36:37], v[40:41], 1.0
	v_fmac_f64_e32 v[40:41], v[40:41], v[60:61]
	v_mul_f64 v[60:61], v[42:43], v[40:41]
	v_fma_f64 v[36:37], -v[36:37], v[60:61], v[42:43]
	v_div_fmas_f64 v[36:37], v[36:37], v[40:41], v[60:61]
	v_div_fixup_f64 v[0:1], v[36:37], v[2:3], -v[0:1]
	v_fma_f64 v[2:3], v[0:1], v[0:1], 1.0
	v_cmp_gt_f64_e32 vcc, s[16:17], v[2:3]
	v_cndmask_b32_e64 v36, 0, 1, vcc
	v_lshlrev_b32_e32 v36, 8, v36
	v_ldexp_f64 v[2:3], v[2:3], v36
	v_rsq_f64_e32 v[36:37], v[2:3]
	v_mul_f64 v[40:41], v[2:3], v[36:37]
	v_mul_f64 v[36:37], v[36:37], 0.5
	v_fma_f64 v[42:43], -v[36:37], v[40:41], 0.5
	v_fmac_f64_e32 v[40:41], v[40:41], v[42:43]
	v_fma_f64 v[60:61], -v[40:41], v[40:41], v[2:3]
	v_fmac_f64_e32 v[36:37], v[36:37], v[42:43]
	v_fmac_f64_e32 v[40:41], v[60:61], v[36:37]
	v_fma_f64 v[42:43], -v[40:41], v[40:41], v[2:3]
	v_fmac_f64_e32 v[40:41], v[42:43], v[36:37]
	v_cndmask_b32_e32 v36, 0, v53, vcc
	v_ldexp_f64 v[36:37], v[40:41], v36
	v_cmp_class_f64_e32 vcc, v[2:3], v52
	v_cndmask_b32_e32 v3, v37, v3, vcc
	v_cndmask_b32_e32 v2, v36, v2, vcc
	v_div_scale_f64 v[36:37], s[38:39], v[2:3], v[2:3], 1.0
	v_rcp_f64_e32 v[40:41], v[36:37]
	v_fma_f64 v[42:43], -v[36:37], v[40:41], 1.0
	v_fmac_f64_e32 v[40:41], v[40:41], v[42:43]
	v_fma_f64 v[42:43], -v[36:37], v[40:41], 1.0
	v_fmac_f64_e32 v[40:41], v[40:41], v[42:43]
	v_div_scale_f64 v[42:43], vcc, 1.0, v[2:3], 1.0
	v_mul_f64 v[60:61], v[42:43], v[40:41]
	v_fma_f64 v[36:37], -v[36:37], v[60:61], v[42:43]
	s_nop 1
	v_div_fmas_f64 v[36:37], v[36:37], v[40:41], v[60:61]
	v_div_fixup_f64 v[36:37], v[36:37], v[2:3], 1.0
	v_mul_f64 v[42:43], v[0:1], v[36:37]
                                        ; implicit-def: $vgpr0_vgpr1
                                        ; implicit-def: $vgpr2_vgpr3
.LBB125_26:                             ;   in Loop: Header=BB125_10 Depth=1
	s_andn2_saveexec_b64 s[30:31], s[30:31]
	s_cbranch_execz .LBB125_28
; %bb.27:                               ;   in Loop: Header=BB125_10 Depth=1
	v_div_scale_f64 v[36:37], s[38:39], v[0:1], v[0:1], -v[2:3]
	v_rcp_f64_e32 v[40:41], v[36:37]
	v_div_scale_f64 v[42:43], vcc, -v[2:3], v[0:1], -v[2:3]
	v_fma_f64 v[60:61], -v[36:37], v[40:41], 1.0
	v_fmac_f64_e32 v[40:41], v[40:41], v[60:61]
	v_fma_f64 v[60:61], -v[36:37], v[40:41], 1.0
	v_fmac_f64_e32 v[40:41], v[40:41], v[60:61]
	v_mul_f64 v[60:61], v[42:43], v[40:41]
	v_fma_f64 v[36:37], -v[36:37], v[60:61], v[42:43]
	v_div_fmas_f64 v[36:37], v[36:37], v[40:41], v[60:61]
	v_div_fixup_f64 v[0:1], v[36:37], v[0:1], -v[2:3]
	v_fma_f64 v[2:3], v[0:1], v[0:1], 1.0
	v_cmp_gt_f64_e32 vcc, s[16:17], v[2:3]
	v_cndmask_b32_e64 v36, 0, 1, vcc
	v_lshlrev_b32_e32 v36, 8, v36
	v_ldexp_f64 v[2:3], v[2:3], v36
	v_rsq_f64_e32 v[36:37], v[2:3]
	v_mul_f64 v[40:41], v[2:3], v[36:37]
	v_mul_f64 v[36:37], v[36:37], 0.5
	v_fma_f64 v[42:43], -v[36:37], v[40:41], 0.5
	v_fmac_f64_e32 v[40:41], v[40:41], v[42:43]
	v_fma_f64 v[60:61], -v[40:41], v[40:41], v[2:3]
	v_fmac_f64_e32 v[36:37], v[36:37], v[42:43]
	v_fmac_f64_e32 v[40:41], v[60:61], v[36:37]
	v_fma_f64 v[42:43], -v[40:41], v[40:41], v[2:3]
	v_fmac_f64_e32 v[40:41], v[42:43], v[36:37]
	v_cndmask_b32_e32 v36, 0, v53, vcc
	v_ldexp_f64 v[36:37], v[40:41], v36
	v_cmp_class_f64_e32 vcc, v[2:3], v52
	v_cndmask_b32_e32 v3, v37, v3, vcc
	v_cndmask_b32_e32 v2, v36, v2, vcc
	v_div_scale_f64 v[36:37], s[38:39], v[2:3], v[2:3], 1.0
	v_rcp_f64_e32 v[40:41], v[36:37]
	v_fma_f64 v[42:43], -v[36:37], v[40:41], 1.0
	v_fmac_f64_e32 v[40:41], v[40:41], v[42:43]
	v_fma_f64 v[42:43], -v[36:37], v[40:41], 1.0
	v_fmac_f64_e32 v[40:41], v[40:41], v[42:43]
	v_div_scale_f64 v[42:43], vcc, 1.0, v[2:3], 1.0
	v_mul_f64 v[60:61], v[42:43], v[40:41]
	v_fma_f64 v[36:37], -v[36:37], v[60:61], v[42:43]
	s_nop 1
	v_div_fmas_f64 v[36:37], v[36:37], v[40:41], v[60:61]
	v_div_fixup_f64 v[42:43], v[36:37], v[2:3], 1.0
	v_mul_f64 v[36:37], v[0:1], v[42:43]
.LBB125_28:                             ;   in Loop: Header=BB125_10 Depth=1
	s_or_b64 exec, exec, s[30:31]
.LBB125_29:                             ;   in Loop: Header=BB125_10 Depth=1
	s_or_b64 exec, exec, s[28:29]
.LBB125_30:                             ;   in Loop: Header=BB125_10 Depth=1
	s_or_b64 exec, exec, s[8:9]
	v_xor_b32_e32 v0, 0x80000000, v39
	v_cmp_gt_f64_e32 vcc, 0, v[38:39]
	v_cndmask_b32_e32 v1, v39, v0, vcc
	v_cndmask_b32_e32 v0, v38, v38, vcc
	v_mul_f64 v[40:41], v[4:5], v[42:43]
	v_mul_f64 v[4:5], v[6:7], v[42:43]
	v_cmp_nlt_f64_e32 vcc, 0, v[0:1]
                                        ; implicit-def: $vgpr2_vgpr3
	s_and_saveexec_b64 s[8:9], vcc
	s_xor_b64 s[8:9], exec, s[8:9]
	s_cbranch_execz .LBB125_32
; %bb.31:                               ;   in Loop: Header=BB125_10 Depth=1
	v_div_scale_f64 v[0:1], s[28:29], 0, 0, v[38:39]
	v_rcp_f64_e32 v[2:3], v[0:1]
	v_div_scale_f64 v[6:7], vcc, v[38:39], 0, v[38:39]
	v_fma_f64 v[42:43], -v[0:1], v[2:3], 1.0
	v_fmac_f64_e32 v[2:3], v[2:3], v[42:43]
	v_fma_f64 v[42:43], -v[0:1], v[2:3], 1.0
	v_fmac_f64_e32 v[2:3], v[2:3], v[42:43]
	v_mul_f64 v[42:43], v[6:7], v[2:3]
	v_fma_f64 v[0:1], -v[0:1], v[42:43], v[6:7]
	v_div_fmas_f64 v[0:1], v[0:1], v[2:3], v[42:43]
	v_div_fixup_f64 v[2:3], v[0:1], 0, v[38:39]
	v_fma_f64 v[0:1], v[38:39], v[2:3], 0
	v_div_scale_f64 v[6:7], s[28:29], v[0:1], v[0:1], 1.0
	v_rcp_f64_e32 v[38:39], v[6:7]
	v_fma_f64 v[42:43], -v[6:7], v[38:39], 1.0
	v_fmac_f64_e32 v[38:39], v[38:39], v[42:43]
	v_fma_f64 v[42:43], -v[6:7], v[38:39], 1.0
	v_fmac_f64_e32 v[38:39], v[38:39], v[42:43]
	v_div_scale_f64 v[42:43], vcc, 1.0, v[0:1], 1.0
	v_mul_f64 v[60:61], v[42:43], v[38:39]
	v_fma_f64 v[6:7], -v[6:7], v[60:61], v[42:43]
	s_nop 1
	v_div_fmas_f64 v[6:7], v[6:7], v[38:39], v[60:61]
	v_div_fixup_f64 v[6:7], v[6:7], v[0:1], 1.0
	v_fma_f64 v[0:1], v[2:3], v[40:41], v[4:5]
	v_fma_f64 v[2:3], v[2:3], v[4:5], -v[40:41]
	v_mul_f64 v[0:1], v[6:7], v[0:1]
	v_mul_f64 v[2:3], v[6:7], v[2:3]
                                        ; implicit-def: $vgpr38_vgpr39
                                        ; implicit-def: $vgpr4_vgpr5
                                        ; implicit-def: $vgpr40_vgpr41
.LBB125_32:                             ;   in Loop: Header=BB125_10 Depth=1
	s_andn2_saveexec_b64 s[8:9], s[8:9]
	s_cbranch_execz .LBB125_34
; %bb.33:                               ;   in Loop: Header=BB125_10 Depth=1
	v_div_scale_f64 v[0:1], s[28:29], v[38:39], v[38:39], 0
	v_rcp_f64_e32 v[2:3], v[0:1]
	v_div_scale_f64 v[6:7], vcc, 0, v[38:39], 0
	v_fma_f64 v[42:43], -v[0:1], v[2:3], 1.0
	v_fmac_f64_e32 v[2:3], v[2:3], v[42:43]
	v_fma_f64 v[42:43], -v[0:1], v[2:3], 1.0
	v_fmac_f64_e32 v[2:3], v[2:3], v[42:43]
	v_mul_f64 v[42:43], v[6:7], v[2:3]
	v_fma_f64 v[0:1], -v[0:1], v[42:43], v[6:7]
	v_div_fmas_f64 v[0:1], v[0:1], v[2:3], v[42:43]
	v_div_fixup_f64 v[2:3], v[0:1], v[38:39], 0
	v_fmac_f64_e32 v[38:39], 0, v[2:3]
	v_div_scale_f64 v[0:1], s[28:29], v[38:39], v[38:39], 1.0
	v_rcp_f64_e32 v[6:7], v[0:1]
	v_fma_f64 v[42:43], -v[0:1], v[6:7], 1.0
	v_fmac_f64_e32 v[6:7], v[6:7], v[42:43]
	v_fma_f64 v[42:43], -v[0:1], v[6:7], 1.0
	v_fmac_f64_e32 v[6:7], v[6:7], v[42:43]
	v_div_scale_f64 v[42:43], vcc, 1.0, v[38:39], 1.0
	v_mul_f64 v[60:61], v[42:43], v[6:7]
	v_fma_f64 v[0:1], -v[0:1], v[60:61], v[42:43]
	s_nop 1
	v_div_fmas_f64 v[0:1], v[0:1], v[6:7], v[60:61]
	v_div_fixup_f64 v[6:7], v[0:1], v[38:39], 1.0
	v_fma_f64 v[0:1], v[2:3], v[4:5], v[40:41]
	v_fma_f64 v[2:3], -v[2:3], v[40:41], v[4:5]
	v_mul_f64 v[0:1], v[6:7], v[0:1]
	v_mul_f64 v[2:3], v[6:7], v[2:3]
.LBB125_34:                             ;   in Loop: Header=BB125_10 Depth=1
	s_or_b64 exec, exec, s[8:9]
.LBB125_35:                             ;   in Loop: Header=BB125_10 Depth=1
	s_or_b64 exec, exec, s[26:27]
	ds_write_b64 v46, v[36:37]
	ds_write2_b64 v47, v[0:1], v[2:3] offset1:1
.LBB125_36:                             ;   in Loop: Header=BB125_10 Depth=1
	s_or_b64 exec, exec, s[14:15]
	s_and_b64 s[8:9], s[2:3], s[6:7]
	s_waitcnt lgkmcnt(0)
	s_barrier
	s_and_saveexec_b64 s[14:15], s[8:9]
	s_cbranch_execz .LBB125_44
; %bb.37:                               ;   in Loop: Header=BB125_10 Depth=1
	ds_read_b64 v[36:37], v46
	ds_read2_b64 v[0:3], v47 offset1:1
	s_andn2_b64 vcc, exec, s[24:25]
	s_cbranch_vccnz .LBB125_41
; %bb.38:                               ;   in Loop: Header=BB125_10 Depth=1
	v_add_u32_e32 v4, s20, v10
	v_add_u32_e32 v10, v4, v15
	v_lshlrev_b64 v[6:7], 4, v[10:11]
	v_mov_b32_e32 v5, s23
	v_add_co_u32_e32 v6, vcc, s22, v6
	flat_load_dwordx4 v[32:35], v[18:19]
	v_addc_co_u32_e32 v7, vcc, v5, v7, vcc
	flat_load_dwordx4 v[38:41], v[6:7]
	s_waitcnt vmcnt(0) lgkmcnt(0)
	v_mul_f64 v[42:43], v[0:1], v[32:33]
	v_fma_f64 v[60:61], v[2:3], v[34:35], -v[42:43]
	v_mul_f64 v[62:63], v[0:1], v[34:35]
	v_mul_f64 v[64:65], v[2:3], v[40:41]
	;; [unrolled: 1-line block ×3, first 2 shown]
	v_fmac_f64_e32 v[64:65], v[0:1], v[38:39]
	v_fma_f64 v[66:67], v[0:1], v[40:41], -v[42:43]
	v_fma_f64 v[62:63], v[32:33], -v[2:3], -v[62:63]
	v_fmac_f64_e32 v[64:65], v[36:37], v[32:33]
	v_fmac_f64_e32 v[66:67], v[36:37], v[34:35]
	;; [unrolled: 1-line block ×4, first 2 shown]
	flat_store_dwordx4 v[18:19], v[64:67]
	flat_store_dwordx4 v[6:7], v[60:63]
	s_and_saveexec_b64 s[26:27], s[4:5]
	s_cbranch_execz .LBB125_40
; %bb.39:                               ;   in Loop: Header=BB125_10 Depth=1
	v_add_u32_e32 v10, v4, v48
	v_lshlrev_b64 v[4:5], 4, v[10:11]
	v_mov_b32_e32 v6, s23
	v_add_co_u32_e32 v42, vcc, s22, v4
	v_addc_co_u32_e32 v43, vcc, v6, v5, vcc
	flat_load_dwordx4 v[32:35], v[20:21]
	flat_load_dwordx4 v[4:7], v[42:43]
	s_waitcnt vmcnt(0) lgkmcnt(0)
	v_mul_f64 v[38:39], v[0:1], v[32:33]
	v_mul_f64 v[60:61], v[2:3], v[6:7]
	;; [unrolled: 1-line block ×4, first 2 shown]
	v_fmac_f64_e32 v[60:61], v[0:1], v[4:5]
	v_fma_f64 v[62:63], v[0:1], v[6:7], -v[62:63]
	v_fma_f64 v[38:39], v[2:3], v[34:35], -v[38:39]
	v_fma_f64 v[40:41], v[32:33], -v[2:3], -v[40:41]
	v_fmac_f64_e32 v[60:61], v[36:37], v[32:33]
	v_fmac_f64_e32 v[62:63], v[36:37], v[34:35]
	;; [unrolled: 1-line block ×4, first 2 shown]
	flat_store_dwordx4 v[20:21], v[60:63]
	flat_store_dwordx4 v[42:43], v[38:41]
.LBB125_40:                             ;   in Loop: Header=BB125_10 Depth=1
	s_or_b64 exec, exec, s[26:27]
.LBB125_41:                             ;   in Loop: Header=BB125_10 Depth=1
	v_add_u32_e32 v32, v59, v9
	v_ashrrev_i32_e32 v33, 31, v32
	v_lshlrev_b64 v[32:33], 4, v[32:33]
	v_mov_b32_e32 v10, s33
	v_add_co_u32_e32 v42, vcc, s18, v32
	v_addc_co_u32_e32 v43, vcc, v10, v33, vcc
	global_load_dwordx4 v[4:7], v[22:23], off
	global_load_dwordx4 v[32:35], v[42:43], off
	s_waitcnt vmcnt(0) lgkmcnt(0)
	v_mul_f64 v[38:39], v[0:1], v[4:5]
	v_mul_f64 v[60:61], v[2:3], v[34:35]
	v_mul_f64 v[62:63], v[2:3], v[32:33]
	v_mul_f64 v[40:41], v[0:1], v[6:7]
	v_fmac_f64_e32 v[60:61], v[0:1], v[32:33]
	v_fma_f64 v[62:63], v[0:1], v[34:35], -v[62:63]
	v_fma_f64 v[38:39], v[2:3], v[6:7], -v[38:39]
	v_fma_f64 v[40:41], v[4:5], -v[2:3], -v[40:41]
	v_fmac_f64_e32 v[60:61], v[36:37], v[4:5]
	v_fmac_f64_e32 v[62:63], v[36:37], v[6:7]
	v_fmac_f64_e32 v[38:39], v[36:37], v[32:33]
	v_fmac_f64_e32 v[40:41], v[36:37], v[34:35]
	global_store_dwordx4 v[22:23], v[60:63], off
	global_store_dwordx4 v[42:43], v[38:41], off
	s_and_saveexec_b64 s[26:27], s[4:5]
	s_cbranch_execz .LBB125_43
; %bb.42:                               ;   in Loop: Header=BB125_10 Depth=1
	v_add_u32_e32 v32, v59, v44
	v_ashrrev_i32_e32 v33, 31, v32
	v_lshlrev_b64 v[32:33], 4, v[32:33]
	v_mov_b32_e32 v10, s33
	v_add_co_u32_e32 v42, vcc, s18, v32
	v_addc_co_u32_e32 v43, vcc, v10, v33, vcc
	global_load_dwordx4 v[4:7], v[24:25], off
	global_load_dwordx4 v[32:35], v[42:43], off
	s_waitcnt vmcnt(1)
	v_mul_f64 v[38:39], v[0:1], v[4:5]
	s_waitcnt vmcnt(0)
	v_mul_f64 v[60:61], v[2:3], v[34:35]
	v_mul_f64 v[62:63], v[2:3], v[32:33]
	;; [unrolled: 1-line block ×3, first 2 shown]
	v_fmac_f64_e32 v[60:61], v[0:1], v[32:33]
	v_fma_f64 v[62:63], v[0:1], v[34:35], -v[62:63]
	v_fma_f64 v[38:39], v[2:3], v[6:7], -v[38:39]
	v_fma_f64 v[40:41], v[4:5], -v[2:3], -v[40:41]
	v_fmac_f64_e32 v[60:61], v[36:37], v[4:5]
	v_fmac_f64_e32 v[62:63], v[36:37], v[6:7]
	;; [unrolled: 1-line block ×4, first 2 shown]
	global_store_dwordx4 v[24:25], v[60:63], off
	global_store_dwordx4 v[42:43], v[38:41], off
.LBB125_43:                             ;   in Loop: Header=BB125_10 Depth=1
	s_or_b64 exec, exec, s[26:27]
	v_xor_b32_e32 v33, 0x80000000, v3
	v_mov_b32_e32 v32, v2
	v_pk_mov_b32 v[34:35], v[0:1], v[0:1] op_sel:[0,1]
.LBB125_44:                             ;   in Loop: Header=BB125_10 Depth=1
	s_or_b64 exec, exec, s[14:15]
	s_barrier
	s_and_saveexec_b64 s[14:15], s[8:9]
	s_cbranch_execz .LBB125_47
; %bb.45:                               ;   in Loop: Header=BB125_10 Depth=1
	v_add_u32_e32 v38, v58, v49
	v_ashrrev_i32_e32 v39, 31, v38
	v_lshlrev_b64 v[38:39], 4, v[38:39]
	v_add_co_u32_e32 v42, vcc, s18, v38
	v_mov_b32_e32 v10, s33
	v_addc_co_u32_e32 v43, vcc, v10, v39, vcc
	global_load_dwordx4 v[4:7], v[26:27], off
	global_load_dwordx4 v[38:41], v[42:43], off
	s_waitcnt vmcnt(0)
	v_mul_f64 v[60:61], v[2:3], v[40:41]
	v_mul_f64 v[62:63], v[0:1], v[40:41]
	v_fma_f64 v[60:61], v[0:1], v[38:39], -v[60:61]
	v_fmac_f64_e32 v[62:63], v[2:3], v[38:39]
	v_fmac_f64_e32 v[60:61], v[36:37], v[4:5]
	;; [unrolled: 1-line block ×3, first 2 shown]
	global_store_dwordx4 v[26:27], v[60:63], off
	s_nop 0
	v_mul_f64 v[60:61], v[34:35], v[4:5]
	v_fma_f64 v[60:61], v[32:33], v[6:7], -v[60:61]
	v_mul_f64 v[6:7], v[34:35], v[6:7]
	v_fma_f64 v[62:63], v[4:5], -v[32:33], -v[6:7]
	v_fmac_f64_e32 v[60:61], v[36:37], v[38:39]
	v_fmac_f64_e32 v[62:63], v[36:37], v[40:41]
	global_store_dwordx4 v[42:43], v[60:63], off
	s_and_b64 exec, exec, s[4:5]
	s_cbranch_execz .LBB125_47
; %bb.46:                               ;   in Loop: Header=BB125_10 Depth=1
	v_add_u32_e32 v38, v58, v50
	v_ashrrev_i32_e32 v39, 31, v38
	v_lshlrev_b64 v[38:39], 4, v[38:39]
	v_add_co_u32_e32 v42, vcc, s18, v38
	v_mov_b32_e32 v10, s33
	v_addc_co_u32_e32 v43, vcc, v10, v39, vcc
	global_load_dwordx4 v[4:7], v[28:29], off
	global_load_dwordx4 v[38:41], v[42:43], off
	s_waitcnt vmcnt(0)
	v_mul_f64 v[60:61], v[2:3], v[40:41]
	v_mul_f64 v[62:63], v[0:1], v[40:41]
	v_fma_f64 v[60:61], v[0:1], v[38:39], -v[60:61]
	v_fmac_f64_e32 v[62:63], v[2:3], v[38:39]
	v_fmac_f64_e32 v[60:61], v[36:37], v[4:5]
	;; [unrolled: 1-line block ×3, first 2 shown]
	global_store_dwordx4 v[28:29], v[60:63], off
	s_nop 0
	v_mul_f64 v[60:61], v[34:35], v[4:5]
	v_fma_f64 v[60:61], v[32:33], v[6:7], -v[60:61]
	v_mul_f64 v[6:7], v[34:35], v[6:7]
	v_fma_f64 v[62:63], v[4:5], -v[32:33], -v[6:7]
	v_fmac_f64_e32 v[60:61], v[36:37], v[38:39]
	v_fmac_f64_e32 v[62:63], v[36:37], v[40:41]
	global_store_dwordx4 v[42:43], v[60:63], off
.LBB125_47:                             ;   in Loop: Header=BB125_10 Depth=1
	s_or_b64 exec, exec, s[14:15]
	s_and_b64 s[8:9], s[0:1], s[6:7]
	s_barrier
	s_and_saveexec_b64 s[6:7], s[8:9]
	s_cbranch_execz .LBB125_9
; %bb.48:                               ;   in Loop: Header=BB125_10 Depth=1
	v_mad_u64_u32 v[4:5], s[8:9], v58, s19, v[14:15]
	v_ashrrev_i32_e32 v5, 31, v4
	v_lshlrev_b64 v[4:5], 4, v[4:5]
	v_mov_b32_e32 v10, s33
	v_add_co_u32_e32 v38, vcc, s18, v4
	s_mov_b32 s13, s12
	v_addc_co_u32_e32 v39, vcc, v10, v5, vcc
	s_mov_b32 s14, s12
	s_mov_b32 s15, s12
	v_pk_mov_b32 v[4:5], s[12:13], s[12:13] op_sel:[0,1]
	v_pk_mov_b32 v[6:7], s[14:15], s[14:15] op_sel:[0,1]
	global_store_dwordx4 v[38:39], v[4:7], off
	v_add_u32_e32 v38, v58, v45
	v_ashrrev_i32_e32 v39, 31, v38
	v_lshlrev_b64 v[38:39], 4, v[38:39]
	v_add_co_u32_e32 v38, vcc, s18, v38
	v_addc_co_u32_e32 v39, vcc, v10, v39, vcc
	global_store_dwordx4 v[38:39], v[4:7], off
	s_branch .LBB125_9
.LBB125_49:
	s_endpgm
	.section	.rodata,"a",@progbits
	.p2align	6, 0x0
	.amdhsa_kernel _ZN9rocsolver6v33100L21syevj_offd_kernel_orgI19rocblas_complex_numIdEdPS3_EEviiT1_iilT0_PT_PiS9_S9_
		.amdhsa_group_segment_fixed_size 0
		.amdhsa_private_segment_fixed_size 0
		.amdhsa_kernarg_size 328
		.amdhsa_user_sgpr_count 6
		.amdhsa_user_sgpr_private_segment_buffer 1
		.amdhsa_user_sgpr_dispatch_ptr 0
		.amdhsa_user_sgpr_queue_ptr 0
		.amdhsa_user_sgpr_kernarg_segment_ptr 1
		.amdhsa_user_sgpr_dispatch_id 0
		.amdhsa_user_sgpr_flat_scratch_init 0
		.amdhsa_user_sgpr_kernarg_preload_length 0
		.amdhsa_user_sgpr_kernarg_preload_offset 0
		.amdhsa_user_sgpr_private_segment_size 0
		.amdhsa_uses_dynamic_stack 0
		.amdhsa_system_sgpr_private_segment_wavefront_offset 0
		.amdhsa_system_sgpr_workgroup_id_x 1
		.amdhsa_system_sgpr_workgroup_id_y 0
		.amdhsa_system_sgpr_workgroup_id_z 1
		.amdhsa_system_sgpr_workgroup_info 0
		.amdhsa_system_vgpr_workitem_id 1
		.amdhsa_next_free_vgpr 68
		.amdhsa_next_free_sgpr 40
		.amdhsa_accum_offset 68
		.amdhsa_reserve_vcc 1
		.amdhsa_reserve_flat_scratch 0
		.amdhsa_float_round_mode_32 0
		.amdhsa_float_round_mode_16_64 0
		.amdhsa_float_denorm_mode_32 3
		.amdhsa_float_denorm_mode_16_64 3
		.amdhsa_dx10_clamp 1
		.amdhsa_ieee_mode 1
		.amdhsa_fp16_overflow 0
		.amdhsa_tg_split 0
		.amdhsa_exception_fp_ieee_invalid_op 0
		.amdhsa_exception_fp_denorm_src 0
		.amdhsa_exception_fp_ieee_div_zero 0
		.amdhsa_exception_fp_ieee_overflow 0
		.amdhsa_exception_fp_ieee_underflow 0
		.amdhsa_exception_fp_ieee_inexact 0
		.amdhsa_exception_int_div_zero 0
	.end_amdhsa_kernel
	.section	.text._ZN9rocsolver6v33100L21syevj_offd_kernel_orgI19rocblas_complex_numIdEdPS3_EEviiT1_iilT0_PT_PiS9_S9_,"axG",@progbits,_ZN9rocsolver6v33100L21syevj_offd_kernel_orgI19rocblas_complex_numIdEdPS3_EEviiT1_iilT0_PT_PiS9_S9_,comdat
.Lfunc_end125:
	.size	_ZN9rocsolver6v33100L21syevj_offd_kernel_orgI19rocblas_complex_numIdEdPS3_EEviiT1_iilT0_PT_PiS9_S9_, .Lfunc_end125-_ZN9rocsolver6v33100L21syevj_offd_kernel_orgI19rocblas_complex_numIdEdPS3_EEviiT1_iilT0_PT_PiS9_S9_
                                        ; -- End function
	.section	.AMDGPU.csdata,"",@progbits
; Kernel info:
; codeLenInByte = 4244
; NumSgprs: 44
; NumVgprs: 68
; NumAgprs: 0
; TotalNumVgprs: 68
; ScratchSize: 0
; MemoryBound: 0
; FloatMode: 240
; IeeeMode: 1
; LDSByteSize: 0 bytes/workgroup (compile time only)
; SGPRBlocks: 5
; VGPRBlocks: 8
; NumSGPRsForWavesPerEU: 44
; NumVGPRsForWavesPerEU: 68
; AccumOffset: 68
; Occupancy: 7
; WaveLimiterHint : 0
; COMPUTE_PGM_RSRC2:SCRATCH_EN: 0
; COMPUTE_PGM_RSRC2:USER_SGPR: 6
; COMPUTE_PGM_RSRC2:TRAP_HANDLER: 0
; COMPUTE_PGM_RSRC2:TGID_X_EN: 1
; COMPUTE_PGM_RSRC2:TGID_Y_EN: 0
; COMPUTE_PGM_RSRC2:TGID_Z_EN: 1
; COMPUTE_PGM_RSRC2:TIDIG_COMP_CNT: 1
; COMPUTE_PGM_RSRC3_GFX90A:ACCUM_OFFSET: 16
; COMPUTE_PGM_RSRC3_GFX90A:TG_SPLIT: 0
	.section	.text._ZN9rocsolver6v33100L17syevj_offd_kernelI19rocblas_complex_numIdEdPS3_EEviiT1_iilT0_PT_PiS9_S9_i,"axG",@progbits,_ZN9rocsolver6v33100L17syevj_offd_kernelI19rocblas_complex_numIdEdPS3_EEviiT1_iilT0_PT_PiS9_S9_i,comdat
	.globl	_ZN9rocsolver6v33100L17syevj_offd_kernelI19rocblas_complex_numIdEdPS3_EEviiT1_iilT0_PT_PiS9_S9_i ; -- Begin function _ZN9rocsolver6v33100L17syevj_offd_kernelI19rocblas_complex_numIdEdPS3_EEviiT1_iilT0_PT_PiS9_S9_i
	.p2align	8
	.type	_ZN9rocsolver6v33100L17syevj_offd_kernelI19rocblas_complex_numIdEdPS3_EEviiT1_iilT0_PT_PiS9_S9_i,@function
_ZN9rocsolver6v33100L17syevj_offd_kernelI19rocblas_complex_numIdEdPS3_EEviiT1_iilT0_PT_PiS9_S9_i: ; @_ZN9rocsolver6v33100L17syevj_offd_kernelI19rocblas_complex_numIdEdPS3_EEviiT1_iilT0_PT_PiS9_S9_i
; %bb.0:
	s_mov_b32 s28, s7
	s_load_dwordx2 s[30:31], s[4:5], 0x0
	s_load_dword s7, s[4:5], 0x48
	s_waitcnt lgkmcnt(0)
	s_abs_i32 s0, s30
	v_cvt_f32_u32_e32 v1, s0
	s_cmp_ge_u32 s28, s7
	v_rcp_iflag_f32_e32 v1, v1
	v_mul_f32_e32 v1, 0x4f7ffffe, v1
	v_cvt_u32_f32_e32 v1, v1
	v_readfirstlane_b32 s1, v1
	s_cbranch_scc1 .LBB126_92
; %bb.1:
	s_sub_i32 s8, 0, s0
	s_mul_i32 s8, s8, s1
	s_add_i32 s2, s31, -1
	s_mul_hi_u32 s8, s1, s8
	s_ashr_i32 s3, s2, 31
	s_abs_i32 s2, s2
	s_add_i32 s1, s1, s8
	s_ashr_i32 s21, s30, 31
	s_mul_hi_u32 s1, s2, s1
	s_xor_b32 s3, s3, s21
	s_mul_i32 s21, s1, s0
	s_sub_i32 s2, s2, s21
	s_add_i32 s21, s1, 1
	s_sub_i32 s22, s2, s0
	s_cmp_ge_u32 s2, s0
	s_cselect_b32 s1, s21, s1
	s_cselect_b32 s2, s22, s2
	s_add_i32 s21, s1, 1
	s_cmp_ge_u32 s2, s0
	s_cselect_b32 s0, s21, s1
	s_xor_b32 s0, s0, s3
	s_sub_i32 s33, s0, s3
	s_add_i32 s0, s33, 1
	s_lshr_b32 s1, s0, 31
	s_add_i32 s1, s0, s1
	s_and_b32 s1, s1, -2
	s_sub_i32 s1, s0, s1
	s_add_i32 s0, s1, s0
	s_lshr_b32 s1, s0, 31
	s_add_i32 s0, s0, s1
	s_ashr_i32 s62, s0, 1
	s_lshl_b32 s0, s30, 3
	s_load_dwordx4 s[8:11], s[4:5], 0x8
	s_load_dwordx8 s[12:19], s[4:5], 0x18
	s_load_dwordx2 s[34:35], s[4:5], 0x58
	s_load_dwordx4 s[24:27], s[4:5], 0x38
	s_load_dword s63, s[4:5], 0x50
	s_add_i32 s21, s0, 0
	s_lshl_b32 s0, s30, 4
	s_add_i32 s65, s21, s0
	s_mov_b64 s[0:1], src_shared_base
	s_lshl_b32 s67, s30, 1
	s_mov_b32 s66, s1
	s_mul_hi_i32 s1, s67, s67
	s_mul_i32 s0, s67, s67
	s_waitcnt lgkmcnt(0)
	s_lshr_b32 s64, s35, 16
	s_and_b32 s35, s35, 0xffff
	s_mul_i32 s3, s30, 24
	s_lshl_b64 s[0:1], s[0:1], 4
	s_mul_hi_i32 s2, s30, 24
	s_add_u32 s0, s0, s3
	s_addc_u32 s1, s1, s2
	s_mul_i32 s2, s30, s30
	v_and_b32_e32 v20, 0x3ff, v0
	v_bfe_u32 v21, v0, 10, 10
	v_mov_b32_e32 v0, 0x10000
	s_lshl_b32 s68, s2, 2
	s_mov_b32 s2, 0
	v_mov_b32_e32 v1, 0
	s_mov_b32 s3, 0x100000
	v_cmp_gt_u64_e64 s[0:1], s[0:1], v[0:1]
	v_pk_mov_b32 v[0:1], s[2:3], s[2:3] op_sel:[0,1]
	v_div_scale_f64 v[2:3], s[4:5], s[14:15], s[14:15], v[0:1]
	v_rcp_f64_e32 v[4:5], v[2:3]
	s_ashr_i32 s23, s10, 31
	s_mov_b32 s22, s10
	s_cmp_lt_u32 s6, s62
	v_fma_f64 v[6:7], -v[2:3], v[4:5], 1.0
	v_fmac_f64_e32 v[4:5], v[4:5], v[6:7]
	v_fma_f64 v[6:7], -v[2:3], v[4:5], 1.0
	v_fmac_f64_e32 v[4:5], v[4:5], v[6:7]
	v_pk_mov_b32 v[6:7], s[14:15], s[14:15] op_sel:[0,1]
	v_div_scale_f64 v[6:7], vcc, s[2:3], v[6:7], s[2:3]
	v_mul_f64 v[8:9], v[6:7], v[4:5]
	v_fma_f64 v[2:3], -v[2:3], v[8:9], v[6:7]
	s_mul_i32 s10, s33, s30
	s_nop 0
	v_div_fmas_f64 v[2:3], v[2:3], v[4:5], v[8:9]
	v_div_fixup_f64 v[12:13], v[2:3], s[14:15], v[0:1]
	v_cvt_f32_u32_e32 v0, s30
	s_cselect_b64 s[36:37], -1, 0
	s_sub_i32 s69, s31, s10
	s_cmp_lg_u64 s[16:17], 0
	v_rcp_iflag_f32_e32 v0, v0
	s_cselect_b64 s[38:39], -1, 0
	s_cmp_gt_i32 s30, 0
	s_cselect_b64 s[14:15], -1, 0
	s_ashr_i32 s70, s11, 31
	v_mul_f32_e32 v0, 0x4f7ffffe, v0
	s_add_u32 s72, s26, 4
	v_cvt_u32_f32_e32 v0, v0
	s_mov_b32 s71, s11
	s_addc_u32 s73, s27, 0
	s_lshl_b64 s[10:11], s[22:23], 4
	s_add_u32 s74, s8, s10
	s_addc_u32 s75, s9, s11
	s_sub_i32 s76, 0, s30
	v_mul_lo_u32 v1, s76, v0
	v_mul_hi_u32 v1, v0, v1
	v_add_u32_e32 v22, v0, v1
	v_mul_lo_u32 v0, v21, s30
	v_lshlrev_b32_e32 v23, 1, v0
	v_add_u32_e32 v0, s30, v21
	s_mul_i32 s8, s30, s64
	v_mul_lo_u32 v0, s30, v0
	s_mov_b32 s26, 0
	s_mov_b32 s20, 0
	v_cmp_gt_u32_e64 s[2:3], s30, v21
	v_cmp_gt_u32_e64 s[4:5], s30, v20
	v_mov_b32_e32 v3, 0
	s_lshl_b32 s77, s8, 1
	v_lshl_add_u32 v24, v20, 3, 0
	s_lshl_b32 s78, s35, 3
	v_lshl_add_u32 v25, v20, 4, s21
	s_lshl_b32 s79, s35, 4
	v_add_u32_e32 v26, v20, v23
	v_lshl_add_u32 v27, v0, 1, v20
	s_brev_b32 s27, 8
	v_mov_b32_e32 v28, 0x260
	s_movk_i32 s80, 0x204
	v_mov_b32_e32 v29, 0xffffff80
	s_branch .LBB126_3
.LBB126_2:                              ;   in Loop: Header=BB126_3 Depth=1
	s_add_i32 s28, s28, s34
	s_cmp_ge_u32 s28, s7
	s_cbranch_scc1 .LBB126_92
.LBB126_3:                              ; =>This Loop Header: Depth=1
                                        ;     Child Loop BB126_8 Depth 2
                                        ;       Child Loop BB126_16 Depth 3
                                        ;         Child Loop BB126_18 Depth 4
                                        ;       Child Loop BB126_23 Depth 3
                                        ;         Child Loop BB126_26 Depth 4
                                        ;           Child Loop BB126_31 Depth 5
                                        ;         Child Loop BB126_58 Depth 4
                                        ;           Child Loop BB126_61 Depth 5
	;; [unrolled: 2-line block ×4, first 2 shown]
                                        ;       Child Loop BB126_89 Depth 3
                                        ;         Child Loop BB126_91 Depth 4
	s_mov_b32 s29, s20
	s_lshl_b64 s[8:9], s[28:29], 2
	s_add_u32 s8, s72, s8
	s_addc_u32 s9, s73, s9
	global_load_dword v0, v3, s[8:9]
	s_waitcnt vmcnt(0)
	v_cmp_ne_u32_e32 vcc, 0, v0
	s_cbranch_vccnz .LBB126_2
; %bb.4:                                ;   in Loop: Header=BB126_3 Depth=1
	s_andn2_b64 vcc, exec, s[36:37]
	s_cbranch_vccnz .LBB126_2
; %bb.5:                                ;   in Loop: Header=BB126_3 Depth=1
	s_mul_i32 s8, s28, s13
	s_mul_hi_u32 s9, s28, s12
	s_add_i32 s9, s9, s8
	s_mul_i32 s8, s28, s12
	s_lshl_b64 s[8:9], s[8:9], 4
	s_add_u32 s29, s74, s8
	s_addc_u32 s81, s75, s9
	s_mul_i32 s82, s28, s62
	s_mov_b32 s40, s6
	s_branch .LBB126_8
.LBB126_6:                              ;   in Loop: Header=BB126_8 Depth=2
	s_or_b64 exec, exec, s[22:23]
	s_waitcnt lgkmcnt(0)
	s_barrier
.LBB126_7:                              ;   in Loop: Header=BB126_8 Depth=2
	s_add_i32 s40, s40, s63
	s_cmp_lt_u32 s40, s62
	s_cbranch_scc0 .LBB126_2
.LBB126_8:                              ;   Parent Loop BB126_3 Depth=1
                                        ; =>  This Loop Header: Depth=2
                                        ;       Child Loop BB126_16 Depth 3
                                        ;         Child Loop BB126_18 Depth 4
                                        ;       Child Loop BB126_23 Depth 3
                                        ;         Child Loop BB126_26 Depth 4
                                        ;           Child Loop BB126_31 Depth 5
                                        ;         Child Loop BB126_58 Depth 4
                                        ;           Child Loop BB126_61 Depth 5
	;; [unrolled: 2-line block ×4, first 2 shown]
                                        ;       Child Loop BB126_89 Depth 3
                                        ;         Child Loop BB126_91 Depth 4
	s_mov_b32 s41, s20
	s_lshl_b64 s[8:9], s[40:41], 2
	s_add_u32 s10, s18, s8
	s_addc_u32 s11, s19, s9
	s_add_u32 s8, s24, s8
	s_addc_u32 s9, s25, s9
	global_load_dword v0, v3, s[10:11]
	global_load_dword v1, v3, s[8:9]
	s_waitcnt vmcnt(0)
	v_readfirstlane_b32 s8, v0
	s_waitcnt vmcnt(0)
	v_readfirstlane_b32 s9, v1
	s_max_i32 s84, s8, s9
	s_cmp_gt_i32 s84, s33
	s_cbranch_scc1 .LBB126_7
; %bb.9:                                ;   in Loop: Header=BB126_8 Depth=2
	s_andn2_b64 vcc, exec, s[38:39]
	s_cbranch_vccnz .LBB126_11
; %bb.10:                               ;   in Loop: Header=BB126_8 Depth=2
	s_add_i32 s8, s40, s82
	s_mul_i32 s8, s68, s8
	s_mov_b32 s9, s20
	s_lshl_b64 s[8:9], s[8:9], 4
	s_add_u32 s42, s16, s8
	s_addc_u32 s43, s17, s9
	s_branch .LBB126_12
.LBB126_11:                             ;   in Loop: Header=BB126_8 Depth=2
	s_mov_b64 s[42:43], 0
.LBB126_12:                             ;   in Loop: Header=BB126_8 Depth=2
	v_min_i32_e32 v4, v1, v0
	v_mov_b32_e32 v0, s30
	v_mov_b32_e32 v1, s69
	v_cmp_eq_u32_e32 vcc, s33, v4
	s_cmp_eq_u32 s33, s84
	v_cndmask_b32_e32 v0, v0, v1, vcc
	s_cselect_b32 s8, s69, s30
	v_add_u32_e32 v30, s8, v0
	s_and_b64 s[8:9], s[0:1], exec
	s_cselect_b32 s41, s43, s66
	s_cselect_b32 s83, s42, s65
	s_cmp_eq_u64 s[42:43], 0
	s_cselect_b64 s[44:45], -1, 0
	s_cmp_lg_u64 s[42:43], 0
	s_cselect_b64 s[46:47], -1, 0
	s_and_b64 vcc, exec, s[44:45]
	s_cbranch_vccnz .LBB126_20
; %bb.13:                               ;   in Loop: Header=BB126_8 Depth=2
	v_cmp_lt_u32_e32 vcc, v21, v30
	s_barrier
	s_and_saveexec_b64 s[22:23], vcc
	s_cbranch_execz .LBB126_19
; %bb.14:                               ;   in Loop: Header=BB126_8 Depth=2
	v_cmp_lt_u32_e32 vcc, v20, v30
	s_mov_b64 s[48:49], 0
	v_mov_b32_e32 v5, v23
	v_mov_b32_e32 v6, v21
	s_branch .LBB126_16
.LBB126_15:                             ;   in Loop: Header=BB126_16 Depth=3
	s_or_b64 exec, exec, s[50:51]
	v_add_u32_e32 v6, s64, v6
	v_cmp_ge_u32_e64 s[8:9], v6, v30
	s_or_b64 s[48:49], s[8:9], s[48:49]
	v_add_u32_e32 v5, s77, v5
	s_andn2_b64 exec, exec, s[48:49]
	s_cbranch_execz .LBB126_19
.LBB126_16:                             ;   Parent Loop BB126_3 Depth=1
                                        ;     Parent Loop BB126_8 Depth=2
                                        ; =>    This Loop Header: Depth=3
                                        ;         Child Loop BB126_18 Depth 4
	s_and_saveexec_b64 s[50:51], vcc
	s_cbranch_execz .LBB126_15
; %bb.17:                               ;   in Loop: Header=BB126_16 Depth=3
	s_mov_b64 s[52:53], 0
	v_mov_b32_e32 v7, v20
.LBB126_18:                             ;   Parent Loop BB126_3 Depth=1
                                        ;     Parent Loop BB126_8 Depth=2
                                        ;       Parent Loop BB126_16 Depth=3
                                        ; =>      This Inner Loop Header: Depth=4
	v_add_u32_e32 v2, v5, v7
	v_cmp_eq_u32_e64 s[8:9], v6, v7
	v_mov_b32_e32 v0, 0x3ff00000
	v_add_u32_e32 v7, s35, v7
	v_lshlrev_b64 v[8:9], 4, v[2:3]
	v_cndmask_b32_e64 v1, 0, v0, s[8:9]
	v_mov_b32_e32 v10, s41
	v_cmp_ge_u32_e64 s[8:9], v7, v30
	v_add_co_u32_e64 v8, s[10:11], s83, v8
	v_mov_b32_e32 v0, v3
	v_mov_b32_e32 v2, v3
	v_addc_co_u32_e64 v9, s[10:11], v10, v9, s[10:11]
	s_or_b64 s[52:53], s[8:9], s[52:53]
	flat_store_dwordx4 v[8:9], v[0:3]
	s_andn2_b64 exec, exec, s[52:53]
	s_cbranch_execnz .LBB126_18
	s_branch .LBB126_15
.LBB126_19:                             ;   in Loop: Header=BB126_8 Depth=2
	s_or_b64 exec, exec, s[22:23]
	s_waitcnt lgkmcnt(0)
	s_barrier
.LBB126_20:                             ;   in Loop: Header=BB126_8 Depth=2
	s_andn2_b64 vcc, exec, s[14:15]
	s_cbranch_vccnz .LBB126_85
; %bb.21:                               ;   in Loop: Header=BB126_8 Depth=2
	v_mul_lo_u32 v31, v4, s30
	s_mul_i32 s84, s84, s30
	v_add_u32_e32 v32, v20, v31
	s_mov_b32 s85, 0
	v_mov_b32_e32 v33, v20
	s_branch .LBB126_23
.LBB126_22:                             ;   in Loop: Header=BB126_23 Depth=3
	s_or_b64 exec, exec, s[10:11]
	s_add_i32 s85, s85, 1
	s_cmp_eq_u32 s85, s30
	v_add_u32_e32 v33, 1, v33
	s_cbranch_scc1 .LBB126_85
.LBB126_23:                             ;   Parent Loop BB126_3 Depth=1
                                        ;     Parent Loop BB126_8 Depth=2
                                        ; =>    This Loop Header: Depth=3
                                        ;         Child Loop BB126_26 Depth 4
                                        ;           Child Loop BB126_31 Depth 5
                                        ;         Child Loop BB126_58 Depth 4
                                        ;           Child Loop BB126_61 Depth 5
	;; [unrolled: 2-line block ×4, first 2 shown]
	s_and_saveexec_b64 s[22:23], s[2:3]
	s_cbranch_execz .LBB126_55
; %bb.24:                               ;   in Loop: Header=BB126_23 Depth=3
	s_mov_b64 s[48:49], 0
	v_mov_b32_e32 v34, v21
	s_branch .LBB126_26
.LBB126_25:                             ;   in Loop: Header=BB126_26 Depth=4
	s_or_b64 exec, exec, s[50:51]
	v_add_u32_e32 v34, s64, v34
	v_cmp_le_u32_e32 vcc, s30, v34
	s_or_b64 s[48:49], vcc, s[48:49]
	s_andn2_b64 exec, exec, s[48:49]
	s_cbranch_execz .LBB126_55
.LBB126_26:                             ;   Parent Loop BB126_3 Depth=1
                                        ;     Parent Loop BB126_8 Depth=2
                                        ;       Parent Loop BB126_23 Depth=3
                                        ; =>      This Loop Header: Depth=4
                                        ;           Child Loop BB126_31 Depth 5
	s_and_saveexec_b64 s[50:51], s[4:5]
	s_cbranch_execz .LBB126_25
; %bb.27:                               ;   in Loop: Header=BB126_26 Depth=4
	v_cmp_eq_u32_e64 s[8:9], 0, v34
	s_mov_b64 s[52:53], 0
	v_mov_b32_e32 v35, v25
	v_mov_b32_e32 v36, v24
	;; [unrolled: 1-line block ×4, first 2 shown]
	s_branch .LBB126_31
.LBB126_28:                             ;   in Loop: Header=BB126_31 Depth=5
	s_or_b64 exec, exec, s[10:11]
.LBB126_29:                             ;   in Loop: Header=BB126_31 Depth=5
	s_or_b64 exec, exec, s[56:57]
	ds_write_b64 v36, v[14:15]
	ds_write2_b64 v35, v[8:9], v[18:19] offset1:1
.LBB126_30:                             ;   in Loop: Header=BB126_31 Depth=5
	s_or_b64 exec, exec, s[54:55]
	v_add_u32_e32 v38, s35, v38
	v_cmp_le_u32_e32 vcc, s30, v38
	v_add_u32_e32 v37, s35, v37
	v_add_u32_e32 v36, s78, v36
	s_or_b64 s[52:53], vcc, s[52:53]
	v_add_u32_e32 v35, s79, v35
	s_andn2_b64 exec, exec, s[52:53]
	s_cbranch_execz .LBB126_25
.LBB126_31:                             ;   Parent Loop BB126_3 Depth=1
                                        ;     Parent Loop BB126_8 Depth=2
                                        ;       Parent Loop BB126_23 Depth=3
                                        ;         Parent Loop BB126_26 Depth=4
                                        ; =>        This Inner Loop Header: Depth=5
	v_mul_hi_u32 v1, v22, v37
	v_add_u32_e32 v0, s85, v38
	v_not_b32_e32 v6, v1
	v_mad_u64_u32 v[4:5], s[10:11], s76, v1, v[0:1]
	v_mad_u64_u32 v[0:1], s[10:11], s30, v6, v[0:1]
	v_cmp_le_u32_e32 vcc, s30, v4
	v_cndmask_b32_e32 v0, v4, v0, vcc
	v_subrev_u32_e32 v1, s30, v0
	v_cmp_le_u32_e32 vcc, s30, v0
	v_add_u32_e32 v2, v31, v38
	v_cndmask_b32_e32 v0, v0, v1, vcc
	v_add_u32_e32 v10, s84, v0
	v_cmp_gt_u32_e32 vcc, s31, v2
	s_and_b64 s[10:11], s[8:9], vcc
	v_cmp_gt_u32_e32 vcc, s31, v10
	s_and_b64 s[10:11], s[10:11], vcc
	s_and_saveexec_b64 s[54:55], s[10:11]
	s_cbranch_execz .LBB126_30
; %bb.32:                               ;   in Loop: Header=BB126_31 Depth=5
	v_mad_u64_u32 v[0:1], s[10:11], v10, s71, 0
	v_mov_b32_e32 v4, v1
	v_mad_u64_u32 v[4:5], s[10:11], v10, s70, v[4:5]
	v_mov_b32_e32 v1, v4
	v_lshlrev_b64 v[0:1], 4, v[0:1]
	v_mov_b32_e32 v4, s81
	v_add_co_u32_e32 v39, vcc, s29, v0
	v_addc_co_u32_e32 v40, vcc, v4, v1, vcc
	v_lshlrev_b64 v[16:17], 4, v[2:3]
	v_add_co_u32_e32 v0, vcc, v39, v16
	v_addc_co_u32_e32 v1, vcc, v40, v17, vcc
	global_load_dwordx4 v[4:7], v[0:1], off
	s_waitcnt vmcnt(0)
	v_xor_b32_e32 v0, 0x80000000, v5
	v_cmp_gt_f64_e32 vcc, 0, v[4:5]
	v_xor_b32_e32 v1, 0x80000000, v7
	v_cndmask_b32_e32 v9, v5, v0, vcc
	v_cmp_gt_f64_e32 vcc, 0, v[6:7]
	v_mov_b32_e32 v8, v4
	v_cndmask_b32_e32 v15, v7, v1, vcc
	v_mov_b32_e32 v14, v6
	v_cmp_ngt_f64_e32 vcc, v[8:9], v[14:15]
                                        ; implicit-def: $vgpr0_vgpr1
	s_and_saveexec_b64 s[10:11], vcc
	s_xor_b64 s[10:11], exec, s[10:11]
	s_cbranch_execz .LBB126_36
; %bb.33:                               ;   in Loop: Header=BB126_31 Depth=5
	v_cmp_neq_f64_e32 vcc, 0, v[6:7]
	v_pk_mov_b32 v[0:1], 0, 0
	s_and_saveexec_b64 s[56:57], vcc
	s_cbranch_execz .LBB126_35
; %bb.34:                               ;   in Loop: Header=BB126_31 Depth=5
	v_div_scale_f64 v[0:1], s[58:59], v[14:15], v[14:15], v[8:9]
	v_rcp_f64_e32 v[18:19], v[0:1]
	v_div_scale_f64 v[42:43], vcc, v[8:9], v[14:15], v[8:9]
	v_fma_f64 v[44:45], -v[0:1], v[18:19], 1.0
	v_fmac_f64_e32 v[18:19], v[18:19], v[44:45]
	v_fma_f64 v[44:45], -v[0:1], v[18:19], 1.0
	v_fmac_f64_e32 v[18:19], v[18:19], v[44:45]
	v_mul_f64 v[44:45], v[42:43], v[18:19]
	v_fma_f64 v[0:1], -v[0:1], v[44:45], v[42:43]
	v_div_fmas_f64 v[0:1], v[0:1], v[18:19], v[44:45]
	v_div_fixup_f64 v[0:1], v[0:1], v[14:15], v[8:9]
	v_fma_f64 v[0:1], v[0:1], v[0:1], 1.0
	v_cmp_gt_f64_e32 vcc, s[26:27], v[0:1]
	v_cndmask_b32_e64 v8, 0, 1, vcc
	v_lshlrev_b32_e32 v8, 8, v8
	v_ldexp_f64 v[0:1], v[0:1], v8
	v_rsq_f64_e32 v[8:9], v[0:1]
	v_mul_f64 v[18:19], v[0:1], v[8:9]
	v_mul_f64 v[8:9], v[8:9], 0.5
	v_fma_f64 v[42:43], -v[8:9], v[18:19], 0.5
	v_fmac_f64_e32 v[18:19], v[18:19], v[42:43]
	v_fma_f64 v[44:45], -v[18:19], v[18:19], v[0:1]
	v_fmac_f64_e32 v[8:9], v[8:9], v[42:43]
	v_fmac_f64_e32 v[18:19], v[44:45], v[8:9]
	v_fma_f64 v[42:43], -v[18:19], v[18:19], v[0:1]
	v_fmac_f64_e32 v[18:19], v[42:43], v[8:9]
	v_cndmask_b32_e32 v8, 0, v29, vcc
	v_ldexp_f64 v[8:9], v[18:19], v8
	v_cmp_class_f64_e32 vcc, v[0:1], v28
	v_cndmask_b32_e32 v1, v9, v1, vcc
	v_cndmask_b32_e32 v0, v8, v0, vcc
	v_mul_f64 v[0:1], v[14:15], v[0:1]
.LBB126_35:                             ;   in Loop: Header=BB126_31 Depth=5
	s_or_b64 exec, exec, s[56:57]
                                        ; implicit-def: $vgpr8_vgpr9
                                        ; implicit-def: $vgpr14_vgpr15
.LBB126_36:                             ;   in Loop: Header=BB126_31 Depth=5
	s_andn2_saveexec_b64 s[10:11], s[10:11]
	s_cbranch_execz .LBB126_38
; %bb.37:                               ;   in Loop: Header=BB126_31 Depth=5
	v_div_scale_f64 v[0:1], s[56:57], v[8:9], v[8:9], v[14:15]
	v_rcp_f64_e32 v[18:19], v[0:1]
	v_div_scale_f64 v[42:43], vcc, v[14:15], v[8:9], v[14:15]
	v_fma_f64 v[44:45], -v[0:1], v[18:19], 1.0
	v_fmac_f64_e32 v[18:19], v[18:19], v[44:45]
	v_fma_f64 v[44:45], -v[0:1], v[18:19], 1.0
	v_fmac_f64_e32 v[18:19], v[18:19], v[44:45]
	v_mul_f64 v[44:45], v[42:43], v[18:19]
	v_fma_f64 v[0:1], -v[0:1], v[44:45], v[42:43]
	v_div_fmas_f64 v[0:1], v[0:1], v[18:19], v[44:45]
	v_div_fixup_f64 v[0:1], v[0:1], v[8:9], v[14:15]
	v_fma_f64 v[0:1], v[0:1], v[0:1], 1.0
	v_cmp_gt_f64_e32 vcc, s[26:27], v[0:1]
	v_cndmask_b32_e64 v11, 0, 1, vcc
	v_lshlrev_b32_e32 v11, 8, v11
	v_ldexp_f64 v[0:1], v[0:1], v11
	v_rsq_f64_e32 v[14:15], v[0:1]
	v_cndmask_b32_e32 v11, 0, v29, vcc
	v_cmp_class_f64_e32 vcc, v[0:1], v28
	v_mul_f64 v[18:19], v[0:1], v[14:15]
	v_mul_f64 v[14:15], v[14:15], 0.5
	v_fma_f64 v[42:43], -v[14:15], v[18:19], 0.5
	v_fmac_f64_e32 v[18:19], v[18:19], v[42:43]
	v_fma_f64 v[44:45], -v[18:19], v[18:19], v[0:1]
	v_fmac_f64_e32 v[14:15], v[14:15], v[42:43]
	v_fmac_f64_e32 v[18:19], v[44:45], v[14:15]
	v_fma_f64 v[42:43], -v[18:19], v[18:19], v[0:1]
	v_fmac_f64_e32 v[18:19], v[42:43], v[14:15]
	v_ldexp_f64 v[14:15], v[18:19], v11
	v_cndmask_b32_e32 v1, v15, v1, vcc
	v_cndmask_b32_e32 v0, v14, v0, vcc
	v_mul_f64 v[0:1], v[8:9], v[0:1]
.LBB126_38:                             ;   in Loop: Header=BB126_31 Depth=5
	s_or_b64 exec, exec, s[10:11]
	v_mul_f64 v[8:9], v[0:1], v[0:1]
	v_mov_b32_e32 v14, 0
	v_pk_mov_b32 v[18:19], 0, 0
	v_cmp_nlt_f64_e32 vcc, v[8:9], v[12:13]
	v_mov_b32_e32 v15, 0x3ff00000
	v_pk_mov_b32 v[8:9], v[18:19], v[18:19] op_sel:[0,1]
	s_and_saveexec_b64 s[56:57], vcc
	s_cbranch_execz .LBB126_29
; %bb.39:                               ;   in Loop: Header=BB126_31 Depth=5
	v_mov_b32_e32 v11, v3
	v_lshlrev_b64 v[8:9], 4, v[10:11]
	v_mad_u64_u32 v[10:11], s[10:11], v2, s71, 0
	v_mov_b32_e32 v14, v11
	v_mad_u64_u32 v[14:15], s[10:11], v2, s70, v[14:15]
	v_add_co_u32_e32 v8, vcc, v39, v8
	v_mov_b32_e32 v11, v14
	v_addc_co_u32_e32 v9, vcc, v40, v9, vcc
	v_lshlrev_b64 v[10:11], 4, v[10:11]
	v_mov_b32_e32 v2, s81
	v_add_co_u32_e32 v10, vcc, s29, v10
	v_addc_co_u32_e32 v2, vcc, v2, v11, vcc
	v_add_co_u32_e32 v10, vcc, v10, v16
	v_addc_co_u32_e32 v11, vcc, v2, v17, vcc
	global_load_dwordx2 v[10:11], v[10:11], off
	s_nop 0
	global_load_dwordx2 v[14:15], v[8:9], off
	v_add_f64 v[8:9], v[0:1], v[0:1]
	s_waitcnt vmcnt(0)
	v_add_f64 v[10:11], v[14:15], -v[10:11]
	v_max_f64 v[14:15], |v[10:11]|, |v[8:9]|
	v_frexp_exp_i32_f64_e32 v2, v[14:15]
	v_sub_u32_e32 v16, 0, v2
	v_ldexp_f64 v[14:15], |v[10:11]|, v16
	v_ldexp_f64 v[16:17], |v[8:9]|, v16
	v_mul_f64 v[16:17], v[16:17], v[16:17]
	v_fmac_f64_e32 v[16:17], v[14:15], v[14:15]
	v_rsq_f64_e32 v[14:15], v[16:17]
	v_cmp_eq_f64_e64 s[10:11], 0, v[16:17]
	v_cmp_ngt_f64_e32 vcc, 0, v[10:11]
	v_cmp_class_f64_e64 s[58:59], v[10:11], s80
	v_mul_f64 v[18:19], v[16:17], v[14:15]
	v_mul_f64 v[14:15], v[14:15], 0.5
	v_fma_f64 v[40:41], -v[14:15], v[18:19], 0.5
	v_fmac_f64_e32 v[18:19], v[18:19], v[40:41]
	v_fmac_f64_e32 v[14:15], v[14:15], v[40:41]
	v_fma_f64 v[40:41], -v[18:19], v[18:19], v[16:17]
	v_fmac_f64_e32 v[18:19], v[40:41], v[14:15]
	v_cndmask_b32_e64 v15, v19, v17, s[10:11]
	v_cndmask_b32_e64 v14, v18, v16, s[10:11]
	v_cmp_class_f64_e64 s[10:11], v[8:9], s80
                                        ; implicit-def: $vgpr16_vgpr17
	s_and_saveexec_b64 s[60:61], vcc
	s_xor_b64 s[60:61], exec, s[60:61]
; %bb.40:                               ;   in Loop: Header=BB126_31 Depth=5
	v_ldexp_f64 v[14:15], v[14:15], v2
	v_cmp_o_f64_e32 vcc, v[10:11], v[8:9]
	v_cndmask_b32_e32 v2, 0, v14, vcc
	v_mov_b32_e32 v14, 0x7ff80000
	v_cndmask_b32_e32 v14, v14, v15, vcc
	s_or_b64 vcc, s[10:11], s[58:59]
	v_mov_b32_e32 v15, 0x7ff00000
	v_cndmask_b32_e32 v17, v14, v15, vcc
	v_cndmask_b32_e64 v16, v2, 0, vcc
                                        ; implicit-def: $vgpr14_vgpr15
                                        ; implicit-def: $vgpr2
; %bb.41:                               ;   in Loop: Header=BB126_31 Depth=5
	s_andn2_saveexec_b64 s[60:61], s[60:61]
; %bb.42:                               ;   in Loop: Header=BB126_31 Depth=5
	v_ldexp_f64 v[14:15], -v[14:15], v2
	v_cmp_o_f64_e32 vcc, v[8:9], v[8:9]
	v_cndmask_b32_e32 v2, 0, v14, vcc
	v_mov_b32_e32 v14, 0xfff80000
	v_cndmask_b32_e32 v14, v14, v15, vcc
	s_or_b64 vcc, s[10:11], s[58:59]
	v_mov_b32_e32 v15, 0xfff00000
	v_cndmask_b32_e32 v17, v14, v15, vcc
	v_cndmask_b32_e64 v16, v2, 0, vcc
; %bb.43:                               ;   in Loop: Header=BB126_31 Depth=5
	s_or_b64 exec, exec, s[60:61]
	v_mov_b32_e32 v14, 0
	v_cmp_neq_f64_e32 vcc, 0, v[8:9]
	v_pk_mov_b32 v[18:19], 0, 0
	v_mov_b32_e32 v15, 0x3ff00000
	s_and_saveexec_b64 s[10:11], vcc
	s_cbranch_execz .LBB126_51
; %bb.44:                               ;   in Loop: Header=BB126_31 Depth=5
	v_add_f64 v[10:11], v[10:11], v[16:17]
	v_mov_b32_e32 v18, 0
	v_cmp_neq_f64_e32 vcc, 0, v[10:11]
	v_pk_mov_b32 v[14:15], 0, 0
	v_mov_b32_e32 v19, 0x3ff00000
	s_and_saveexec_b64 s[58:59], vcc
	s_cbranch_execz .LBB126_50
; %bb.45:                               ;   in Loop: Header=BB126_31 Depth=5
	v_cmp_ngt_f64_e64 s[60:61], |v[8:9]|, |v[10:11]|
                                        ; implicit-def: $vgpr14_vgpr15
                                        ; implicit-def: $vgpr18_vgpr19
	s_and_saveexec_b64 s[86:87], s[60:61]
	s_xor_b64 s[60:61], exec, s[86:87]
	s_cbranch_execz .LBB126_47
; %bb.46:                               ;   in Loop: Header=BB126_31 Depth=5
	v_div_scale_f64 v[14:15], s[86:87], v[10:11], v[10:11], -v[8:9]
	v_rcp_f64_e32 v[16:17], v[14:15]
	v_div_scale_f64 v[18:19], vcc, -v[8:9], v[10:11], -v[8:9]
	v_fma_f64 v[40:41], -v[14:15], v[16:17], 1.0
	v_fmac_f64_e32 v[16:17], v[16:17], v[40:41]
	v_fma_f64 v[40:41], -v[14:15], v[16:17], 1.0
	v_fmac_f64_e32 v[16:17], v[16:17], v[40:41]
	v_mul_f64 v[40:41], v[18:19], v[16:17]
	v_fma_f64 v[14:15], -v[14:15], v[40:41], v[18:19]
	v_div_fmas_f64 v[14:15], v[14:15], v[16:17], v[40:41]
	v_div_fixup_f64 v[8:9], v[14:15], v[10:11], -v[8:9]
	v_fma_f64 v[10:11], v[8:9], v[8:9], 1.0
	v_cmp_gt_f64_e32 vcc, s[26:27], v[10:11]
	v_cndmask_b32_e64 v2, 0, 1, vcc
	v_lshlrev_b32_e32 v2, 8, v2
	v_ldexp_f64 v[10:11], v[10:11], v2
	v_rsq_f64_e32 v[14:15], v[10:11]
	v_cndmask_b32_e32 v2, 0, v29, vcc
	v_cmp_class_f64_e32 vcc, v[10:11], v28
	v_mul_f64 v[16:17], v[10:11], v[14:15]
	v_mul_f64 v[14:15], v[14:15], 0.5
	v_fma_f64 v[18:19], -v[14:15], v[16:17], 0.5
	v_fmac_f64_e32 v[16:17], v[16:17], v[18:19]
	v_fma_f64 v[40:41], -v[16:17], v[16:17], v[10:11]
	v_fmac_f64_e32 v[14:15], v[14:15], v[18:19]
	v_fmac_f64_e32 v[16:17], v[40:41], v[14:15]
	v_fma_f64 v[18:19], -v[16:17], v[16:17], v[10:11]
	v_fmac_f64_e32 v[16:17], v[18:19], v[14:15]
	v_ldexp_f64 v[14:15], v[16:17], v2
	v_cndmask_b32_e32 v11, v15, v11, vcc
	v_cndmask_b32_e32 v10, v14, v10, vcc
	v_div_scale_f64 v[14:15], s[86:87], v[10:11], v[10:11], 1.0
	v_rcp_f64_e32 v[16:17], v[14:15]
	v_fma_f64 v[18:19], -v[14:15], v[16:17], 1.0
	v_fmac_f64_e32 v[16:17], v[16:17], v[18:19]
	v_fma_f64 v[18:19], -v[14:15], v[16:17], 1.0
	v_fmac_f64_e32 v[16:17], v[16:17], v[18:19]
	v_div_scale_f64 v[18:19], vcc, 1.0, v[10:11], 1.0
	v_mul_f64 v[40:41], v[18:19], v[16:17]
	v_fma_f64 v[14:15], -v[14:15], v[40:41], v[18:19]
	s_nop 1
	v_div_fmas_f64 v[14:15], v[14:15], v[16:17], v[40:41]
	v_div_fixup_f64 v[14:15], v[14:15], v[10:11], 1.0
	v_mul_f64 v[18:19], v[8:9], v[14:15]
                                        ; implicit-def: $vgpr8_vgpr9
                                        ; implicit-def: $vgpr10_vgpr11
.LBB126_47:                             ;   in Loop: Header=BB126_31 Depth=5
	s_andn2_saveexec_b64 s[60:61], s[60:61]
	s_cbranch_execz .LBB126_49
; %bb.48:                               ;   in Loop: Header=BB126_31 Depth=5
	v_div_scale_f64 v[14:15], s[86:87], v[8:9], v[8:9], -v[10:11]
	v_rcp_f64_e32 v[16:17], v[14:15]
	v_div_scale_f64 v[18:19], vcc, -v[10:11], v[8:9], -v[10:11]
	v_fma_f64 v[40:41], -v[14:15], v[16:17], 1.0
	v_fmac_f64_e32 v[16:17], v[16:17], v[40:41]
	v_fma_f64 v[40:41], -v[14:15], v[16:17], 1.0
	v_fmac_f64_e32 v[16:17], v[16:17], v[40:41]
	v_mul_f64 v[40:41], v[18:19], v[16:17]
	v_fma_f64 v[14:15], -v[14:15], v[40:41], v[18:19]
	v_div_fmas_f64 v[14:15], v[14:15], v[16:17], v[40:41]
	v_div_fixup_f64 v[8:9], v[14:15], v[8:9], -v[10:11]
	v_fma_f64 v[10:11], v[8:9], v[8:9], 1.0
	v_cmp_gt_f64_e32 vcc, s[26:27], v[10:11]
	v_cndmask_b32_e64 v2, 0, 1, vcc
	v_lshlrev_b32_e32 v2, 8, v2
	v_ldexp_f64 v[10:11], v[10:11], v2
	v_rsq_f64_e32 v[14:15], v[10:11]
	v_cndmask_b32_e32 v2, 0, v29, vcc
	v_cmp_class_f64_e32 vcc, v[10:11], v28
	v_mul_f64 v[16:17], v[10:11], v[14:15]
	v_mul_f64 v[14:15], v[14:15], 0.5
	v_fma_f64 v[18:19], -v[14:15], v[16:17], 0.5
	v_fmac_f64_e32 v[16:17], v[16:17], v[18:19]
	v_fma_f64 v[40:41], -v[16:17], v[16:17], v[10:11]
	v_fmac_f64_e32 v[14:15], v[14:15], v[18:19]
	v_fmac_f64_e32 v[16:17], v[40:41], v[14:15]
	v_fma_f64 v[18:19], -v[16:17], v[16:17], v[10:11]
	v_fmac_f64_e32 v[16:17], v[18:19], v[14:15]
	v_ldexp_f64 v[14:15], v[16:17], v2
	v_cndmask_b32_e32 v11, v15, v11, vcc
	v_cndmask_b32_e32 v10, v14, v10, vcc
	v_div_scale_f64 v[14:15], s[86:87], v[10:11], v[10:11], 1.0
	v_rcp_f64_e32 v[16:17], v[14:15]
	v_fma_f64 v[18:19], -v[14:15], v[16:17], 1.0
	v_fmac_f64_e32 v[16:17], v[16:17], v[18:19]
	v_fma_f64 v[18:19], -v[14:15], v[16:17], 1.0
	v_fmac_f64_e32 v[16:17], v[16:17], v[18:19]
	v_div_scale_f64 v[18:19], vcc, 1.0, v[10:11], 1.0
	v_mul_f64 v[40:41], v[18:19], v[16:17]
	v_fma_f64 v[14:15], -v[14:15], v[40:41], v[18:19]
	s_nop 1
	v_div_fmas_f64 v[14:15], v[14:15], v[16:17], v[40:41]
	v_div_fixup_f64 v[18:19], v[14:15], v[10:11], 1.0
	v_mul_f64 v[14:15], v[8:9], v[18:19]
.LBB126_49:                             ;   in Loop: Header=BB126_31 Depth=5
	s_or_b64 exec, exec, s[60:61]
.LBB126_50:                             ;   in Loop: Header=BB126_31 Depth=5
	s_or_b64 exec, exec, s[58:59]
.LBB126_51:                             ;   in Loop: Header=BB126_31 Depth=5
	s_or_b64 exec, exec, s[10:11]
	v_xor_b32_e32 v2, 0x80000000, v1
	v_cmp_gt_f64_e32 vcc, 0, v[0:1]
	v_mul_f64 v[16:17], v[4:5], v[18:19]
	v_mul_f64 v[4:5], v[6:7], v[18:19]
	v_cndmask_b32_e32 v7, v1, v2, vcc
	v_cndmask_b32_e32 v6, v0, v0, vcc
	v_cmp_nlt_f64_e32 vcc, 0, v[6:7]
                                        ; implicit-def: $vgpr18_vgpr19
	s_and_saveexec_b64 s[10:11], vcc
	s_xor_b64 s[10:11], exec, s[10:11]
                                        ; implicit-def: $vgpr8_vgpr9_vgpr10_vgpr11
	s_cbranch_execz .LBB126_53
; %bb.52:                               ;   in Loop: Header=BB126_31 Depth=5
	v_div_scale_f64 v[6:7], s[58:59], 0, 0, v[0:1]
	v_rcp_f64_e32 v[8:9], v[6:7]
	v_div_scale_f64 v[10:11], vcc, v[0:1], 0, v[0:1]
	v_fma_f64 v[18:19], -v[6:7], v[8:9], 1.0
	v_fmac_f64_e32 v[8:9], v[8:9], v[18:19]
	v_fma_f64 v[18:19], -v[6:7], v[8:9], 1.0
	v_fmac_f64_e32 v[8:9], v[8:9], v[18:19]
	v_mul_f64 v[18:19], v[10:11], v[8:9]
	v_fma_f64 v[6:7], -v[6:7], v[18:19], v[10:11]
	v_div_fmas_f64 v[6:7], v[6:7], v[8:9], v[18:19]
	v_div_fixup_f64 v[6:7], v[6:7], 0, v[0:1]
	v_fma_f64 v[0:1], v[0:1], v[6:7], 0
	v_div_scale_f64 v[8:9], s[58:59], v[0:1], v[0:1], 1.0
	v_rcp_f64_e32 v[10:11], v[8:9]
	v_fma_f64 v[18:19], -v[8:9], v[10:11], 1.0
	v_fmac_f64_e32 v[10:11], v[10:11], v[18:19]
	v_fma_f64 v[18:19], -v[8:9], v[10:11], 1.0
	v_fmac_f64_e32 v[10:11], v[10:11], v[18:19]
	v_div_scale_f64 v[18:19], vcc, 1.0, v[0:1], 1.0
	v_mul_f64 v[40:41], v[18:19], v[10:11]
	v_fma_f64 v[8:9], -v[8:9], v[40:41], v[18:19]
	s_nop 1
	v_div_fmas_f64 v[8:9], v[8:9], v[10:11], v[40:41]
	v_div_fixup_f64 v[0:1], v[8:9], v[0:1], 1.0
	v_fma_f64 v[8:9], v[6:7], v[16:17], v[4:5]
	v_fma_f64 v[4:5], v[6:7], v[4:5], -v[16:17]
	v_mul_f64 v[8:9], v[0:1], v[8:9]
	v_mul_f64 v[18:19], v[0:1], v[4:5]
                                        ; implicit-def: $vgpr0_vgpr1
                                        ; implicit-def: $vgpr4_vgpr5
                                        ; implicit-def: $vgpr16_vgpr17
.LBB126_53:                             ;   in Loop: Header=BB126_31 Depth=5
	s_andn2_saveexec_b64 s[10:11], s[10:11]
	s_cbranch_execz .LBB126_28
; %bb.54:                               ;   in Loop: Header=BB126_31 Depth=5
	v_div_scale_f64 v[6:7], s[58:59], v[0:1], v[0:1], 0
	v_rcp_f64_e32 v[8:9], v[6:7]
	v_div_scale_f64 v[10:11], vcc, 0, v[0:1], 0
	v_fma_f64 v[18:19], -v[6:7], v[8:9], 1.0
	v_fmac_f64_e32 v[8:9], v[8:9], v[18:19]
	v_fma_f64 v[18:19], -v[6:7], v[8:9], 1.0
	v_fmac_f64_e32 v[8:9], v[8:9], v[18:19]
	v_mul_f64 v[18:19], v[10:11], v[8:9]
	v_fma_f64 v[6:7], -v[6:7], v[18:19], v[10:11]
	v_div_fmas_f64 v[6:7], v[6:7], v[8:9], v[18:19]
	v_div_fixup_f64 v[6:7], v[6:7], v[0:1], 0
	v_fmac_f64_e32 v[0:1], 0, v[6:7]
	v_div_scale_f64 v[8:9], s[58:59], v[0:1], v[0:1], 1.0
	v_rcp_f64_e32 v[10:11], v[8:9]
	v_fma_f64 v[18:19], -v[8:9], v[10:11], 1.0
	v_fmac_f64_e32 v[10:11], v[10:11], v[18:19]
	v_fma_f64 v[18:19], -v[8:9], v[10:11], 1.0
	v_fmac_f64_e32 v[10:11], v[10:11], v[18:19]
	v_div_scale_f64 v[18:19], vcc, 1.0, v[0:1], 1.0
	v_mul_f64 v[40:41], v[18:19], v[10:11]
	v_fma_f64 v[8:9], -v[8:9], v[40:41], v[18:19]
	s_nop 1
	v_div_fmas_f64 v[8:9], v[8:9], v[10:11], v[40:41]
	v_div_fixup_f64 v[0:1], v[8:9], v[0:1], 1.0
	v_fma_f64 v[8:9], v[6:7], v[4:5], v[16:17]
	v_fma_f64 v[4:5], -v[6:7], v[16:17], v[4:5]
	v_mul_f64 v[8:9], v[0:1], v[8:9]
	v_mul_f64 v[18:19], v[0:1], v[4:5]
	s_branch .LBB126_28
.LBB126_55:                             ;   in Loop: Header=BB126_23 Depth=3
	s_or_b64 exec, exec, s[22:23]
	s_waitcnt lgkmcnt(0)
	s_barrier
	s_and_saveexec_b64 s[10:11], s[2:3]
	s_cbranch_execz .LBB126_68
; %bb.56:                               ;   in Loop: Header=BB126_23 Depth=3
	s_mov_b64 s[22:23], 0
	v_mov_b32_e32 v14, v27
	v_mov_b32_e32 v15, v26
	;; [unrolled: 1-line block ×3, first 2 shown]
	s_branch .LBB126_58
.LBB126_57:                             ;   in Loop: Header=BB126_58 Depth=4
	s_or_b64 exec, exec, s[48:49]
	v_add_u32_e32 v16, s64, v16
	v_cmp_le_u32_e32 vcc, s30, v16
	v_add_u32_e32 v15, s77, v15
	s_or_b64 s[22:23], vcc, s[22:23]
	v_add_u32_e32 v14, s77, v14
	s_andn2_b64 exec, exec, s[22:23]
	s_cbranch_execz .LBB126_68
.LBB126_58:                             ;   Parent Loop BB126_3 Depth=1
                                        ;     Parent Loop BB126_8 Depth=2
                                        ;       Parent Loop BB126_23 Depth=3
                                        ; =>      This Loop Header: Depth=4
                                        ;           Child Loop BB126_61 Depth 5
	s_and_saveexec_b64 s[48:49], s[4:5]
	s_cbranch_execz .LBB126_57
; %bb.59:                               ;   in Loop: Header=BB126_58 Depth=4
	v_add_u32_e32 v2, v16, v31
	v_add_u32_e32 v4, s84, v16
	;; [unrolled: 1-line block ×3, first 2 shown]
	v_mov_b32_e32 v5, v3
	v_mul_lo_u32 v17, v16, s67
	v_cmp_gt_u32_e64 s[8:9], s31, v4
	v_mul_lo_u32 v18, v0, s67
	s_mov_b32 s21, 0
	s_mov_b64 s[50:51], 0
	v_lshlrev_b64 v[0:1], 4, v[2:3]
	v_lshlrev_b64 v[8:9], 4, v[4:5]
	v_mov_b32_e32 v19, v25
	v_mov_b32_e32 v34, v24
	;; [unrolled: 1-line block ×3, first 2 shown]
	s_branch .LBB126_61
.LBB126_60:                             ;   in Loop: Header=BB126_61 Depth=5
	s_or_b64 exec, exec, s[52:53]
	s_add_i32 s21, s21, s35
	v_add_u32_e32 v2, s21, v20
	v_cmp_le_u32_e32 vcc, s30, v2
	v_add_u32_e32 v35, s35, v35
	v_add_u32_e32 v34, s78, v34
	s_or_b64 s[50:51], vcc, s[50:51]
	v_add_u32_e32 v19, s79, v19
	s_andn2_b64 exec, exec, s[50:51]
	s_cbranch_execz .LBB126_57
.LBB126_61:                             ;   Parent Loop BB126_3 Depth=1
                                        ;     Parent Loop BB126_8 Depth=2
                                        ;       Parent Loop BB126_23 Depth=3
                                        ;         Parent Loop BB126_58 Depth=4
                                        ; =>        This Inner Loop Header: Depth=5
	v_mul_hi_u32 v2, v22, v35
	v_mul_lo_u32 v4, s30, v2
	v_sub_u32_e32 v4, s85, v4
	v_not_b32_e32 v2, v2
	v_add_u32_e32 v5, s21, v20
	v_mul_lo_u32 v2, s30, v2
	v_add_u32_e32 v4, v5, v4
	v_add3_u32 v2, s85, v2, v5
	v_cmp_le_u32_e32 vcc, s30, v4
	v_cndmask_b32_e32 v2, v4, v2, vcc
	v_subrev_u32_e32 v4, s30, v2
	v_cmp_le_u32_e32 vcc, s30, v2
	v_cndmask_b32_e32 v2, v2, v4, vcc
	v_add_u32_e32 v37, s21, v32
	v_add_u32_e32 v36, s84, v2
	v_max_u32_e32 v4, v37, v36
	v_cmp_gt_u32_e32 vcc, s31, v4
	s_and_saveexec_b64 s[52:53], vcc
	s_cbranch_execz .LBB126_60
; %bb.62:                               ;   in Loop: Header=BB126_61 Depth=5
	ds_read_b64 v[10:11], v34
	ds_read2_b64 v[4:7], v19 offset1:1
	s_andn2_b64 vcc, exec, s[46:47]
	s_cbranch_vccnz .LBB126_66
; %bb.63:                               ;   in Loop: Header=BB126_61 Depth=5
	v_add_u32_e32 v38, s30, v2
	v_add_u32_e32 v2, s21, v15
	v_lshlrev_b64 v[40:41], 4, v[2:3]
	v_mov_b32_e32 v2, s41
	v_add_co_u32_e32 v56, vcc, s83, v40
	v_addc_co_u32_e32 v57, vcc, v2, v41, vcc
	v_add_u32_e32 v2, v38, v17
	v_lshlrev_b64 v[44:45], 4, v[2:3]
	v_mov_b32_e32 v2, s41
	v_add_co_u32_e32 v58, vcc, s83, v44
	v_addc_co_u32_e32 v59, vcc, v2, v45, vcc
	flat_load_dwordx4 v[40:43], v[56:57]
	flat_load_dwordx4 v[44:47], v[58:59]
	s_waitcnt vmcnt(0) lgkmcnt(0)
	v_mul_f64 v[50:51], v[4:5], v[40:41]
	v_mul_f64 v[48:49], v[6:7], v[46:47]
	;; [unrolled: 1-line block ×4, first 2 shown]
	v_fma_f64 v[52:53], v[6:7], v[42:43], -v[50:51]
	v_fmac_f64_e32 v[48:49], v[4:5], v[44:45]
	v_fma_f64 v[50:51], v[4:5], v[46:47], -v[60:61]
	v_fma_f64 v[54:55], v[40:41], -v[6:7], -v[54:55]
	v_fmac_f64_e32 v[48:49], v[10:11], v[40:41]
	v_fmac_f64_e32 v[50:51], v[10:11], v[42:43]
	;; [unrolled: 1-line block ×4, first 2 shown]
	flat_store_dwordx4 v[56:57], v[48:51]
	flat_store_dwordx4 v[58:59], v[52:55]
	s_and_saveexec_b64 s[54:55], s[8:9]
	s_cbranch_execz .LBB126_65
; %bb.64:                               ;   in Loop: Header=BB126_61 Depth=5
	v_add_u32_e32 v2, s21, v14
	v_lshlrev_b64 v[40:41], 4, v[2:3]
	v_mov_b32_e32 v2, s41
	v_add_co_u32_e32 v56, vcc, s83, v40
	v_addc_co_u32_e32 v57, vcc, v2, v41, vcc
	v_add_u32_e32 v2, v38, v18
	v_lshlrev_b64 v[38:39], 4, v[2:3]
	v_mov_b32_e32 v2, s41
	v_add_co_u32_e32 v38, vcc, s83, v38
	v_addc_co_u32_e32 v39, vcc, v2, v39, vcc
	flat_load_dwordx4 v[40:43], v[56:57]
	flat_load_dwordx4 v[44:47], v[38:39]
	s_waitcnt vmcnt(0) lgkmcnt(0)
	v_mul_f64 v[50:51], v[4:5], v[40:41]
	v_mul_f64 v[48:49], v[6:7], v[46:47]
	;; [unrolled: 1-line block ×4, first 2 shown]
	v_fma_f64 v[52:53], v[6:7], v[42:43], -v[50:51]
	v_fmac_f64_e32 v[48:49], v[4:5], v[44:45]
	v_fma_f64 v[50:51], v[4:5], v[46:47], -v[58:59]
	v_fma_f64 v[54:55], v[40:41], -v[6:7], -v[54:55]
	v_fmac_f64_e32 v[48:49], v[10:11], v[40:41]
	v_fmac_f64_e32 v[50:51], v[10:11], v[42:43]
	;; [unrolled: 1-line block ×4, first 2 shown]
	flat_store_dwordx4 v[56:57], v[48:51]
	flat_store_dwordx4 v[38:39], v[52:55]
.LBB126_65:                             ;   in Loop: Header=BB126_61 Depth=5
	s_or_b64 exec, exec, s[54:55]
.LBB126_66:                             ;   in Loop: Header=BB126_61 Depth=5
	v_mad_u64_u32 v[38:39], s[54:55], v37, s71, 0
	v_mov_b32_e32 v2, v39
	v_mad_u64_u32 v[40:41], s[54:55], v37, s70, v[2:3]
	v_mov_b32_e32 v39, v40
	v_lshlrev_b64 v[38:39], 4, v[38:39]
	v_mov_b32_e32 v37, s81
	v_add_co_u32_e32 v2, vcc, s29, v38
	v_addc_co_u32_e32 v37, vcc, v37, v39, vcc
	v_mad_u64_u32 v[38:39], s[54:55], v36, s71, 0
	v_mov_b32_e32 v40, v39
	v_mad_u64_u32 v[40:41], s[54:55], v36, s70, v[40:41]
	v_mov_b32_e32 v39, v40
	v_lshlrev_b64 v[38:39], 4, v[38:39]
	v_mov_b32_e32 v40, s81
	v_add_co_u32_e32 v36, vcc, s29, v38
	v_addc_co_u32_e32 v38, vcc, v40, v39, vcc
	v_add_co_u32_e32 v56, vcc, v36, v0
	v_addc_co_u32_e32 v57, vcc, v38, v1, vcc
	v_add_co_u32_e32 v58, vcc, v2, v0
	global_load_dwordx4 v[40:43], v[56:57], off
	v_addc_co_u32_e32 v59, vcc, v37, v1, vcc
	global_load_dwordx4 v[44:47], v[58:59], off
	s_waitcnt vmcnt(0) lgkmcnt(0)
	v_mul_f64 v[48:49], v[6:7], v[42:43]
	v_mul_f64 v[50:51], v[6:7], v[40:41]
	v_fmac_f64_e32 v[48:49], v[4:5], v[40:41]
	v_mul_f64 v[52:53], v[4:5], v[44:45]
	v_mul_f64 v[54:55], v[4:5], v[46:47]
	v_fma_f64 v[50:51], v[4:5], v[42:43], -v[50:51]
	v_fma_f64 v[52:53], v[6:7], v[46:47], -v[52:53]
	v_fma_f64 v[54:55], v[44:45], -v[6:7], -v[54:55]
	v_fmac_f64_e32 v[48:49], v[10:11], v[44:45]
	v_fmac_f64_e32 v[50:51], v[10:11], v[46:47]
	v_fmac_f64_e32 v[52:53], v[10:11], v[40:41]
	v_fmac_f64_e32 v[54:55], v[10:11], v[42:43]
	global_store_dwordx4 v[58:59], v[48:51], off
	global_store_dwordx4 v[56:57], v[52:55], off
	s_and_b64 exec, exec, s[8:9]
	s_cbranch_execz .LBB126_60
; %bb.67:                               ;   in Loop: Header=BB126_61 Depth=5
	v_add_co_u32_e32 v50, vcc, v36, v8
	v_addc_co_u32_e32 v51, vcc, v38, v9, vcc
	v_add_co_u32_e32 v36, vcc, v2, v8
	global_load_dwordx4 v[38:41], v[50:51], off
	v_addc_co_u32_e32 v37, vcc, v37, v9, vcc
	global_load_dwordx4 v[42:45], v[36:37], off
	s_waitcnt vmcnt(1)
	v_mul_f64 v[46:47], v[6:7], v[40:41]
	v_mul_f64 v[48:49], v[6:7], v[38:39]
	v_fmac_f64_e32 v[46:47], v[4:5], v[38:39]
	s_waitcnt vmcnt(0)
	v_mul_f64 v[52:53], v[4:5], v[42:43]
	v_mul_f64 v[54:55], v[4:5], v[44:45]
	v_fma_f64 v[48:49], v[4:5], v[40:41], -v[48:49]
	v_fma_f64 v[4:5], v[6:7], v[44:45], -v[52:53]
	v_fma_f64 v[6:7], v[42:43], -v[6:7], -v[54:55]
	v_fmac_f64_e32 v[46:47], v[10:11], v[42:43]
	v_fmac_f64_e32 v[48:49], v[10:11], v[44:45]
	;; [unrolled: 1-line block ×4, first 2 shown]
	global_store_dwordx4 v[36:37], v[46:49], off
	global_store_dwordx4 v[50:51], v[4:7], off
	s_branch .LBB126_60
.LBB126_68:                             ;   in Loop: Header=BB126_23 Depth=3
	s_or_b64 exec, exec, s[10:11]
	s_barrier
	s_and_saveexec_b64 s[10:11], s[2:3]
	s_cbranch_execz .LBB126_77
; %bb.69:                               ;   in Loop: Header=BB126_23 Depth=3
	s_mov_b64 s[22:23], 0
	v_mov_b32_e32 v14, v21
	s_branch .LBB126_71
.LBB126_70:                             ;   in Loop: Header=BB126_71 Depth=4
	s_or_b64 exec, exec, s[48:49]
	v_add_u32_e32 v14, s64, v14
	v_cmp_le_u32_e32 vcc, s30, v14
	s_or_b64 s[22:23], vcc, s[22:23]
	s_andn2_b64 exec, exec, s[22:23]
	s_cbranch_execz .LBB126_77
.LBB126_71:                             ;   Parent Loop BB126_3 Depth=1
                                        ;     Parent Loop BB126_8 Depth=2
                                        ;       Parent Loop BB126_23 Depth=3
                                        ; =>      This Loop Header: Depth=4
                                        ;           Child Loop BB126_74 Depth 5
	s_and_saveexec_b64 s[48:49], s[4:5]
	s_cbranch_execz .LBB126_70
; %bb.72:                               ;   in Loop: Header=BB126_71 Depth=4
	v_add_u32_e32 v4, v14, v31
	v_mad_u64_u32 v[0:1], s[8:9], v4, s71, 0
	v_mov_b32_e32 v2, v1
	v_mad_u64_u32 v[4:5], s[8:9], v4, s70, v[2:3]
	v_mov_b32_e32 v1, v4
	v_lshlrev_b64 v[0:1], 4, v[0:1]
	v_add_u32_e32 v6, s84, v14
	v_mov_b32_e32 v2, s81
	v_add_co_u32_e32 v15, vcc, s29, v0
	v_addc_co_u32_e32 v16, vcc, v2, v1, vcc
	v_mad_u64_u32 v[0:1], s[8:9], v6, s71, 0
	v_mov_b32_e32 v2, v1
	v_mad_u64_u32 v[4:5], s[8:9], v6, s70, v[2:3]
	v_mov_b32_e32 v1, v4
	v_lshlrev_b64 v[0:1], 4, v[0:1]
	v_mov_b32_e32 v2, s81
	v_add_co_u32_e64 v17, s[8:9], s29, v0
	v_cmp_gt_u32_e32 vcc, s31, v6
	v_addc_co_u32_e64 v18, s[8:9], v2, v1, s[8:9]
	s_mov_b64 s[50:51], 0
	v_mov_b32_e32 v19, v25
	v_mov_b32_e32 v34, v24
	;; [unrolled: 1-line block ×4, first 2 shown]
	s_branch .LBB126_74
.LBB126_73:                             ;   in Loop: Header=BB126_74 Depth=5
	s_or_b64 exec, exec, s[52:53]
	v_add_u32_e32 v36, s35, v36
	v_cmp_le_u32_e64 s[8:9], s30, v36
	v_add_u32_e32 v35, s35, v35
	v_add_u32_e32 v34, s78, v34
	s_or_b64 s[50:51], s[8:9], s[50:51]
	v_add_u32_e32 v19, s79, v19
	s_andn2_b64 exec, exec, s[50:51]
	s_cbranch_execz .LBB126_70
.LBB126_74:                             ;   Parent Loop BB126_3 Depth=1
                                        ;     Parent Loop BB126_8 Depth=2
                                        ;       Parent Loop BB126_23 Depth=3
                                        ;         Parent Loop BB126_71 Depth=4
                                        ; =>        This Inner Loop Header: Depth=5
	v_mul_hi_u32 v1, v22, v35
	v_not_b32_e32 v6, v1
	v_add_u32_e32 v0, s85, v36
	v_mad_u64_u32 v[4:5], s[8:9], s76, v1, v[0:1]
	v_mad_u64_u32 v[0:1], s[8:9], s30, v6, v[0:1]
	v_cmp_le_u32_e64 s[8:9], s30, v4
	v_cndmask_b32_e64 v0, v4, v0, s[8:9]
	v_subrev_u32_e32 v1, s30, v0
	v_cmp_le_u32_e64 s[8:9], s30, v0
	v_cndmask_b32_e64 v0, v0, v1, s[8:9]
	v_add_u32_e32 v2, v31, v36
	v_add_u32_e32 v0, s84, v0
	v_max_u32_e32 v1, v2, v0
	v_cmp_gt_u32_e64 s[8:9], s31, v1
	s_and_saveexec_b64 s[52:53], s[8:9]
	s_cbranch_execz .LBB126_73
; %bb.75:                               ;   in Loop: Header=BB126_74 Depth=5
	v_lshlrev_b64 v[8:9], 4, v[2:3]
	v_add_co_u32_e64 v54, s[8:9], v15, v8
	v_mov_b32_e32 v1, v3
	v_addc_co_u32_e64 v55, s[8:9], v16, v9, s[8:9]
	v_lshlrev_b64 v[10:11], 4, v[0:1]
	v_add_co_u32_e64 v56, s[8:9], v15, v10
	v_addc_co_u32_e64 v57, s[8:9], v16, v11, s[8:9]
	global_load_dwordx4 v[38:41], v[54:55], off
	global_load_dwordx4 v[42:45], v[56:57], off
	ds_read2_b64 v[4:7], v19 offset1:1
	ds_read_b64 v[0:1], v34
	s_waitcnt vmcnt(0) lgkmcnt(0)
	v_mul_f64 v[46:47], v[6:7], v[40:41]
	v_mul_f64 v[58:59], v[6:7], v[44:45]
	;; [unrolled: 1-line block ×4, first 2 shown]
	v_fma_f64 v[50:51], v[38:39], -v[4:5], -v[46:47]
	v_fma_f64 v[46:47], v[4:5], v[42:43], -v[58:59]
	v_fmac_f64_e32 v[48:49], v[6:7], v[42:43]
	v_fma_f64 v[52:53], v[6:7], v[38:39], -v[52:53]
	v_fmac_f64_e32 v[46:47], v[0:1], v[38:39]
	v_fmac_f64_e32 v[48:49], v[0:1], v[40:41]
	;; [unrolled: 1-line block ×4, first 2 shown]
	global_store_dwordx4 v[54:55], v[46:49], off
	global_store_dwordx4 v[56:57], v[50:53], off
	s_and_b64 exec, exec, vcc
	s_cbranch_execz .LBB126_73
; %bb.76:                               ;   in Loop: Header=BB126_74 Depth=5
	v_add_co_u32_e64 v46, s[8:9], v17, v10
	v_addc_co_u32_e64 v47, s[8:9], v18, v11, s[8:9]
	v_add_co_u32_e64 v48, s[8:9], v17, v8
	global_load_dwordx4 v[38:41], v[46:47], off
	v_addc_co_u32_e64 v49, s[8:9], v18, v9, s[8:9]
	global_load_dwordx4 v[8:11], v[48:49], off
	s_waitcnt vmcnt(1)
	v_mul_f64 v[42:43], v[6:7], v[40:41]
	v_mul_f64 v[44:45], v[4:5], v[40:41]
	v_fma_f64 v[42:43], v[4:5], v[38:39], -v[42:43]
	s_waitcnt vmcnt(0)
	v_mul_f64 v[50:51], v[6:7], v[10:11]
	v_mul_f64 v[52:53], v[4:5], v[10:11]
	v_fmac_f64_e32 v[44:45], v[6:7], v[38:39]
	v_fma_f64 v[4:5], v[8:9], -v[4:5], -v[50:51]
	v_fma_f64 v[6:7], v[6:7], v[8:9], -v[52:53]
	v_fmac_f64_e32 v[42:43], v[0:1], v[8:9]
	v_fmac_f64_e32 v[44:45], v[0:1], v[10:11]
	;; [unrolled: 1-line block ×4, first 2 shown]
	global_store_dwordx4 v[48:49], v[42:45], off
	global_store_dwordx4 v[46:47], v[4:7], off
	s_branch .LBB126_73
.LBB126_77:                             ;   in Loop: Header=BB126_23 Depth=3
	s_or_b64 exec, exec, s[10:11]
	s_barrier
	s_and_saveexec_b64 s[10:11], s[2:3]
	s_cbranch_execz .LBB126_22
; %bb.78:                               ;   in Loop: Header=BB126_23 Depth=3
	s_mov_b64 s[48:49], 0
	v_mov_b32_e32 v4, v21
	s_branch .LBB126_80
.LBB126_79:                             ;   in Loop: Header=BB126_80 Depth=4
	s_or_b64 exec, exec, s[50:51]
	v_add_u32_e32 v4, s64, v4
	v_cmp_le_u32_e32 vcc, s30, v4
	s_or_b64 s[48:49], vcc, s[48:49]
	s_andn2_b64 exec, exec, s[48:49]
	s_cbranch_execz .LBB126_22
.LBB126_80:                             ;   Parent Loop BB126_3 Depth=1
                                        ;     Parent Loop BB126_8 Depth=2
                                        ;       Parent Loop BB126_23 Depth=3
                                        ; =>      This Loop Header: Depth=4
                                        ;           Child Loop BB126_83 Depth 5
	s_and_saveexec_b64 s[50:51], s[4:5]
	s_cbranch_execz .LBB126_79
; %bb.81:                               ;   in Loop: Header=BB126_80 Depth=4
	v_cmp_eq_u32_e32 vcc, 0, v4
	s_mov_b64 s[52:53], 0
	v_mov_b32_e32 v5, v33
	v_mov_b32_e32 v6, v20
	s_branch .LBB126_83
.LBB126_82:                             ;   in Loop: Header=BB126_83 Depth=5
	s_or_b64 exec, exec, s[54:55]
	v_add_u32_e32 v6, s35, v6
	v_cmp_le_u32_e64 s[8:9], s30, v6
	s_or_b64 s[52:53], s[8:9], s[52:53]
	v_add_u32_e32 v5, s35, v5
	s_andn2_b64 exec, exec, s[52:53]
	s_cbranch_execz .LBB126_79
.LBB126_83:                             ;   Parent Loop BB126_3 Depth=1
                                        ;     Parent Loop BB126_8 Depth=2
                                        ;       Parent Loop BB126_23 Depth=3
                                        ;         Parent Loop BB126_80 Depth=4
                                        ; =>        This Inner Loop Header: Depth=5
	v_mul_hi_u32 v1, v22, v5
	v_not_b32_e32 v2, v1
	v_add_u32_e32 v0, s85, v6
	v_mad_u64_u32 v[8:9], s[8:9], s76, v1, v[0:1]
	v_mad_u64_u32 v[0:1], s[8:9], s30, v2, v[0:1]
	v_cmp_le_u32_e64 s[8:9], s30, v8
	v_cndmask_b32_e64 v0, v8, v0, s[8:9]
	v_subrev_u32_e32 v1, s30, v0
	v_cmp_le_u32_e64 s[8:9], s30, v0
	v_cndmask_b32_e64 v0, v0, v1, s[8:9]
	v_add_u32_e32 v0, s84, v0
	v_cmp_gt_u32_e64 s[8:9], s31, v0
	s_and_b64 s[8:9], vcc, s[8:9]
	s_and_saveexec_b64 s[54:55], s[8:9]
	s_cbranch_execz .LBB126_82
; %bb.84:                               ;   in Loop: Header=BB126_83 Depth=5
	v_mad_u64_u32 v[8:9], s[8:9], v0, s71, 0
	v_mov_b32_e32 v10, v9
	v_mad_u64_u32 v[10:11], s[8:9], v0, s70, v[10:11]
	v_mov_b32_e32 v9, v10
	v_lshlrev_b64 v[8:9], 4, v[8:9]
	v_add_u32_e32 v2, v31, v6
	v_mov_b32_e32 v7, s81
	v_add_co_u32_e64 v10, s[8:9], s29, v8
	v_addc_co_u32_e64 v7, s[8:9], v7, v9, s[8:9]
	v_lshlrev_b64 v[8:9], 4, v[2:3]
	v_add_co_u32_e64 v14, s[8:9], v10, v8
	s_mov_b32 s21, s20
	v_addc_co_u32_e64 v15, s[8:9], v7, v9, s[8:9]
	s_mov_b32 s22, s20
	s_mov_b32 s23, s20
	v_pk_mov_b32 v[8:9], s[20:21], s[20:21] op_sel:[0,1]
	v_pk_mov_b32 v[10:11], s[22:23], s[22:23] op_sel:[0,1]
	global_store_dwordx4 v[14:15], v[8:11], off
	v_mad_u64_u32 v[14:15], s[8:9], v2, s71, 0
	v_mov_b32_e32 v16, v15
	v_mad_u64_u32 v[16:17], s[8:9], v2, s70, v[16:17]
	v_mov_b32_e32 v15, v16
	v_lshlrev_b64 v[14:15], 4, v[14:15]
	v_mov_b32_e32 v1, v3
	v_mov_b32_e32 v2, s81
	v_add_co_u32_e64 v7, s[8:9], s29, v14
	v_addc_co_u32_e64 v2, s[8:9], v2, v15, s[8:9]
	v_lshlrev_b64 v[0:1], 4, v[0:1]
	v_add_co_u32_e64 v0, s[8:9], v7, v0
	v_addc_co_u32_e64 v1, s[8:9], v2, v1, s[8:9]
	global_store_dwordx4 v[0:1], v[8:11], off
	s_branch .LBB126_82
.LBB126_85:                             ;   in Loop: Header=BB126_8 Depth=2
	s_or_b64 s[8:9], s[44:45], s[0:1]
	s_andn2_b64 vcc, exec, s[8:9]
	s_cbranch_vccz .LBB126_7
; %bb.86:                               ;   in Loop: Header=BB126_8 Depth=2
	v_cmp_lt_u32_e32 vcc, v21, v30
	s_barrier
	s_and_saveexec_b64 s[22:23], vcc
	s_cbranch_execz .LBB126_6
; %bb.87:                               ;   in Loop: Header=BB126_8 Depth=2
	v_cmp_lt_u32_e32 vcc, v20, v30
	s_mov_b64 s[44:45], 0
	v_mov_b32_e32 v0, v23
	v_mov_b32_e32 v1, v21
	s_branch .LBB126_89
.LBB126_88:                             ;   in Loop: Header=BB126_89 Depth=3
	s_or_b64 exec, exec, s[46:47]
	v_add_u32_e32 v1, s64, v1
	v_cmp_ge_u32_e64 s[8:9], v1, v30
	s_or_b64 s[44:45], s[8:9], s[44:45]
	v_add_u32_e32 v0, s77, v0
	s_andn2_b64 exec, exec, s[44:45]
	s_cbranch_execz .LBB126_6
.LBB126_89:                             ;   Parent Loop BB126_3 Depth=1
                                        ;     Parent Loop BB126_8 Depth=2
                                        ; =>    This Loop Header: Depth=3
                                        ;         Child Loop BB126_91 Depth 4
	s_and_saveexec_b64 s[46:47], vcc
	s_cbranch_execz .LBB126_88
; %bb.90:                               ;   in Loop: Header=BB126_89 Depth=3
	s_mov_b64 s[48:49], 0
	v_mov_b32_e32 v4, v20
.LBB126_91:                             ;   Parent Loop BB126_3 Depth=1
                                        ;     Parent Loop BB126_8 Depth=2
                                        ;       Parent Loop BB126_89 Depth=3
                                        ; =>      This Inner Loop Header: Depth=4
	v_add_u32_e32 v2, v0, v4
	v_lshlrev_b64 v[10:11], 4, v[2:3]
	v_mov_b32_e32 v5, s41
	v_add_co_u32_e64 v6, s[8:9], s83, v10
	v_addc_co_u32_e64 v7, s[8:9], v5, v11, s[8:9]
	flat_load_dwordx4 v[6:9], v[6:7]
	v_add_u32_e32 v4, s35, v4
	v_mov_b32_e32 v2, s43
	v_cmp_ge_u32_e64 s[8:9], v4, v30
	v_add_co_u32_e64 v10, s[10:11], s42, v10
	v_addc_co_u32_e64 v11, s[10:11], v2, v11, s[10:11]
	s_or_b64 s[48:49], s[8:9], s[48:49]
	s_waitcnt vmcnt(0) lgkmcnt(0)
	flat_store_dwordx4 v[10:11], v[6:9]
	s_andn2_b64 exec, exec, s[48:49]
	s_cbranch_execnz .LBB126_91
	s_branch .LBB126_88
.LBB126_92:
	s_endpgm
	.section	.rodata,"a",@progbits
	.p2align	6, 0x0
	.amdhsa_kernel _ZN9rocsolver6v33100L17syevj_offd_kernelI19rocblas_complex_numIdEdPS3_EEviiT1_iilT0_PT_PiS9_S9_i
		.amdhsa_group_segment_fixed_size 0
		.amdhsa_private_segment_fixed_size 0
		.amdhsa_kernarg_size 336
		.amdhsa_user_sgpr_count 6
		.amdhsa_user_sgpr_private_segment_buffer 1
		.amdhsa_user_sgpr_dispatch_ptr 0
		.amdhsa_user_sgpr_queue_ptr 0
		.amdhsa_user_sgpr_kernarg_segment_ptr 1
		.amdhsa_user_sgpr_dispatch_id 0
		.amdhsa_user_sgpr_flat_scratch_init 0
		.amdhsa_user_sgpr_kernarg_preload_length 0
		.amdhsa_user_sgpr_kernarg_preload_offset 0
		.amdhsa_user_sgpr_private_segment_size 0
		.amdhsa_uses_dynamic_stack 0
		.amdhsa_system_sgpr_private_segment_wavefront_offset 0
		.amdhsa_system_sgpr_workgroup_id_x 1
		.amdhsa_system_sgpr_workgroup_id_y 0
		.amdhsa_system_sgpr_workgroup_id_z 1
		.amdhsa_system_sgpr_workgroup_info 0
		.amdhsa_system_vgpr_workitem_id 1
		.amdhsa_next_free_vgpr 62
		.amdhsa_next_free_sgpr 88
		.amdhsa_accum_offset 64
		.amdhsa_reserve_vcc 1
		.amdhsa_reserve_flat_scratch 0
		.amdhsa_float_round_mode_32 0
		.amdhsa_float_round_mode_16_64 0
		.amdhsa_float_denorm_mode_32 3
		.amdhsa_float_denorm_mode_16_64 3
		.amdhsa_dx10_clamp 1
		.amdhsa_ieee_mode 1
		.amdhsa_fp16_overflow 0
		.amdhsa_tg_split 0
		.amdhsa_exception_fp_ieee_invalid_op 0
		.amdhsa_exception_fp_denorm_src 0
		.amdhsa_exception_fp_ieee_div_zero 0
		.amdhsa_exception_fp_ieee_overflow 0
		.amdhsa_exception_fp_ieee_underflow 0
		.amdhsa_exception_fp_ieee_inexact 0
		.amdhsa_exception_int_div_zero 0
	.end_amdhsa_kernel
	.section	.text._ZN9rocsolver6v33100L17syevj_offd_kernelI19rocblas_complex_numIdEdPS3_EEviiT1_iilT0_PT_PiS9_S9_i,"axG",@progbits,_ZN9rocsolver6v33100L17syevj_offd_kernelI19rocblas_complex_numIdEdPS3_EEviiT1_iilT0_PT_PiS9_S9_i,comdat
.Lfunc_end126:
	.size	_ZN9rocsolver6v33100L17syevj_offd_kernelI19rocblas_complex_numIdEdPS3_EEviiT1_iilT0_PT_PiS9_S9_i, .Lfunc_end126-_ZN9rocsolver6v33100L17syevj_offd_kernelI19rocblas_complex_numIdEdPS3_EEviiT1_iilT0_PT_PiS9_S9_i
                                        ; -- End function
	.section	.AMDGPU.csdata,"",@progbits
; Kernel info:
; codeLenInByte = 5856
; NumSgprs: 92
; NumVgprs: 62
; NumAgprs: 0
; TotalNumVgprs: 62
; ScratchSize: 0
; MemoryBound: 0
; FloatMode: 240
; IeeeMode: 1
; LDSByteSize: 0 bytes/workgroup (compile time only)
; SGPRBlocks: 11
; VGPRBlocks: 7
; NumSGPRsForWavesPerEU: 92
; NumVGPRsForWavesPerEU: 62
; AccumOffset: 64
; Occupancy: 8
; WaveLimiterHint : 1
; COMPUTE_PGM_RSRC2:SCRATCH_EN: 0
; COMPUTE_PGM_RSRC2:USER_SGPR: 6
; COMPUTE_PGM_RSRC2:TRAP_HANDLER: 0
; COMPUTE_PGM_RSRC2:TGID_X_EN: 1
; COMPUTE_PGM_RSRC2:TGID_Y_EN: 0
; COMPUTE_PGM_RSRC2:TGID_Z_EN: 1
; COMPUTE_PGM_RSRC2:TIDIG_COMP_CNT: 1
; COMPUTE_PGM_RSRC3_GFX90A:ACCUM_OFFSET: 15
; COMPUTE_PGM_RSRC3_GFX90A:TG_SPLIT: 0
	.section	.text._ZN9rocsolver6v33100L21syevj_offd_rotate_orgILb0E19rocblas_complex_numIdEdPS3_EEvbiiT2_iilPT0_PiS8_S8_,"axG",@progbits,_ZN9rocsolver6v33100L21syevj_offd_rotate_orgILb0E19rocblas_complex_numIdEdPS3_EEvbiiT2_iilPT0_PiS8_S8_,comdat
	.globl	_ZN9rocsolver6v33100L21syevj_offd_rotate_orgILb0E19rocblas_complex_numIdEdPS3_EEvbiiT2_iilPT0_PiS8_S8_ ; -- Begin function _ZN9rocsolver6v33100L21syevj_offd_rotate_orgILb0E19rocblas_complex_numIdEdPS3_EEvbiiT2_iilPT0_PiS8_S8_
	.p2align	8
	.type	_ZN9rocsolver6v33100L21syevj_offd_rotate_orgILb0E19rocblas_complex_numIdEdPS3_EEvbiiT2_iilPT0_PiS8_S8_,@function
_ZN9rocsolver6v33100L21syevj_offd_rotate_orgILb0E19rocblas_complex_numIdEdPS3_EEvbiiT2_iilPT0_PiS8_S8_: ; @_ZN9rocsolver6v33100L21syevj_offd_rotate_orgILb0E19rocblas_complex_numIdEdPS3_EEvbiiT2_iilPT0_PiS8_S8_
; %bb.0:
	s_load_dwordx2 s[0:1], s[4:5], 0x40
	s_ashr_i32 s9, s8, 31
	s_lshl_b64 s[2:3], s[8:9], 2
	s_waitcnt lgkmcnt(0)
	s_add_u32 s0, s0, s2
	s_addc_u32 s1, s1, s3
	s_load_dword s0, s[0:1], 0x4
	s_waitcnt lgkmcnt(0)
	s_cmp_lg_u32 s0, 0
	s_cbranch_scc0 .LBB127_2
.LBB127_1:
	s_endpgm
.LBB127_2:
	s_load_dwordx8 s[12:19], s[4:5], 0x20
	s_mov_b32 s10, s7
	s_ashr_i32 s7, s6, 31
	s_lshl_b64 s[0:1], s[6:7], 2
	s_waitcnt lgkmcnt(0)
	s_add_u32 s2, s16, s0
	s_addc_u32 s3, s17, s1
	s_add_u32 s0, s18, s0
	s_load_dword s11, s[2:3], 0x0
	s_addc_u32 s1, s19, s1
	s_load_dword s20, s[0:1], 0x0
	s_load_dwordx4 s[16:19], s[4:5], 0x0
	s_waitcnt lgkmcnt(0)
	s_max_i32 s7, s11, s20
	s_cmp_ge_i32 s7, s17
	s_cbranch_scc1 .LBB127_1
; %bb.3:
	s_add_u32 s0, s4, 0x48
	s_addc_u32 s1, s5, 0
	s_bitcmp1_b32 s16, 0
	s_cselect_b64 s[2:3], -1, 0
	s_xor_b64 s[2:3], s[2:3], -1
	s_min_i32 s17, s11, s20
	s_and_b64 vcc, exec, s[2:3]
	s_mov_b32 s16, s10
	s_cbranch_vccnz .LBB127_5
; %bb.4:
	s_lshr_b32 s2, s16, 31
	s_add_i32 s2, s16, s2
	s_ashr_i32 s10, s2, 1
	s_cmp_lg_u32 s10, s17
	s_cselect_b64 s[2:3], -1, 0
	s_cmp_lg_u32 s10, s7
	s_cselect_b64 s[10:11], -1, 0
	s_and_b64 s[2:3], s[2:3], s[10:11]
.LBB127_5:
	s_andn2_b64 vcc, exec, s[2:3]
	s_cbranch_vccnz .LBB127_1
; %bb.6:
	s_load_dword s19, s[0:1], 0xc
	v_and_b32_e32 v10, 0x3ff, v0
	v_bfe_u32 v11, v0, 10, 10
	s_waitcnt lgkmcnt(0)
	s_bfe_u32 s10, s19, 0xf0001
	s_mul_i32 s11, s7, s10
	s_mul_i32 s1, s17, s10
	s_sub_i32 s2, s11, s10
	s_lshr_b32 s0, s19, 16
	v_mov_b32_e32 v0, s2
	v_mov_b32_e32 v1, s1
	v_cmp_gt_u32_e32 vcc, s10, v10
	v_cndmask_b32_e32 v0, v0, v1, vcc
	s_mul_i32 s16, s16, s0
	v_add_u32_e32 v5, v0, v10
	v_add_u32_e32 v4, s16, v11
	v_max_i32_e32 v0, v5, v4
	v_cmp_gt_i32_e32 vcc, s18, v0
	s_and_saveexec_b64 s[0:1], vcc
	s_cbranch_execz .LBB127_1
; %bb.7:
	s_load_dword s20, s[4:5], 0x48
	s_load_dwordx4 s[0:3], s[4:5], 0x10
	s_and_b32 s19, s19, 0xffff
	s_lshl_b32 s4, s10, 1
	v_pk_mov_b32 v[2:3], 0, 0
	s_waitcnt lgkmcnt(0)
	s_mul_i32 s5, s20, s8
	s_ashr_i32 s21, s2, 31
	s_add_i32 s5, s5, s6
	s_mov_b32 s20, s2
	s_mul_i32 s2, s8, s13
	s_mul_hi_u32 s6, s8, s12
	s_add_i32 s2, s6, s2
	s_mul_i32 s6, s9, s12
	s_add_i32 s9, s2, s6
	s_mul_i32 s8, s8, s12
	s_lshl_b64 s[8:9], s[8:9], 4
	s_add_u32 s2, s0, s8
	s_addc_u32 s6, s1, s9
	s_lshl_b64 s[0:1], s[20:21], 4
	s_add_u32 s0, s2, s0
	s_mul_i32 s2, s5, s10
	s_mul_i32 s2, s2, s10
	s_addc_u32 s1, s6, s1
	s_lshl_b32 s8, s2, 2
	s_ashr_i32 s9, s8, 31
	s_lshl_b64 s[8:9], s[8:9], 4
	s_add_u32 s2, s14, s8
	s_addc_u32 s5, s15, s9
	s_cmp_lt_u32 s19, 2
	v_pk_mov_b32 v[0:1], v[2:3], v[2:3] op_sel:[0,1]
	s_cbranch_scc1 .LBB127_10
; %bb.8:
	s_mul_i32 s6, s3, s17
	s_mul_i32 s6, s6, s10
	s_add_i32 s6, s16, s6
	v_pk_mov_b32 v[2:3], 0, 0
	v_add_u32_e32 v6, s6, v11
	v_mov_b32_e32 v9, 0
	v_mov_b32_e32 v12, s5
	;; [unrolled: 1-line block ×4, first 2 shown]
	s_mov_b32 s6, s10
	v_pk_mov_b32 v[0:1], v[2:3], v[2:3] op_sel:[0,1]
.LBB127_9:                              ; =>This Inner Loop Header: Depth=1
	v_lshlrev_b64 v[14:15], 4, v[8:9]
	v_ashrrev_i32_e32 v7, 31, v6
	v_add_co_u32_e32 v22, vcc, s2, v14
	v_addc_co_u32_e32 v23, vcc, v12, v15, vcc
	v_lshlrev_b64 v[14:15], 4, v[6:7]
	v_add_co_u32_e32 v24, vcc, s0, v14
	v_addc_co_u32_e32 v25, vcc, v13, v15, vcc
	global_load_dwordx4 v[14:17], v[22:23], off
	global_load_dwordx4 v[18:21], v[24:25], off
	s_add_i32 s6, s6, -1
	v_add_u32_e32 v8, s4, v8
	v_add_u32_e32 v6, s3, v6
	s_cmp_eq_u32 s6, 0
	s_waitcnt vmcnt(0)
	v_mul_f64 v[22:23], v[20:21], v[16:17]
	v_mul_f64 v[16:17], v[18:19], v[16:17]
	v_fma_f64 v[18:19], v[18:19], v[14:15], -v[22:23]
	v_fmac_f64_e32 v[16:17], v[20:21], v[14:15]
	v_add_f64 v[0:1], v[0:1], v[18:19]
	v_add_f64 v[2:3], v[2:3], v[16:17]
	s_cbranch_scc0 .LBB127_9
.LBB127_10:
	s_sub_i32 s6, s18, s11
	s_min_i32 s6, s6, s10
	s_cmp_lt_i32 s6, 1
	s_cbranch_scc1 .LBB127_13
; %bb.11:
	s_mul_i32 s7, s3, s7
	s_mul_i32 s7, s7, s10
	s_add_i32 s16, s16, s7
	s_mul_i32 s10, s10, s10
	v_add_u32_e32 v6, s16, v11
	v_lshl_add_u32 v8, s10, 1, v10
	v_mov_b32_e32 v9, 0
	v_mov_b32_e32 v10, s5
	;; [unrolled: 1-line block ×3, first 2 shown]
.LBB127_12:                             ; =>This Inner Loop Header: Depth=1
	v_lshlrev_b64 v[12:13], 4, v[8:9]
	v_ashrrev_i32_e32 v7, 31, v6
	v_add_co_u32_e32 v20, vcc, s2, v12
	v_addc_co_u32_e32 v21, vcc, v10, v13, vcc
	v_lshlrev_b64 v[12:13], 4, v[6:7]
	v_add_co_u32_e32 v22, vcc, s0, v12
	v_addc_co_u32_e32 v23, vcc, v11, v13, vcc
	global_load_dwordx4 v[12:15], v[20:21], off
	global_load_dwordx4 v[16:19], v[22:23], off
	s_add_i32 s6, s6, -1
	v_add_u32_e32 v8, s4, v8
	v_add_u32_e32 v6, s3, v6
	s_cmp_lg_u32 s6, 0
	s_waitcnt vmcnt(0)
	v_mul_f64 v[20:21], v[18:19], v[14:15]
	v_mul_f64 v[14:15], v[16:17], v[14:15]
	v_fma_f64 v[16:17], v[16:17], v[12:13], -v[20:21]
	v_fmac_f64_e32 v[14:15], v[18:19], v[12:13]
	v_add_f64 v[0:1], v[0:1], v[16:17]
	v_add_f64 v[2:3], v[2:3], v[14:15]
	s_cbranch_scc1 .LBB127_12
.LBB127_13:
	v_mad_u64_u32 v[4:5], s[2:3], v5, s3, v[4:5]
	v_ashrrev_i32_e32 v5, 31, v4
	v_lshlrev_b64 v[4:5], 4, v[4:5]
	v_mov_b32_e32 v6, s1
	v_add_co_u32_e32 v4, vcc, s0, v4
	v_addc_co_u32_e32 v5, vcc, v6, v5, vcc
	s_barrier
	global_store_dwordx4 v[4:5], v[0:3], off
	s_endpgm
	.section	.rodata,"a",@progbits
	.p2align	6, 0x0
	.amdhsa_kernel _ZN9rocsolver6v33100L21syevj_offd_rotate_orgILb0E19rocblas_complex_numIdEdPS3_EEvbiiT2_iilPT0_PiS8_S8_
		.amdhsa_group_segment_fixed_size 0
		.amdhsa_private_segment_fixed_size 0
		.amdhsa_kernarg_size 328
		.amdhsa_user_sgpr_count 6
		.amdhsa_user_sgpr_private_segment_buffer 1
		.amdhsa_user_sgpr_dispatch_ptr 0
		.amdhsa_user_sgpr_queue_ptr 0
		.amdhsa_user_sgpr_kernarg_segment_ptr 1
		.amdhsa_user_sgpr_dispatch_id 0
		.amdhsa_user_sgpr_flat_scratch_init 0
		.amdhsa_user_sgpr_kernarg_preload_length 0
		.amdhsa_user_sgpr_kernarg_preload_offset 0
		.amdhsa_user_sgpr_private_segment_size 0
		.amdhsa_uses_dynamic_stack 0
		.amdhsa_system_sgpr_private_segment_wavefront_offset 0
		.amdhsa_system_sgpr_workgroup_id_x 1
		.amdhsa_system_sgpr_workgroup_id_y 1
		.amdhsa_system_sgpr_workgroup_id_z 1
		.amdhsa_system_sgpr_workgroup_info 0
		.amdhsa_system_vgpr_workitem_id 1
		.amdhsa_next_free_vgpr 26
		.amdhsa_next_free_sgpr 22
		.amdhsa_accum_offset 28
		.amdhsa_reserve_vcc 1
		.amdhsa_reserve_flat_scratch 0
		.amdhsa_float_round_mode_32 0
		.amdhsa_float_round_mode_16_64 0
		.amdhsa_float_denorm_mode_32 3
		.amdhsa_float_denorm_mode_16_64 3
		.amdhsa_dx10_clamp 1
		.amdhsa_ieee_mode 1
		.amdhsa_fp16_overflow 0
		.amdhsa_tg_split 0
		.amdhsa_exception_fp_ieee_invalid_op 0
		.amdhsa_exception_fp_denorm_src 0
		.amdhsa_exception_fp_ieee_div_zero 0
		.amdhsa_exception_fp_ieee_overflow 0
		.amdhsa_exception_fp_ieee_underflow 0
		.amdhsa_exception_fp_ieee_inexact 0
		.amdhsa_exception_int_div_zero 0
	.end_amdhsa_kernel
	.section	.text._ZN9rocsolver6v33100L21syevj_offd_rotate_orgILb0E19rocblas_complex_numIdEdPS3_EEvbiiT2_iilPT0_PiS8_S8_,"axG",@progbits,_ZN9rocsolver6v33100L21syevj_offd_rotate_orgILb0E19rocblas_complex_numIdEdPS3_EEvbiiT2_iilPT0_PiS8_S8_,comdat
.Lfunc_end127:
	.size	_ZN9rocsolver6v33100L21syevj_offd_rotate_orgILb0E19rocblas_complex_numIdEdPS3_EEvbiiT2_iilPT0_PiS8_S8_, .Lfunc_end127-_ZN9rocsolver6v33100L21syevj_offd_rotate_orgILb0E19rocblas_complex_numIdEdPS3_EEvbiiT2_iilPT0_PiS8_S8_
                                        ; -- End function
	.section	.AMDGPU.csdata,"",@progbits
; Kernel info:
; codeLenInByte = 852
; NumSgprs: 26
; NumVgprs: 26
; NumAgprs: 0
; TotalNumVgprs: 26
; ScratchSize: 0
; MemoryBound: 0
; FloatMode: 240
; IeeeMode: 1
; LDSByteSize: 0 bytes/workgroup (compile time only)
; SGPRBlocks: 3
; VGPRBlocks: 3
; NumSGPRsForWavesPerEU: 26
; NumVGPRsForWavesPerEU: 26
; AccumOffset: 28
; Occupancy: 8
; WaveLimiterHint : 0
; COMPUTE_PGM_RSRC2:SCRATCH_EN: 0
; COMPUTE_PGM_RSRC2:USER_SGPR: 6
; COMPUTE_PGM_RSRC2:TRAP_HANDLER: 0
; COMPUTE_PGM_RSRC2:TGID_X_EN: 1
; COMPUTE_PGM_RSRC2:TGID_Y_EN: 1
; COMPUTE_PGM_RSRC2:TGID_Z_EN: 1
; COMPUTE_PGM_RSRC2:TIDIG_COMP_CNT: 1
; COMPUTE_PGM_RSRC3_GFX90A:ACCUM_OFFSET: 6
; COMPUTE_PGM_RSRC3_GFX90A:TG_SPLIT: 0
	.section	.text._ZN9rocsolver6v33100L17syevj_offd_rotateILb0E19rocblas_complex_numIdEdPS3_EEvbiiT2_iilPT0_PiS8_S8_i,"axG",@progbits,_ZN9rocsolver6v33100L17syevj_offd_rotateILb0E19rocblas_complex_numIdEdPS3_EEvbiiT2_iilPT0_PiS8_S8_i,comdat
	.globl	_ZN9rocsolver6v33100L17syevj_offd_rotateILb0E19rocblas_complex_numIdEdPS3_EEvbiiT2_iilPT0_PiS8_S8_i ; -- Begin function _ZN9rocsolver6v33100L17syevj_offd_rotateILb0E19rocblas_complex_numIdEdPS3_EEvbiiT2_iilPT0_PiS8_S8_i
	.p2align	8
	.type	_ZN9rocsolver6v33100L17syevj_offd_rotateILb0E19rocblas_complex_numIdEdPS3_EEvbiiT2_iilPT0_PiS8_S8_i,@function
_ZN9rocsolver6v33100L17syevj_offd_rotateILb0E19rocblas_complex_numIdEdPS3_EEvbiiT2_iilPT0_PiS8_S8_i: ; @_ZN9rocsolver6v33100L17syevj_offd_rotateILb0E19rocblas_complex_numIdEdPS3_EEvbiiT2_iilPT0_PiS8_S8_i
; %bb.0:
	s_load_dwordx4 s[20:23], s[4:5], 0x0
	s_load_dword s33, s[4:5], 0x48
	s_waitcnt lgkmcnt(0)
	s_abs_i32 s2, s21
	v_cvt_f32_u32_e32 v1, s2
	s_cmp_ge_u32 s8, s33
	v_rcp_iflag_f32_e32 v1, v1
	v_mul_f32_e32 v1, 0x4f7ffffe, v1
	v_cvt_u32_f32_e32 v1, v1
	v_readfirstlane_b32 s0, v1
	s_cbranch_scc1 .LBB128_35
; %bb.1:
	s_add_i32 s1, s22, -1
	s_ashr_i32 s3, s1, 31
	s_abs_i32 s10, s1
	s_sub_i32 s1, 0, s2
	s_mul_i32 s1, s1, s0
	s_mul_hi_u32 s1, s0, s1
	s_ashr_i32 s9, s21, 31
	s_add_i32 s0, s0, s1
	s_bitcmp1_b32 s20, 0
	s_mul_hi_u32 s23, s10, s0
	s_cselect_b64 s[0:1], -1, 0
	v_cndmask_b32_e64 v5, 0, 1, s[0:1]
	s_xor_b64 s[34:35], s[0:1], -1
	s_mul_i32 s1, s23, s2
	s_sub_i32 s1, s10, s1
	s_xor_b32 s0, s3, s9
	s_add_i32 s3, s23, 1
	s_sub_i32 s9, s1, s2
	s_cmp_ge_u32 s1, s2
	s_cselect_b32 s3, s3, s23
	s_cselect_b32 s1, s9, s1
	s_add_i32 s9, s3, 1
	s_cmp_ge_u32 s1, s2
	s_cselect_b32 s1, s9, s3
	s_xor_b32 s1, s1, s0
	s_sub_i32 s20, s1, s0
	s_add_i32 s46, s20, 1
	s_lshr_b32 s0, s46, 31
	s_add_i32 s0, s46, s0
	s_and_b32 s0, s0, -2
	s_load_dwordx4 s[28:31], s[4:5], 0x10
	s_load_dwordx8 s[12:19], s[4:5], 0x20
	s_sub_i32 s0, s46, s0
	s_load_dwordx2 s[2:3], s[4:5], 0x40
	s_load_dwordx4 s[24:27], s[4:5], 0x50
	s_add_i32 s0, s0, s46
	s_lshr_b32 s1, s0, 31
	s_lshl_b32 s49, s21, 1
	s_add_i32 s0, s0, s1
	s_mul_i32 s4, s49, s21
	s_ashr_i32 s47, s0, 1
	s_lshl_b32 s0, s4, 4
	s_waitcnt lgkmcnt(0)
	s_lshr_b32 s48, s27, 16
	s_and_b32 s27, s27, 0xffff
	s_add_i32 s50, s0, 0
	s_mul_i32 s4, s4, 3
	s_cmpk_lt_u32 s4, 0x1001
	s_mul_i32 s9, s21, s21
	s_mov_b64 s[0:1], src_shared_base
	s_cselect_b64 s[36:37], -1, 0
	s_ashr_i32 s5, s30, 31
	s_lshl_b32 s52, s9, 2
	s_cmp_lt_u32 s6, s47
	s_mul_i32 s0, s20, s21
	s_cselect_b64 s[38:39], -1, 0
	s_sub_i32 s53, s22, s0
	s_cmp_lt_u32 s7, s46
	s_cselect_b64 s[22:23], -1, 0
	s_ashr_i32 s55, s31, 31
	s_mov_b32 s4, s30
	s_add_u32 s57, s2, 4
	s_addc_u32 s58, s3, 0
	s_lshl_b64 s[2:3], s[4:5], 4
	s_add_u32 s59, s28, s2
	v_and_b32_e32 v4, 0x3ff, v0
	v_bfe_u32 v8, v0, 10, 10
	s_addc_u32 s60, s29, s3
	s_lshl_b32 s2, s9, 5
	v_mad_u32_u24 v9, v8, s27, v4
	s_mul_i32 s54, s48, s27
	s_add_i32 s2, s2, 0
	s_mov_b32 s11, 0
	s_mov_b32 s51, s1
	v_cmp_gt_u32_e64 s[0:1], s52, v9
	s_mov_b32 s56, s31
	v_lshl_add_u32 v10, v9, 4, s2
	s_lshl_b32 s61, s54, 4
	s_mul_i32 s62, s7, s21
	s_mul_i32 s63, s25, s21
	s_lshl_b32 s64, s48, 4
	s_lshl_b32 s65, s27, 4
	v_lshl_add_u32 v11, v4, 4, 0
	v_mov_b32_e32 v7, 0
	s_branch .LBB128_3
.LBB128_2:                              ;   in Loop: Header=BB128_3 Depth=1
	s_add_i32 s8, s8, s26
	s_cmp_ge_u32 s8, s33
	s_cbranch_scc1 .LBB128_35
.LBB128_3:                              ; =>This Loop Header: Depth=1
                                        ;     Child Loop BB128_7 Depth 2
                                        ;       Child Loop BB128_11 Depth 3
                                        ;       Child Loop BB128_17 Depth 3
                                        ;         Child Loop BB128_23 Depth 4
                                        ;           Child Loop BB128_25 Depth 5
                                        ;         Child Loop BB128_29 Depth 4
                                        ;           Child Loop BB128_32 Depth 5
                                        ;             Child Loop BB128_34 Depth 6
	s_mov_b32 s9, s11
	s_lshl_b64 s[2:3], s[8:9], 2
	s_add_u32 s2, s57, s2
	s_addc_u32 s3, s58, s3
	s_load_dword s2, s[2:3], 0x0
	s_waitcnt lgkmcnt(0)
	s_cmp_lg_u32 s2, 0
	s_cbranch_scc1 .LBB128_2
; %bb.4:                                ;   in Loop: Header=BB128_3 Depth=1
	s_andn2_b64 vcc, exec, s[38:39]
	s_cbranch_vccnz .LBB128_2
; %bb.5:                                ;   in Loop: Header=BB128_3 Depth=1
	s_mul_i32 s2, s8, s13
	s_mul_hi_u32 s3, s8, s12
	s_add_i32 s3, s3, s2
	s_mul_i32 s2, s8, s12
	s_lshl_b64 s[2:3], s[2:3], 4
	s_add_u32 s9, s59, s2
	s_addc_u32 s66, s60, s3
	s_mul_i32 s67, s8, s47
	s_mov_b32 s10, s6
	s_branch .LBB128_7
.LBB128_6:                              ;   in Loop: Header=BB128_7 Depth=2
	s_add_i32 s10, s10, s24
	s_cmp_lt_u32 s10, s47
	s_cbranch_scc0 .LBB128_2
.LBB128_7:                              ;   Parent Loop BB128_3 Depth=1
                                        ; =>  This Loop Header: Depth=2
                                        ;       Child Loop BB128_11 Depth 3
                                        ;       Child Loop BB128_17 Depth 3
                                        ;         Child Loop BB128_23 Depth 4
                                        ;           Child Loop BB128_25 Depth 5
                                        ;         Child Loop BB128_29 Depth 4
                                        ;           Child Loop BB128_32 Depth 5
                                        ;             Child Loop BB128_34 Depth 6
	s_lshl_b64 s[2:3], s[10:11], 2
	s_add_u32 s4, s16, s2
	s_addc_u32 s5, s17, s3
	s_add_u32 s2, s18, s2
	s_addc_u32 s3, s19, s3
	global_load_dword v0, v7, s[2:3]
	global_load_dword v1, v7, s[4:5]
	s_waitcnt vmcnt(1)
	v_readfirstlane_b32 s28, v0
	s_waitcnt vmcnt(0)
	v_readfirstlane_b32 s29, v1
	s_max_i32 s68, s29, s28
	s_cmp_gt_i32 s68, s20
	s_cbranch_scc1 .LBB128_6
; %bb.8:                                ;   in Loop: Header=BB128_7 Depth=2
	s_add_i32 s2, s10, s67
	s_mul_i32 s2, s52, s2
	s_mov_b32 s3, s11
	s_lshl_b64 s[2:3], s[2:3], 4
	s_add_u32 s30, s14, s2
	s_addc_u32 s31, s15, s3
	s_andn2_b64 vcc, exec, s[36:37]
	s_cbranch_vccnz .LBB128_13
; %bb.9:                                ;   in Loop: Header=BB128_7 Depth=2
	s_barrier
	s_and_saveexec_b64 s[2:3], s[0:1]
	s_cbranch_execz .LBB128_12
; %bb.10:                               ;   in Loop: Header=BB128_7 Depth=2
	s_mov_b64 s[4:5], 0
	v_mov_b32_e32 v0, s31
	v_mov_b32_e32 v1, v10
	;; [unrolled: 1-line block ×3, first 2 shown]
.LBB128_11:                             ;   Parent Loop BB128_3 Depth=1
                                        ;     Parent Loop BB128_7 Depth=2
                                        ; =>    This Inner Loop Header: Depth=3
	v_lshlrev_b64 v[2:3], 4, v[6:7]
	v_add_co_u32_e32 v2, vcc, s30, v2
	v_addc_co_u32_e32 v3, vcc, v0, v3, vcc
	global_load_dwordx4 v[12:15], v[2:3], off
	v_add_u32_e32 v6, s54, v6
	v_cmp_le_u32_e32 vcc, s52, v6
	s_or_b64 s[4:5], vcc, s[4:5]
	s_waitcnt vmcnt(0)
	ds_write2_b64 v1, v[12:13], v[14:15] offset1:1
	v_add_u32_e32 v1, s61, v1
	s_andn2_b64 exec, exec, s[4:5]
	s_cbranch_execnz .LBB128_11
.LBB128_12:                             ;   in Loop: Header=BB128_7 Depth=2
	s_or_b64 exec, exec, s[2:3]
	s_waitcnt lgkmcnt(0)
	s_barrier
.LBB128_13:                             ;   in Loop: Header=BB128_7 Depth=2
	s_andn2_b64 vcc, exec, s[22:23]
	s_cbranch_vccnz .LBB128_6
; %bb.14:                               ;   in Loop: Header=BB128_7 Depth=2
	s_min_i32 s69, s28, s29
	s_cmp_eq_u32 s20, s69
	s_cselect_b32 s71, s53, s21
	s_cmp_eq_u32 s20, s68
	s_cselect_b32 s2, s53, s21
	s_add_i32 s72, s71, s2
	s_mul_i32 s4, s68, s21
	s_and_b64 s[2:3], s[36:37], exec
	s_cselect_b32 s5, s51, s31
	s_cselect_b32 s73, s50, s30
	s_sub_i32 s74, s4, s71
	s_cmp_gt_i32 s72, 0
	s_mul_i32 s70, s69, s21
	v_cmp_gt_u32_e64 s[2:3], s72, v8
	s_cselect_b64 s[28:29], -1, 0
	v_mov_b32_e32 v12, s5
	s_mov_b32 s75, s62
	s_mov_b32 s76, s7
	s_branch .LBB128_17
.LBB128_15:                             ;   in Loop: Header=BB128_17 Depth=3
	s_or_b64 exec, exec, s[30:31]
	s_barrier
.LBB128_16:                             ;   in Loop: Header=BB128_17 Depth=3
	s_add_i32 s76, s76, s25
	s_add_i32 s75, s75, s63
	s_cmp_lt_u32 s76, s46
	s_cbranch_scc0 .LBB128_6
.LBB128_17:                             ;   Parent Loop BB128_3 Depth=1
                                        ;     Parent Loop BB128_7 Depth=2
                                        ; =>    This Loop Header: Depth=3
                                        ;         Child Loop BB128_23 Depth 4
                                        ;           Child Loop BB128_25 Depth 5
                                        ;         Child Loop BB128_29 Depth 4
                                        ;           Child Loop BB128_32 Depth 5
                                        ;             Child Loop BB128_34 Depth 6
	v_cmp_ne_u32_e32 vcc, 1, v5
	s_mov_b64 s[4:5], s[34:35]
	s_cbranch_vccz .LBB128_19
; %bb.18:                               ;   in Loop: Header=BB128_17 Depth=3
	s_andn2_b64 vcc, exec, s[4:5]
	s_cbranch_vccnz .LBB128_16
	s_branch .LBB128_20
.LBB128_19:                             ;   in Loop: Header=BB128_17 Depth=3
	s_cmp_lg_u32 s76, s69
	s_cselect_b64 s[4:5], -1, 0
	s_cmp_lg_u32 s76, s68
	s_cselect_b64 s[30:31], -1, 0
	s_and_b64 s[4:5], s[4:5], s[30:31]
	s_andn2_b64 vcc, exec, s[4:5]
	s_cbranch_vccnz .LBB128_16
.LBB128_20:                             ;   in Loop: Header=BB128_17 Depth=3
	s_cmp_eq_u32 s20, s76
	s_cselect_b32 s77, s53, s21
	s_barrier
	s_and_saveexec_b64 s[30:31], s[2:3]
	s_cbranch_execz .LBB128_26
; %bb.21:                               ;   in Loop: Header=BB128_17 Depth=3
	v_mad_u64_u32 v[0:1], s[4:5], v8, s77, v[4:5]
	v_cmp_gt_u32_e32 vcc, s77, v4
	v_lshl_add_u32 v0, v0, 4, 0
	s_mul_i32 s78, s64, s77
	s_mov_b64 s[40:41], 0
	v_mov_b32_e32 v1, v8
	s_branch .LBB128_23
.LBB128_22:                             ;   in Loop: Header=BB128_23 Depth=4
	s_or_b64 exec, exec, s[42:43]
	v_add_u32_e32 v1, s48, v1
	v_cmp_le_u32_e64 s[4:5], s72, v1
	s_or_b64 s[40:41], s[4:5], s[40:41]
	v_add_u32_e32 v0, s78, v0
	s_andn2_b64 exec, exec, s[40:41]
	s_cbranch_execz .LBB128_26
.LBB128_23:                             ;   Parent Loop BB128_3 Depth=1
                                        ;     Parent Loop BB128_7 Depth=2
                                        ;       Parent Loop BB128_17 Depth=3
                                        ; =>      This Loop Header: Depth=4
                                        ;           Child Loop BB128_25 Depth 5
	s_and_saveexec_b64 s[42:43], vcc
	s_cbranch_execz .LBB128_22
; %bb.24:                               ;   in Loop: Header=BB128_23 Depth=4
	v_mov_b32_e32 v2, s74
	v_mov_b32_e32 v3, s70
	v_cmp_gt_u32_e64 s[4:5], s71, v1
	v_cndmask_b32_e64 v2, v2, v3, s[4:5]
	v_add_u32_e32 v13, v1, v2
	v_mad_u64_u32 v[2:3], s[4:5], v13, s56, 0
	v_mov_b32_e32 v6, v3
	v_mad_u64_u32 v[14:15], s[4:5], v13, s55, v[6:7]
	v_mov_b32_e32 v3, v14
	v_lshlrev_b64 v[2:3], 4, v[2:3]
	v_mov_b32_e32 v6, s66
	v_add_co_u32_e64 v2, s[4:5], s9, v2
	v_addc_co_u32_e64 v3, s[4:5], v6, v3, s[4:5]
	s_mov_b64 s[44:45], 0
	v_mov_b32_e32 v13, v0
	v_mov_b32_e32 v14, v4
.LBB128_25:                             ;   Parent Loop BB128_3 Depth=1
                                        ;     Parent Loop BB128_7 Depth=2
                                        ;       Parent Loop BB128_17 Depth=3
                                        ;         Parent Loop BB128_23 Depth=4
                                        ; =>        This Inner Loop Header: Depth=5
	v_add_u32_e32 v6, s75, v14
	v_lshlrev_b64 v[16:17], 4, v[6:7]
	v_add_co_u32_e64 v16, s[4:5], v2, v16
	v_addc_co_u32_e64 v17, s[4:5], v3, v17, s[4:5]
	global_load_dwordx4 v[16:19], v[16:17], off
	v_add_u32_e32 v14, s27, v14
	v_cmp_le_u32_e64 s[4:5], s77, v14
	s_or_b64 s[44:45], s[4:5], s[44:45]
	s_waitcnt vmcnt(0)
	ds_write2_b64 v13, v[16:17], v[18:19] offset1:1
	v_add_u32_e32 v13, s65, v13
	s_andn2_b64 exec, exec, s[44:45]
	s_cbranch_execnz .LBB128_25
	s_branch .LBB128_22
.LBB128_26:                             ;   in Loop: Header=BB128_17 Depth=3
	s_or_b64 exec, exec, s[30:31]
	s_waitcnt lgkmcnt(0)
	s_barrier
	s_and_saveexec_b64 s[30:31], s[2:3]
	s_cbranch_execz .LBB128_15
; %bb.27:                               ;   in Loop: Header=BB128_17 Depth=3
	s_mul_i32 s78, s76, s21
	v_cmp_gt_u32_e64 s[4:5], s77, v4
	s_lshl_b32 s79, s77, 4
	s_mov_b64 s[40:41], 0
	v_mov_b32_e32 v13, v8
	s_branch .LBB128_29
.LBB128_28:                             ;   in Loop: Header=BB128_29 Depth=4
	s_or_b64 exec, exec, s[42:43]
	v_add_u32_e32 v13, s48, v13
	v_cmp_le_u32_e32 vcc, s72, v13
	s_or_b64 s[40:41], vcc, s[40:41]
	s_andn2_b64 exec, exec, s[40:41]
	s_cbranch_execz .LBB128_15
.LBB128_29:                             ;   Parent Loop BB128_3 Depth=1
                                        ;     Parent Loop BB128_7 Depth=2
                                        ;       Parent Loop BB128_17 Depth=3
                                        ; =>      This Loop Header: Depth=4
                                        ;           Child Loop BB128_32 Depth 5
                                        ;             Child Loop BB128_34 Depth 6
	s_and_saveexec_b64 s[42:43], s[4:5]
	s_cbranch_execz .LBB128_28
; %bb.30:                               ;   in Loop: Header=BB128_29 Depth=4
	v_mov_b32_e32 v0, s74
	v_mov_b32_e32 v1, s70
	v_cmp_gt_u32_e32 vcc, s71, v13
	v_cndmask_b32_e32 v0, v0, v1, vcc
	v_add_u32_e32 v3, v13, v0
	v_mad_u64_u32 v[0:1], s[44:45], v3, s56, 0
	v_mov_b32_e32 v2, v1
	v_mad_u64_u32 v[2:3], s[44:45], v3, s55, v[2:3]
	v_mov_b32_e32 v1, v2
	v_lshlrev_b64 v[0:1], 4, v[0:1]
	v_mov_b32_e32 v2, s66
	v_add_co_u32_e32 v14, vcc, s9, v0
	v_addc_co_u32_e32 v15, vcc, v2, v1, vcc
	s_mov_b64 s[44:45], 0
	v_mov_b32_e32 v16, v11
	v_mov_b32_e32 v17, v4
	s_branch .LBB128_32
.LBB128_31:                             ;   in Loop: Header=BB128_32 Depth=5
	v_add_u32_e32 v6, s78, v17
	v_lshlrev_b64 v[18:19], 4, v[6:7]
	v_add_co_u32_e32 v18, vcc, v14, v18
	v_addc_co_u32_e32 v19, vcc, v15, v19, vcc
	v_add_u32_e32 v17, s27, v17
	v_cmp_le_u32_e32 vcc, s77, v17
	s_or_b64 s[44:45], vcc, s[44:45]
	v_add_u32_e32 v16, s65, v16
	global_store_dwordx4 v[18:19], v[0:3], off
	s_andn2_b64 exec, exec, s[44:45]
	s_cbranch_execz .LBB128_28
.LBB128_32:                             ;   Parent Loop BB128_3 Depth=1
                                        ;     Parent Loop BB128_7 Depth=2
                                        ;       Parent Loop BB128_17 Depth=3
                                        ;         Parent Loop BB128_29 Depth=4
                                        ; =>        This Loop Header: Depth=5
                                        ;             Child Loop BB128_34 Depth 6
	v_pk_mov_b32 v[2:3], 0, 0
	s_andn2_b64 vcc, exec, s[28:29]
	v_pk_mov_b32 v[0:1], v[2:3], v[2:3] op_sel:[0,1]
	s_cbranch_vccnz .LBB128_31
; %bb.33:                               ;   in Loop: Header=BB128_32 Depth=5
	v_pk_mov_b32 v[2:3], 0, 0
	v_mov_b32_e32 v6, v13
	v_mov_b32_e32 v18, v16
	s_mov_b32 s80, s72
	v_pk_mov_b32 v[0:1], v[2:3], v[2:3] op_sel:[0,1]
.LBB128_34:                             ;   Parent Loop BB128_3 Depth=1
                                        ;     Parent Loop BB128_7 Depth=2
                                        ;       Parent Loop BB128_17 Depth=3
                                        ;         Parent Loop BB128_29 Depth=4
                                        ;           Parent Loop BB128_32 Depth=5
                                        ; =>          This Inner Loop Header: Depth=6
	v_lshlrev_b64 v[20:21], 4, v[6:7]
	v_add_co_u32_e32 v20, vcc, s73, v20
	v_addc_co_u32_e32 v21, vcc, v12, v21, vcc
	flat_load_dwordx4 v[20:23], v[20:21]
	ds_read2_b64 v[24:27], v18 offset1:1
	s_add_i32 s80, s80, -1
	v_add_u32_e32 v18, s79, v18
	v_add_u32_e32 v6, s49, v6
	s_cmp_eq_u32 s80, 0
	s_waitcnt vmcnt(0) lgkmcnt(0)
	v_mul_f64 v[28:29], v[26:27], v[22:23]
	v_mul_f64 v[22:23], v[24:25], v[22:23]
	v_fma_f64 v[24:25], v[24:25], v[20:21], -v[28:29]
	v_fmac_f64_e32 v[22:23], v[26:27], v[20:21]
	v_add_f64 v[0:1], v[0:1], v[24:25]
	v_add_f64 v[2:3], v[2:3], v[22:23]
	s_cbranch_scc0 .LBB128_34
	s_branch .LBB128_31
.LBB128_35:
	s_endpgm
	.section	.rodata,"a",@progbits
	.p2align	6, 0x0
	.amdhsa_kernel _ZN9rocsolver6v33100L17syevj_offd_rotateILb0E19rocblas_complex_numIdEdPS3_EEvbiiT2_iilPT0_PiS8_S8_i
		.amdhsa_group_segment_fixed_size 0
		.amdhsa_private_segment_fixed_size 0
		.amdhsa_kernarg_size 336
		.amdhsa_user_sgpr_count 6
		.amdhsa_user_sgpr_private_segment_buffer 1
		.amdhsa_user_sgpr_dispatch_ptr 0
		.amdhsa_user_sgpr_queue_ptr 0
		.amdhsa_user_sgpr_kernarg_segment_ptr 1
		.amdhsa_user_sgpr_dispatch_id 0
		.amdhsa_user_sgpr_flat_scratch_init 0
		.amdhsa_user_sgpr_kernarg_preload_length 0
		.amdhsa_user_sgpr_kernarg_preload_offset 0
		.amdhsa_user_sgpr_private_segment_size 0
		.amdhsa_uses_dynamic_stack 0
		.amdhsa_system_sgpr_private_segment_wavefront_offset 0
		.amdhsa_system_sgpr_workgroup_id_x 1
		.amdhsa_system_sgpr_workgroup_id_y 1
		.amdhsa_system_sgpr_workgroup_id_z 1
		.amdhsa_system_sgpr_workgroup_info 0
		.amdhsa_system_vgpr_workitem_id 1
		.amdhsa_next_free_vgpr 30
		.amdhsa_next_free_sgpr 81
		.amdhsa_accum_offset 32
		.amdhsa_reserve_vcc 1
		.amdhsa_reserve_flat_scratch 0
		.amdhsa_float_round_mode_32 0
		.amdhsa_float_round_mode_16_64 0
		.amdhsa_float_denorm_mode_32 3
		.amdhsa_float_denorm_mode_16_64 3
		.amdhsa_dx10_clamp 1
		.amdhsa_ieee_mode 1
		.amdhsa_fp16_overflow 0
		.amdhsa_tg_split 0
		.amdhsa_exception_fp_ieee_invalid_op 0
		.amdhsa_exception_fp_denorm_src 0
		.amdhsa_exception_fp_ieee_div_zero 0
		.amdhsa_exception_fp_ieee_overflow 0
		.amdhsa_exception_fp_ieee_underflow 0
		.amdhsa_exception_fp_ieee_inexact 0
		.amdhsa_exception_int_div_zero 0
	.end_amdhsa_kernel
	.section	.text._ZN9rocsolver6v33100L17syevj_offd_rotateILb0E19rocblas_complex_numIdEdPS3_EEvbiiT2_iilPT0_PiS8_S8_i,"axG",@progbits,_ZN9rocsolver6v33100L17syevj_offd_rotateILb0E19rocblas_complex_numIdEdPS3_EEvbiiT2_iilPT0_PiS8_S8_i,comdat
.Lfunc_end128:
	.size	_ZN9rocsolver6v33100L17syevj_offd_rotateILb0E19rocblas_complex_numIdEdPS3_EEvbiiT2_iilPT0_PiS8_S8_i, .Lfunc_end128-_ZN9rocsolver6v33100L17syevj_offd_rotateILb0E19rocblas_complex_numIdEdPS3_EEvbiiT2_iilPT0_PiS8_S8_i
                                        ; -- End function
	.section	.AMDGPU.csdata,"",@progbits
; Kernel info:
; codeLenInByte = 1552
; NumSgprs: 85
; NumVgprs: 30
; NumAgprs: 0
; TotalNumVgprs: 30
; ScratchSize: 0
; MemoryBound: 0
; FloatMode: 240
; IeeeMode: 1
; LDSByteSize: 0 bytes/workgroup (compile time only)
; SGPRBlocks: 10
; VGPRBlocks: 3
; NumSGPRsForWavesPerEU: 85
; NumVGPRsForWavesPerEU: 30
; AccumOffset: 32
; Occupancy: 8
; WaveLimiterHint : 1
; COMPUTE_PGM_RSRC2:SCRATCH_EN: 0
; COMPUTE_PGM_RSRC2:USER_SGPR: 6
; COMPUTE_PGM_RSRC2:TRAP_HANDLER: 0
; COMPUTE_PGM_RSRC2:TGID_X_EN: 1
; COMPUTE_PGM_RSRC2:TGID_Y_EN: 1
; COMPUTE_PGM_RSRC2:TGID_Z_EN: 1
; COMPUTE_PGM_RSRC2:TIDIG_COMP_CNT: 1
; COMPUTE_PGM_RSRC3_GFX90A:ACCUM_OFFSET: 7
; COMPUTE_PGM_RSRC3_GFX90A:TG_SPLIT: 0
	.section	.text._ZN9rocsolver6v33100L21syevj_offd_rotate_orgILb1E19rocblas_complex_numIdEdPS3_EEvbiiT2_iilPT0_PiS8_S8_,"axG",@progbits,_ZN9rocsolver6v33100L21syevj_offd_rotate_orgILb1E19rocblas_complex_numIdEdPS3_EEvbiiT2_iilPT0_PiS8_S8_,comdat
	.globl	_ZN9rocsolver6v33100L21syevj_offd_rotate_orgILb1E19rocblas_complex_numIdEdPS3_EEvbiiT2_iilPT0_PiS8_S8_ ; -- Begin function _ZN9rocsolver6v33100L21syevj_offd_rotate_orgILb1E19rocblas_complex_numIdEdPS3_EEvbiiT2_iilPT0_PiS8_S8_
	.p2align	8
	.type	_ZN9rocsolver6v33100L21syevj_offd_rotate_orgILb1E19rocblas_complex_numIdEdPS3_EEvbiiT2_iilPT0_PiS8_S8_,@function
_ZN9rocsolver6v33100L21syevj_offd_rotate_orgILb1E19rocblas_complex_numIdEdPS3_EEvbiiT2_iilPT0_PiS8_S8_: ; @_ZN9rocsolver6v33100L21syevj_offd_rotate_orgILb1E19rocblas_complex_numIdEdPS3_EEvbiiT2_iilPT0_PiS8_S8_
; %bb.0:
	s_load_dwordx2 s[0:1], s[4:5], 0x40
	s_ashr_i32 s9, s8, 31
	s_lshl_b64 s[2:3], s[8:9], 2
	s_waitcnt lgkmcnt(0)
	s_add_u32 s0, s0, s2
	s_addc_u32 s1, s1, s3
	s_load_dword s0, s[0:1], 0x4
	s_waitcnt lgkmcnt(0)
	s_cmp_lg_u32 s0, 0
	s_cbranch_scc0 .LBB129_2
.LBB129_1:
	s_endpgm
.LBB129_2:
	s_load_dwordx8 s[12:19], s[4:5], 0x20
	s_mov_b32 s20, s7
	s_ashr_i32 s7, s6, 31
	s_lshl_b64 s[0:1], s[6:7], 2
	s_waitcnt lgkmcnt(0)
	s_add_u32 s2, s16, s0
	s_addc_u32 s3, s17, s1
	s_add_u32 s10, s18, s0
	s_load_dword s7, s[2:3], 0x0
	s_addc_u32 s11, s19, s1
	s_load_dword s16, s[10:11], 0x0
	s_load_dwordx4 s[0:3], s[4:5], 0x0
	s_waitcnt lgkmcnt(0)
	s_max_i32 s3, s7, s16
	s_cmp_ge_i32 s3, s1
	s_cbranch_scc1 .LBB129_1
; %bb.3:
	s_add_u32 s10, s4, 0x48
	s_addc_u32 s11, s5, 0
	s_bitcmp1_b32 s0, 0
	s_cselect_b64 s[0:1], -1, 0
	s_xor_b64 s[0:1], s[0:1], -1
	s_min_i32 s17, s7, s16
	s_and_b64 vcc, exec, s[0:1]
	s_mov_b32 s16, s20
	s_cbranch_vccnz .LBB129_5
; %bb.4:
	s_lshr_b32 s0, s16, 31
	s_add_i32 s0, s16, s0
	s_ashr_i32 s7, s0, 1
	s_cmp_lg_u32 s7, s17
	s_cselect_b64 s[0:1], -1, 0
	s_cmp_lg_u32 s7, s3
	s_cselect_b64 s[18:19], -1, 0
	s_and_b64 s[0:1], s[0:1], s[18:19]
.LBB129_5:
	s_andn2_b64 vcc, exec, s[0:1]
	s_cbranch_vccnz .LBB129_1
; %bb.6:
	s_load_dword s1, s[10:11], 0xc
	v_and_b32_e32 v10, 0x3ff, v0
	v_bfe_u32 v0, v0, 10, 10
	s_waitcnt lgkmcnt(0)
	s_bfe_u32 s7, s1, 0xf0001
	s_mul_i32 s10, s3, s7
	s_mul_i32 s0, s17, s7
	s_sub_i32 s3, s10, s7
	s_lshr_b32 s11, s1, 16
	v_mov_b32_e32 v1, s0
	v_mov_b32_e32 v2, s3
	v_cmp_gt_u32_e32 vcc, s7, v10
	v_cndmask_b32_e32 v1, v2, v1, vcc
	s_mul_i32 s3, s16, s11
	v_add_u32_e32 v8, v1, v10
	v_add_u32_e32 v0, s3, v0
	v_max_i32_e32 v1, v8, v0
	v_cmp_gt_i32_e32 vcc, s2, v1
	s_and_saveexec_b64 s[16:17], vcc
	s_cbranch_execz .LBB129_1
; %bb.7:
	s_load_dword s3, s[4:5], 0x48
	s_load_dwordx4 s[16:19], s[4:5], 0x10
	s_mul_hi_u32 s4, s8, s12
	s_and_b32 s1, s1, 0xffff
	s_lshl_b32 s5, s7, 1
	s_waitcnt lgkmcnt(0)
	s_mul_i32 s3, s3, s8
	s_add_i32 s6, s3, s6
	s_mul_i32 s3, s8, s13
	s_add_i32 s3, s4, s3
	;; [unrolled: 2-line block ×3, first 2 shown]
	s_mul_i32 s8, s8, s12
	s_ashr_i32 s21, s18, 31
	s_lshl_b64 s[8:9], s[8:9], 4
	s_mov_b32 s20, s18
	s_add_u32 s3, s16, s8
	s_addc_u32 s4, s17, s9
	s_lshl_b64 s[8:9], s[20:21], 4
	s_mul_i32 s6, s6, s7
	s_add_u32 s3, s3, s8
	s_mul_i32 s6, s6, s7
	s_addc_u32 s4, s4, s9
	s_lshl_b32 s8, s6, 2
	s_ashr_i32 s9, s8, 31
	s_lshl_b64 s[8:9], s[8:9], 4
	s_add_u32 s6, s14, s8
	s_addc_u32 s8, s15, s9
	s_cmp_gt_u32 s1, 1
	v_mul_lo_u32 v11, v0, s19
	s_cbranch_scc0 .LBB129_11
; %bb.8:
	v_mul_lo_u32 v9, v0, s19
	v_pk_mov_b32 v[2:3], 0, 0
	v_add_u32_e32 v4, s0, v9
	v_mov_b32_e32 v7, 0
	v_mov_b32_e32 v12, s8
	;; [unrolled: 1-line block ×4, first 2 shown]
	s_mov_b32 s0, s7
	v_pk_mov_b32 v[0:1], v[2:3], v[2:3] op_sel:[0,1]
.LBB129_9:                              ; =>This Inner Loop Header: Depth=1
	v_lshlrev_b64 v[14:15], 4, v[6:7]
	v_ashrrev_i32_e32 v5, 31, v4
	v_add_co_u32_e32 v14, vcc, s6, v14
	v_addc_co_u32_e32 v15, vcc, v12, v15, vcc
	v_lshlrev_b64 v[18:19], 4, v[4:5]
	v_add_co_u32_e32 v18, vcc, s3, v18
	v_addc_co_u32_e32 v19, vcc, v13, v19, vcc
	global_load_dwordx4 v[14:17], v[14:15], off
	s_add_i32 s0, s0, -1
	global_load_dwordx4 v[18:21], v[18:19], off
	v_add_u32_e32 v6, s5, v6
	v_add_u32_e32 v4, 1, v4
	s_cmp_eq_u32 s0, 0
	s_waitcnt vmcnt(0)
	v_mul_f64 v[22:23], v[16:17], v[20:21]
	v_mul_f64 v[16:17], v[16:17], v[18:19]
	v_fmac_f64_e32 v[22:23], v[14:15], v[18:19]
	v_fma_f64 v[14:15], v[14:15], v[20:21], -v[16:17]
	v_add_f64 v[0:1], v[0:1], v[22:23]
	v_add_f64 v[2:3], v[2:3], v[14:15]
	s_cbranch_scc0 .LBB129_9
; %bb.10:
	s_mov_b64 s[0:1], 0
	s_branch .LBB129_12
.LBB129_11:
	s_mov_b64 s[0:1], -1
                                        ; implicit-def: $vgpr2_vgpr3
                                        ; implicit-def: $vgpr9
.LBB129_12:
	s_and_b64 vcc, exec, s[0:1]
	s_cbranch_vccz .LBB129_14
; %bb.13:
	v_pk_mov_b32 v[0:1], 0, 0
	v_mov_b32_e32 v9, v11
	v_pk_mov_b32 v[2:3], v[0:1], v[0:1] op_sel:[0,1]
.LBB129_14:
	s_sub_i32 s0, s2, s10
	s_min_i32 s0, s0, s7
	s_cmp_lt_i32 s0, 1
	s_cbranch_scc1 .LBB129_17
; %bb.15:
	s_mul_i32 s7, s7, s7
	v_add_u32_e32 v4, s10, v9
	v_lshl_add_u32 v6, s7, 1, v10
	v_mov_b32_e32 v7, 0
	v_mov_b32_e32 v10, s8
	;; [unrolled: 1-line block ×3, first 2 shown]
.LBB129_16:                             ; =>This Inner Loop Header: Depth=1
	v_lshlrev_b64 v[12:13], 4, v[6:7]
	v_ashrrev_i32_e32 v5, 31, v4
	v_add_co_u32_e32 v12, vcc, s6, v12
	v_addc_co_u32_e32 v13, vcc, v10, v13, vcc
	v_lshlrev_b64 v[16:17], 4, v[4:5]
	v_add_co_u32_e32 v16, vcc, s3, v16
	v_addc_co_u32_e32 v17, vcc, v11, v17, vcc
	global_load_dwordx4 v[12:15], v[12:13], off
	s_add_i32 s0, s0, -1
	global_load_dwordx4 v[16:19], v[16:17], off
	v_add_u32_e32 v6, s5, v6
	v_add_u32_e32 v4, 1, v4
	s_cmp_lg_u32 s0, 0
	s_waitcnt vmcnt(0)
	v_mul_f64 v[20:21], v[14:15], v[18:19]
	v_mul_f64 v[14:15], v[14:15], v[16:17]
	v_fmac_f64_e32 v[20:21], v[12:13], v[16:17]
	v_fma_f64 v[12:13], v[12:13], v[18:19], -v[14:15]
	v_add_f64 v[0:1], v[0:1], v[20:21]
	v_add_f64 v[2:3], v[2:3], v[12:13]
	s_cbranch_scc1 .LBB129_16
.LBB129_17:
	v_add_u32_e32 v4, v8, v9
	v_ashrrev_i32_e32 v5, 31, v4
	v_lshlrev_b64 v[4:5], 4, v[4:5]
	v_mov_b32_e32 v6, s4
	v_add_co_u32_e32 v4, vcc, s3, v4
	v_addc_co_u32_e32 v5, vcc, v6, v5, vcc
	s_barrier
	global_store_dwordx4 v[4:5], v[0:3], off
	s_endpgm
	.section	.rodata,"a",@progbits
	.p2align	6, 0x0
	.amdhsa_kernel _ZN9rocsolver6v33100L21syevj_offd_rotate_orgILb1E19rocblas_complex_numIdEdPS3_EEvbiiT2_iilPT0_PiS8_S8_
		.amdhsa_group_segment_fixed_size 0
		.amdhsa_private_segment_fixed_size 0
		.amdhsa_kernarg_size 328
		.amdhsa_user_sgpr_count 6
		.amdhsa_user_sgpr_private_segment_buffer 1
		.amdhsa_user_sgpr_dispatch_ptr 0
		.amdhsa_user_sgpr_queue_ptr 0
		.amdhsa_user_sgpr_kernarg_segment_ptr 1
		.amdhsa_user_sgpr_dispatch_id 0
		.amdhsa_user_sgpr_flat_scratch_init 0
		.amdhsa_user_sgpr_kernarg_preload_length 0
		.amdhsa_user_sgpr_kernarg_preload_offset 0
		.amdhsa_user_sgpr_private_segment_size 0
		.amdhsa_uses_dynamic_stack 0
		.amdhsa_system_sgpr_private_segment_wavefront_offset 0
		.amdhsa_system_sgpr_workgroup_id_x 1
		.amdhsa_system_sgpr_workgroup_id_y 1
		.amdhsa_system_sgpr_workgroup_id_z 1
		.amdhsa_system_sgpr_workgroup_info 0
		.amdhsa_system_vgpr_workitem_id 1
		.amdhsa_next_free_vgpr 24
		.amdhsa_next_free_sgpr 22
		.amdhsa_accum_offset 24
		.amdhsa_reserve_vcc 1
		.amdhsa_reserve_flat_scratch 0
		.amdhsa_float_round_mode_32 0
		.amdhsa_float_round_mode_16_64 0
		.amdhsa_float_denorm_mode_32 3
		.amdhsa_float_denorm_mode_16_64 3
		.amdhsa_dx10_clamp 1
		.amdhsa_ieee_mode 1
		.amdhsa_fp16_overflow 0
		.amdhsa_tg_split 0
		.amdhsa_exception_fp_ieee_invalid_op 0
		.amdhsa_exception_fp_denorm_src 0
		.amdhsa_exception_fp_ieee_div_zero 0
		.amdhsa_exception_fp_ieee_overflow 0
		.amdhsa_exception_fp_ieee_underflow 0
		.amdhsa_exception_fp_ieee_inexact 0
		.amdhsa_exception_int_div_zero 0
	.end_amdhsa_kernel
	.section	.text._ZN9rocsolver6v33100L21syevj_offd_rotate_orgILb1E19rocblas_complex_numIdEdPS3_EEvbiiT2_iilPT0_PiS8_S8_,"axG",@progbits,_ZN9rocsolver6v33100L21syevj_offd_rotate_orgILb1E19rocblas_complex_numIdEdPS3_EEvbiiT2_iilPT0_PiS8_S8_,comdat
.Lfunc_end129:
	.size	_ZN9rocsolver6v33100L21syevj_offd_rotate_orgILb1E19rocblas_complex_numIdEdPS3_EEvbiiT2_iilPT0_PiS8_S8_, .Lfunc_end129-_ZN9rocsolver6v33100L21syevj_offd_rotate_orgILb1E19rocblas_complex_numIdEdPS3_EEvbiiT2_iilPT0_PiS8_S8_
                                        ; -- End function
	.section	.AMDGPU.csdata,"",@progbits
; Kernel info:
; codeLenInByte = 864
; NumSgprs: 26
; NumVgprs: 24
; NumAgprs: 0
; TotalNumVgprs: 24
; ScratchSize: 0
; MemoryBound: 0
; FloatMode: 240
; IeeeMode: 1
; LDSByteSize: 0 bytes/workgroup (compile time only)
; SGPRBlocks: 3
; VGPRBlocks: 2
; NumSGPRsForWavesPerEU: 26
; NumVGPRsForWavesPerEU: 24
; AccumOffset: 24
; Occupancy: 8
; WaveLimiterHint : 0
; COMPUTE_PGM_RSRC2:SCRATCH_EN: 0
; COMPUTE_PGM_RSRC2:USER_SGPR: 6
; COMPUTE_PGM_RSRC2:TRAP_HANDLER: 0
; COMPUTE_PGM_RSRC2:TGID_X_EN: 1
; COMPUTE_PGM_RSRC2:TGID_Y_EN: 1
; COMPUTE_PGM_RSRC2:TGID_Z_EN: 1
; COMPUTE_PGM_RSRC2:TIDIG_COMP_CNT: 1
; COMPUTE_PGM_RSRC3_GFX90A:ACCUM_OFFSET: 5
; COMPUTE_PGM_RSRC3_GFX90A:TG_SPLIT: 0
	.section	.text._ZN9rocsolver6v33100L17syevj_offd_rotateILb1E19rocblas_complex_numIdEdPS3_EEvbiiT2_iilPT0_PiS8_S8_i,"axG",@progbits,_ZN9rocsolver6v33100L17syevj_offd_rotateILb1E19rocblas_complex_numIdEdPS3_EEvbiiT2_iilPT0_PiS8_S8_i,comdat
	.globl	_ZN9rocsolver6v33100L17syevj_offd_rotateILb1E19rocblas_complex_numIdEdPS3_EEvbiiT2_iilPT0_PiS8_S8_i ; -- Begin function _ZN9rocsolver6v33100L17syevj_offd_rotateILb1E19rocblas_complex_numIdEdPS3_EEvbiiT2_iilPT0_PiS8_S8_i
	.p2align	8
	.type	_ZN9rocsolver6v33100L17syevj_offd_rotateILb1E19rocblas_complex_numIdEdPS3_EEvbiiT2_iilPT0_PiS8_S8_i,@function
_ZN9rocsolver6v33100L17syevj_offd_rotateILb1E19rocblas_complex_numIdEdPS3_EEvbiiT2_iilPT0_PiS8_S8_i: ; @_ZN9rocsolver6v33100L17syevj_offd_rotateILb1E19rocblas_complex_numIdEdPS3_EEvbiiT2_iilPT0_PiS8_S8_i
; %bb.0:
	s_load_dwordx4 s[20:23], s[4:5], 0x0
	s_load_dword s33, s[4:5], 0x48
	s_waitcnt lgkmcnt(0)
	s_abs_i32 s2, s21
	v_cvt_f32_u32_e32 v1, s2
	s_cmp_ge_u32 s8, s33
	v_rcp_iflag_f32_e32 v1, v1
	v_mul_f32_e32 v1, 0x4f7ffffe, v1
	v_cvt_u32_f32_e32 v1, v1
	v_readfirstlane_b32 s0, v1
	s_cbranch_scc1 .LBB130_35
; %bb.1:
	s_add_i32 s1, s22, -1
	s_ashr_i32 s3, s1, 31
	s_abs_i32 s10, s1
	s_sub_i32 s1, 0, s2
	s_mul_i32 s1, s1, s0
	s_mul_hi_u32 s1, s0, s1
	s_ashr_i32 s9, s21, 31
	s_add_i32 s0, s0, s1
	s_bitcmp1_b32 s20, 0
	s_mul_hi_u32 s23, s10, s0
	s_cselect_b64 s[0:1], -1, 0
	v_cndmask_b32_e64 v5, 0, 1, s[0:1]
	s_xor_b64 s[34:35], s[0:1], -1
	s_mul_i32 s1, s23, s2
	s_sub_i32 s1, s10, s1
	s_xor_b32 s0, s3, s9
	s_add_i32 s3, s23, 1
	s_sub_i32 s9, s1, s2
	s_cmp_ge_u32 s1, s2
	s_cselect_b32 s3, s3, s23
	s_cselect_b32 s1, s9, s1
	s_add_i32 s9, s3, 1
	s_cmp_ge_u32 s1, s2
	s_cselect_b32 s1, s9, s3
	s_xor_b32 s1, s1, s0
	s_sub_i32 s20, s1, s0
	s_add_i32 s46, s20, 1
	s_lshr_b32 s0, s46, 31
	s_add_i32 s0, s46, s0
	s_and_b32 s0, s0, -2
	s_load_dwordx4 s[28:31], s[4:5], 0x10
	s_load_dwordx8 s[12:19], s[4:5], 0x20
	s_sub_i32 s0, s46, s0
	s_load_dwordx2 s[2:3], s[4:5], 0x40
	s_load_dwordx4 s[24:27], s[4:5], 0x50
	s_add_i32 s0, s0, s46
	s_lshr_b32 s1, s0, 31
	s_lshl_b32 s49, s21, 1
	s_add_i32 s0, s0, s1
	s_mul_i32 s4, s49, s21
	s_ashr_i32 s47, s0, 1
	s_lshl_b32 s0, s4, 4
	s_waitcnt lgkmcnt(0)
	s_lshr_b32 s48, s27, 16
	s_and_b32 s27, s27, 0xffff
	s_add_i32 s50, s0, 0
	s_mul_i32 s4, s4, 3
	s_cmpk_lt_u32 s4, 0x1001
	s_mul_i32 s9, s21, s21
	s_mov_b64 s[0:1], src_shared_base
	s_cselect_b64 s[36:37], -1, 0
	s_ashr_i32 s5, s30, 31
	s_lshl_b32 s52, s9, 2
	s_cmp_lt_u32 s6, s47
	s_mul_i32 s0, s20, s21
	s_cselect_b64 s[38:39], -1, 0
	s_sub_i32 s53, s22, s0
	s_cmp_lt_u32 s7, s46
	s_cselect_b64 s[22:23], -1, 0
	s_ashr_i32 s55, s31, 31
	s_mov_b32 s4, s30
	s_add_u32 s57, s2, 4
	s_addc_u32 s58, s3, 0
	s_lshl_b64 s[2:3], s[4:5], 4
	s_add_u32 s59, s28, s2
	v_and_b32_e32 v4, 0x3ff, v0
	v_bfe_u32 v8, v0, 10, 10
	s_addc_u32 s60, s29, s3
	s_lshl_b32 s2, s9, 5
	v_mad_u32_u24 v9, v8, s27, v4
	s_mul_i32 s54, s48, s27
	s_add_i32 s2, s2, 0
	s_mov_b32 s11, 0
	s_mov_b32 s51, s1
	v_cmp_gt_u32_e64 s[0:1], s52, v9
	s_mov_b32 s56, s31
	v_lshl_add_u32 v10, v9, 4, s2
	s_lshl_b32 s61, s54, 4
	s_lshl_b32 s62, s48, 4
	;; [unrolled: 1-line block ×3, first 2 shown]
	v_lshlrev_b32_e32 v11, 4, v8
	v_mov_b32_e32 v7, 0
	s_branch .LBB130_3
.LBB130_2:                              ;   in Loop: Header=BB130_3 Depth=1
	s_add_i32 s8, s8, s26
	s_cmp_ge_u32 s8, s33
	s_cbranch_scc1 .LBB130_35
.LBB130_3:                              ; =>This Loop Header: Depth=1
                                        ;     Child Loop BB130_7 Depth 2
                                        ;       Child Loop BB130_11 Depth 3
                                        ;       Child Loop BB130_17 Depth 3
                                        ;         Child Loop BB130_23 Depth 4
                                        ;           Child Loop BB130_25 Depth 5
                                        ;         Child Loop BB130_29 Depth 4
                                        ;           Child Loop BB130_32 Depth 5
                                        ;             Child Loop BB130_34 Depth 6
	s_mov_b32 s9, s11
	s_lshl_b64 s[2:3], s[8:9], 2
	s_add_u32 s2, s57, s2
	s_addc_u32 s3, s58, s3
	s_load_dword s2, s[2:3], 0x0
	s_waitcnt lgkmcnt(0)
	s_cmp_lg_u32 s2, 0
	s_cbranch_scc1 .LBB130_2
; %bb.4:                                ;   in Loop: Header=BB130_3 Depth=1
	s_andn2_b64 vcc, exec, s[38:39]
	s_cbranch_vccnz .LBB130_2
; %bb.5:                                ;   in Loop: Header=BB130_3 Depth=1
	s_mul_i32 s2, s8, s13
	s_mul_hi_u32 s3, s8, s12
	s_add_i32 s3, s3, s2
	s_mul_i32 s2, s8, s12
	s_lshl_b64 s[2:3], s[2:3], 4
	s_add_u32 s9, s59, s2
	s_addc_u32 s64, s60, s3
	s_mul_i32 s65, s8, s47
	s_mov_b32 s10, s6
	s_branch .LBB130_7
.LBB130_6:                              ;   in Loop: Header=BB130_7 Depth=2
	s_add_i32 s10, s10, s24
	s_cmp_lt_u32 s10, s47
	s_cbranch_scc0 .LBB130_2
.LBB130_7:                              ;   Parent Loop BB130_3 Depth=1
                                        ; =>  This Loop Header: Depth=2
                                        ;       Child Loop BB130_11 Depth 3
                                        ;       Child Loop BB130_17 Depth 3
                                        ;         Child Loop BB130_23 Depth 4
                                        ;           Child Loop BB130_25 Depth 5
                                        ;         Child Loop BB130_29 Depth 4
                                        ;           Child Loop BB130_32 Depth 5
                                        ;             Child Loop BB130_34 Depth 6
	s_lshl_b64 s[2:3], s[10:11], 2
	s_add_u32 s4, s16, s2
	s_addc_u32 s5, s17, s3
	s_add_u32 s2, s18, s2
	s_addc_u32 s3, s19, s3
	global_load_dword v0, v7, s[2:3]
	global_load_dword v1, v7, s[4:5]
	s_waitcnt vmcnt(1)
	v_readfirstlane_b32 s28, v0
	s_waitcnt vmcnt(0)
	v_readfirstlane_b32 s29, v1
	s_max_i32 s66, s29, s28
	s_cmp_gt_i32 s66, s20
	s_cbranch_scc1 .LBB130_6
; %bb.8:                                ;   in Loop: Header=BB130_7 Depth=2
	s_add_i32 s2, s10, s65
	s_mul_i32 s2, s52, s2
	s_mov_b32 s3, s11
	s_lshl_b64 s[2:3], s[2:3], 4
	s_add_u32 s30, s14, s2
	s_addc_u32 s31, s15, s3
	s_andn2_b64 vcc, exec, s[36:37]
	s_cbranch_vccnz .LBB130_13
; %bb.9:                                ;   in Loop: Header=BB130_7 Depth=2
	s_barrier
	s_and_saveexec_b64 s[2:3], s[0:1]
	s_cbranch_execz .LBB130_12
; %bb.10:                               ;   in Loop: Header=BB130_7 Depth=2
	s_mov_b64 s[4:5], 0
	v_mov_b32_e32 v0, s31
	v_mov_b32_e32 v1, v10
	;; [unrolled: 1-line block ×3, first 2 shown]
.LBB130_11:                             ;   Parent Loop BB130_3 Depth=1
                                        ;     Parent Loop BB130_7 Depth=2
                                        ; =>    This Inner Loop Header: Depth=3
	v_lshlrev_b64 v[2:3], 4, v[6:7]
	v_add_co_u32_e32 v2, vcc, s30, v2
	v_addc_co_u32_e32 v3, vcc, v0, v3, vcc
	global_load_dwordx4 v[12:15], v[2:3], off
	v_add_u32_e32 v6, s54, v6
	v_cmp_le_u32_e32 vcc, s52, v6
	s_or_b64 s[4:5], vcc, s[4:5]
	s_waitcnt vmcnt(0)
	ds_write2_b64 v1, v[12:13], v[14:15] offset1:1
	v_add_u32_e32 v1, s61, v1
	s_andn2_b64 exec, exec, s[4:5]
	s_cbranch_execnz .LBB130_11
.LBB130_12:                             ;   in Loop: Header=BB130_7 Depth=2
	s_or_b64 exec, exec, s[2:3]
	s_waitcnt lgkmcnt(0)
	s_barrier
.LBB130_13:                             ;   in Loop: Header=BB130_7 Depth=2
	s_andn2_b64 vcc, exec, s[22:23]
	s_cbranch_vccnz .LBB130_6
; %bb.14:                               ;   in Loop: Header=BB130_7 Depth=2
	s_min_i32 s67, s28, s29
	s_cmp_eq_u32 s20, s67
	s_cselect_b32 s69, s53, s21
	s_cmp_eq_u32 s20, s66
	s_cselect_b32 s2, s53, s21
	s_add_i32 s70, s69, s2
	s_mul_i32 s4, s66, s21
	s_and_b64 s[2:3], s[36:37], exec
	s_cselect_b32 s71, s51, s31
	s_cselect_b32 s72, s50, s30
	s_sub_i32 s73, s4, s69
	v_mad_u64_u32 v[0:1], s[4:5], v8, s70, v[4:5]
	s_cmp_gt_i32 s70, 0
	v_lshl_add_u32 v12, v0, 4, 0
	v_mul_lo_u32 v0, v11, s70
	s_mul_i32 s68, s67, s21
	v_cmp_gt_u32_e64 s[2:3], s70, v4
	s_mul_i32 s74, s62, s70
	v_add_u32_e32 v13, 0, v0
	s_cselect_b64 s[28:29], -1, 0
	s_mov_b32 s75, s7
	s_branch .LBB130_17
.LBB130_15:                             ;   in Loop: Header=BB130_17 Depth=3
	s_or_b64 exec, exec, s[4:5]
	s_barrier
.LBB130_16:                             ;   in Loop: Header=BB130_17 Depth=3
	s_add_i32 s75, s75, s25
	s_cmp_lt_u32 s75, s46
	s_cbranch_scc0 .LBB130_6
.LBB130_17:                             ;   Parent Loop BB130_3 Depth=1
                                        ;     Parent Loop BB130_7 Depth=2
                                        ; =>    This Loop Header: Depth=3
                                        ;         Child Loop BB130_23 Depth 4
                                        ;           Child Loop BB130_25 Depth 5
                                        ;         Child Loop BB130_29 Depth 4
                                        ;           Child Loop BB130_32 Depth 5
                                        ;             Child Loop BB130_34 Depth 6
	v_cmp_ne_u32_e32 vcc, 1, v5
	s_mov_b64 s[4:5], s[34:35]
	s_cbranch_vccz .LBB130_19
; %bb.18:                               ;   in Loop: Header=BB130_17 Depth=3
	s_andn2_b64 vcc, exec, s[4:5]
	s_cbranch_vccnz .LBB130_16
	s_branch .LBB130_20
.LBB130_19:                             ;   in Loop: Header=BB130_17 Depth=3
	s_cmp_lg_u32 s75, s67
	s_cselect_b64 s[4:5], -1, 0
	s_cmp_lg_u32 s75, s66
	s_cselect_b64 s[30:31], -1, 0
	s_and_b64 s[4:5], s[4:5], s[30:31]
	s_andn2_b64 vcc, exec, s[4:5]
	s_cbranch_vccnz .LBB130_16
.LBB130_20:                             ;   in Loop: Header=BB130_17 Depth=3
	s_cmp_eq_u32 s20, s75
	s_cselect_b32 s77, s53, s21
	s_mul_i32 s76, s75, s21
	v_cmp_gt_u32_e32 vcc, s77, v8
	s_barrier
	s_and_saveexec_b64 s[30:31], vcc
	s_cbranch_execz .LBB130_26
; %bb.21:                               ;   in Loop: Header=BB130_17 Depth=3
	s_mov_b64 s[40:41], 0
	v_mov_b32_e32 v0, v12
	v_mov_b32_e32 v1, v8
	s_branch .LBB130_23
.LBB130_22:                             ;   in Loop: Header=BB130_23 Depth=4
	s_or_b64 exec, exec, s[42:43]
	v_add_u32_e32 v1, s48, v1
	v_cmp_le_u32_e64 s[4:5], s77, v1
	s_or_b64 s[40:41], s[4:5], s[40:41]
	v_add_u32_e32 v0, s74, v0
	s_andn2_b64 exec, exec, s[40:41]
	s_cbranch_execz .LBB130_26
.LBB130_23:                             ;   Parent Loop BB130_3 Depth=1
                                        ;     Parent Loop BB130_7 Depth=2
                                        ;       Parent Loop BB130_17 Depth=3
                                        ; =>      This Loop Header: Depth=4
                                        ;           Child Loop BB130_25 Depth 5
	s_and_saveexec_b64 s[42:43], s[2:3]
	s_cbranch_execz .LBB130_22
; %bb.24:                               ;   in Loop: Header=BB130_23 Depth=4
	v_add_u32_e32 v14, s76, v1
	v_mad_u64_u32 v[2:3], s[4:5], v14, s56, 0
	v_mov_b32_e32 v6, v3
	v_mad_u64_u32 v[14:15], s[4:5], v14, s55, v[6:7]
	v_mov_b32_e32 v3, v14
	v_lshlrev_b64 v[2:3], 4, v[2:3]
	v_mov_b32_e32 v6, s64
	v_add_co_u32_e64 v2, s[4:5], s9, v2
	v_addc_co_u32_e64 v3, s[4:5], v6, v3, s[4:5]
	s_mov_b64 s[44:45], 0
	v_mov_b32_e32 v14, v0
	v_mov_b32_e32 v15, v4
.LBB130_25:                             ;   Parent Loop BB130_3 Depth=1
                                        ;     Parent Loop BB130_7 Depth=2
                                        ;       Parent Loop BB130_17 Depth=3
                                        ;         Parent Loop BB130_23 Depth=4
                                        ; =>        This Inner Loop Header: Depth=5
	v_mov_b32_e32 v6, s73
	v_mov_b32_e32 v16, s68
	v_cmp_gt_u32_e64 s[4:5], s69, v15
	v_cndmask_b32_e64 v6, v6, v16, s[4:5]
	v_add_u32_e32 v6, v6, v15
	v_lshlrev_b64 v[16:17], 4, v[6:7]
	v_add_co_u32_e64 v16, s[4:5], v2, v16
	v_addc_co_u32_e64 v17, s[4:5], v3, v17, s[4:5]
	global_load_dwordx4 v[16:19], v[16:17], off
	v_add_u32_e32 v15, s27, v15
	v_cmp_le_u32_e64 s[4:5], s70, v15
	s_or_b64 s[44:45], s[4:5], s[44:45]
	s_waitcnt vmcnt(0)
	ds_write2_b64 v14, v[16:17], v[18:19] offset1:1
	v_add_u32_e32 v14, s63, v14
	s_andn2_b64 exec, exec, s[44:45]
	s_cbranch_execnz .LBB130_25
	s_branch .LBB130_22
.LBB130_26:                             ;   in Loop: Header=BB130_17 Depth=3
	s_or_b64 exec, exec, s[30:31]
	s_waitcnt lgkmcnt(0)
	s_barrier
	s_and_saveexec_b64 s[4:5], vcc
	s_cbranch_execz .LBB130_15
; %bb.27:                               ;   in Loop: Header=BB130_17 Depth=3
	s_mov_b64 s[30:31], 0
	v_mov_b32_e32 v14, v13
	v_mov_b32_e32 v15, v8
	s_branch .LBB130_29
.LBB130_28:                             ;   in Loop: Header=BB130_29 Depth=4
	s_or_b64 exec, exec, s[40:41]
	v_add_u32_e32 v15, s48, v15
	v_cmp_le_u32_e32 vcc, s77, v15
	s_or_b64 s[30:31], vcc, s[30:31]
	v_add_u32_e32 v14, s74, v14
	s_andn2_b64 exec, exec, s[30:31]
	s_cbranch_execz .LBB130_15
.LBB130_29:                             ;   Parent Loop BB130_3 Depth=1
                                        ;     Parent Loop BB130_7 Depth=2
                                        ;       Parent Loop BB130_17 Depth=3
                                        ; =>      This Loop Header: Depth=4
                                        ;           Child Loop BB130_32 Depth 5
                                        ;             Child Loop BB130_34 Depth 6
	s_and_saveexec_b64 s[40:41], s[2:3]
	s_cbranch_execz .LBB130_28
; %bb.30:                               ;   in Loop: Header=BB130_29 Depth=4
	v_add_u32_e32 v3, s76, v15
	v_mad_u64_u32 v[0:1], s[42:43], v3, s56, 0
	v_mov_b32_e32 v2, v1
	v_mad_u64_u32 v[2:3], s[42:43], v3, s55, v[2:3]
	v_mov_b32_e32 v1, v2
	v_lshlrev_b64 v[0:1], 4, v[0:1]
	v_mov_b32_e32 v2, s64
	v_add_co_u32_e32 v16, vcc, s9, v0
	v_addc_co_u32_e32 v17, vcc, v2, v1, vcc
	s_mov_b64 s[42:43], 0
	v_mov_b32_e32 v18, v4
	s_branch .LBB130_32
.LBB130_31:                             ;   in Loop: Header=BB130_32 Depth=5
	v_mov_b32_e32 v6, s73
	v_mov_b32_e32 v19, s68
	v_cmp_gt_u32_e32 vcc, s69, v18
	v_cndmask_b32_e32 v6, v6, v19, vcc
	v_add_u32_e32 v6, v18, v6
	v_lshlrev_b64 v[20:21], 4, v[6:7]
	v_add_co_u32_e32 v20, vcc, v16, v20
	v_addc_co_u32_e32 v21, vcc, v17, v21, vcc
	v_add_u32_e32 v18, s27, v18
	v_cmp_le_u32_e32 vcc, s70, v18
	s_or_b64 s[42:43], vcc, s[42:43]
	global_store_dwordx4 v[20:21], v[0:3], off
	s_andn2_b64 exec, exec, s[42:43]
	s_cbranch_execz .LBB130_28
.LBB130_32:                             ;   Parent Loop BB130_3 Depth=1
                                        ;     Parent Loop BB130_7 Depth=2
                                        ;       Parent Loop BB130_17 Depth=3
                                        ;         Parent Loop BB130_29 Depth=4
                                        ; =>        This Loop Header: Depth=5
                                        ;             Child Loop BB130_34 Depth 6
	v_pk_mov_b32 v[2:3], 0, 0
	s_andn2_b64 vcc, exec, s[28:29]
	v_pk_mov_b32 v[0:1], v[2:3], v[2:3] op_sel:[0,1]
	s_cbranch_vccnz .LBB130_31
; %bb.33:                               ;   in Loop: Header=BB130_32 Depth=5
	v_pk_mov_b32 v[2:3], 0, 0
	v_mov_b32_e32 v19, v14
	v_mov_b32_e32 v6, v18
	s_mov_b32 s44, s70
	v_pk_mov_b32 v[0:1], v[2:3], v[2:3] op_sel:[0,1]
.LBB130_34:                             ;   Parent Loop BB130_3 Depth=1
                                        ;     Parent Loop BB130_7 Depth=2
                                        ;       Parent Loop BB130_17 Depth=3
                                        ;         Parent Loop BB130_29 Depth=4
                                        ;           Parent Loop BB130_32 Depth=5
                                        ; =>          This Inner Loop Header: Depth=6
	v_lshlrev_b64 v[20:21], 4, v[6:7]
	v_mov_b32_e32 v22, s71
	v_add_co_u32_e32 v20, vcc, s72, v20
	v_addc_co_u32_e32 v21, vcc, v22, v21, vcc
	flat_load_dwordx4 v[20:23], v[20:21]
	ds_read2_b64 v[24:27], v19 offset1:1
	s_add_i32 s44, s44, -1
	v_add_u32_e32 v6, s49, v6
	v_add_u32_e32 v19, 16, v19
	s_cmp_eq_u32 s44, 0
	s_waitcnt vmcnt(0) lgkmcnt(0)
	v_mul_f64 v[28:29], v[22:23], v[26:27]
	v_mul_f64 v[22:23], v[22:23], v[24:25]
	v_fmac_f64_e32 v[28:29], v[20:21], v[24:25]
	v_fma_f64 v[20:21], v[20:21], v[26:27], -v[22:23]
	v_add_f64 v[0:1], v[0:1], v[28:29]
	v_add_f64 v[2:3], v[2:3], v[20:21]
	s_cbranch_scc0 .LBB130_34
	s_branch .LBB130_31
.LBB130_35:
	s_endpgm
	.section	.rodata,"a",@progbits
	.p2align	6, 0x0
	.amdhsa_kernel _ZN9rocsolver6v33100L17syevj_offd_rotateILb1E19rocblas_complex_numIdEdPS3_EEvbiiT2_iilPT0_PiS8_S8_i
		.amdhsa_group_segment_fixed_size 0
		.amdhsa_private_segment_fixed_size 0
		.amdhsa_kernarg_size 336
		.amdhsa_user_sgpr_count 6
		.amdhsa_user_sgpr_private_segment_buffer 1
		.amdhsa_user_sgpr_dispatch_ptr 0
		.amdhsa_user_sgpr_queue_ptr 0
		.amdhsa_user_sgpr_kernarg_segment_ptr 1
		.amdhsa_user_sgpr_dispatch_id 0
		.amdhsa_user_sgpr_flat_scratch_init 0
		.amdhsa_user_sgpr_kernarg_preload_length 0
		.amdhsa_user_sgpr_kernarg_preload_offset 0
		.amdhsa_user_sgpr_private_segment_size 0
		.amdhsa_uses_dynamic_stack 0
		.amdhsa_system_sgpr_private_segment_wavefront_offset 0
		.amdhsa_system_sgpr_workgroup_id_x 1
		.amdhsa_system_sgpr_workgroup_id_y 1
		.amdhsa_system_sgpr_workgroup_id_z 1
		.amdhsa_system_sgpr_workgroup_info 0
		.amdhsa_system_vgpr_workitem_id 1
		.amdhsa_next_free_vgpr 30
		.amdhsa_next_free_sgpr 78
		.amdhsa_accum_offset 32
		.amdhsa_reserve_vcc 1
		.amdhsa_reserve_flat_scratch 0
		.amdhsa_float_round_mode_32 0
		.amdhsa_float_round_mode_16_64 0
		.amdhsa_float_denorm_mode_32 3
		.amdhsa_float_denorm_mode_16_64 3
		.amdhsa_dx10_clamp 1
		.amdhsa_ieee_mode 1
		.amdhsa_fp16_overflow 0
		.amdhsa_tg_split 0
		.amdhsa_exception_fp_ieee_invalid_op 0
		.amdhsa_exception_fp_denorm_src 0
		.amdhsa_exception_fp_ieee_div_zero 0
		.amdhsa_exception_fp_ieee_overflow 0
		.amdhsa_exception_fp_ieee_underflow 0
		.amdhsa_exception_fp_ieee_inexact 0
		.amdhsa_exception_int_div_zero 0
	.end_amdhsa_kernel
	.section	.text._ZN9rocsolver6v33100L17syevj_offd_rotateILb1E19rocblas_complex_numIdEdPS3_EEvbiiT2_iilPT0_PiS8_S8_i,"axG",@progbits,_ZN9rocsolver6v33100L17syevj_offd_rotateILb1E19rocblas_complex_numIdEdPS3_EEvbiiT2_iilPT0_PiS8_S8_i,comdat
.Lfunc_end130:
	.size	_ZN9rocsolver6v33100L17syevj_offd_rotateILb1E19rocblas_complex_numIdEdPS3_EEvbiiT2_iilPT0_PiS8_S8_i, .Lfunc_end130-_ZN9rocsolver6v33100L17syevj_offd_rotateILb1E19rocblas_complex_numIdEdPS3_EEvbiiT2_iilPT0_PiS8_S8_i
                                        ; -- End function
	.section	.AMDGPU.csdata,"",@progbits
; Kernel info:
; codeLenInByte = 1536
; NumSgprs: 82
; NumVgprs: 30
; NumAgprs: 0
; TotalNumVgprs: 30
; ScratchSize: 0
; MemoryBound: 0
; FloatMode: 240
; IeeeMode: 1
; LDSByteSize: 0 bytes/workgroup (compile time only)
; SGPRBlocks: 10
; VGPRBlocks: 3
; NumSGPRsForWavesPerEU: 82
; NumVGPRsForWavesPerEU: 30
; AccumOffset: 32
; Occupancy: 8
; WaveLimiterHint : 1
; COMPUTE_PGM_RSRC2:SCRATCH_EN: 0
; COMPUTE_PGM_RSRC2:USER_SGPR: 6
; COMPUTE_PGM_RSRC2:TRAP_HANDLER: 0
; COMPUTE_PGM_RSRC2:TGID_X_EN: 1
; COMPUTE_PGM_RSRC2:TGID_Y_EN: 1
; COMPUTE_PGM_RSRC2:TGID_Z_EN: 1
; COMPUTE_PGM_RSRC2:TIDIG_COMP_CNT: 1
; COMPUTE_PGM_RSRC3_GFX90A:ACCUM_OFFSET: 7
; COMPUTE_PGM_RSRC3_GFX90A:TG_SPLIT: 0
	.section	.text._ZN9rocsolver6v33100L17syevj_cycle_pairsI19rocblas_complex_numIdEEEviPiS4_,"axG",@progbits,_ZN9rocsolver6v33100L17syevj_cycle_pairsI19rocblas_complex_numIdEEEviPiS4_,comdat
	.globl	_ZN9rocsolver6v33100L17syevj_cycle_pairsI19rocblas_complex_numIdEEEviPiS4_ ; -- Begin function _ZN9rocsolver6v33100L17syevj_cycle_pairsI19rocblas_complex_numIdEEEviPiS4_
	.p2align	8
	.type	_ZN9rocsolver6v33100L17syevj_cycle_pairsI19rocblas_complex_numIdEEEviPiS4_,@function
_ZN9rocsolver6v33100L17syevj_cycle_pairsI19rocblas_complex_numIdEEEviPiS4_: ; @_ZN9rocsolver6v33100L17syevj_cycle_pairsI19rocblas_complex_numIdEEEviPiS4_
; %bb.0:
	s_load_dword s8, s[4:5], 0x0
	s_load_dwordx4 s[0:3], s[4:5], 0x8
	s_load_dword s11, s[4:5], 0x24
	v_cmp_eq_u32_e32 vcc, 0, v0
	s_waitcnt lgkmcnt(0)
	s_add_i32 s9, s8, -1
	s_and_saveexec_b64 s[4:5], vcc
	s_cbranch_execz .LBB131_6
; %bb.1:
	s_lshl_b32 s6, s9, 1
	s_or_b32 s7, s6, 1
	s_bfe_i32 s10, s9, 0x1001e
	s_add_i32 s12, s7, s10
	s_xor_b32 s10, s12, s10
	v_cvt_f32_u32_e32 v1, s10
	s_load_dword s12, s[2:3], 0x0
	s_sub_i32 s14, 0, s10
	v_rcp_iflag_f32_e32 v1, v1
	s_waitcnt lgkmcnt(0)
	s_add_i32 s12, s12, -1
	s_ashr_i32 s13, s12, 31
	v_mul_f32_e32 v1, 0x4f7ffffe, v1
	v_cvt_u32_f32_e32 v1, v1
	s_abs_i32 s12, s12
	v_readfirstlane_b32 s15, v1
	s_mul_i32 s14, s14, s15
	s_mul_hi_u32 s14, s15, s14
	s_add_i32 s15, s15, s14
	s_mul_hi_u32 s14, s12, s15
	s_mul_i32 s14, s14, s10
	s_sub_i32 s12, s12, s14
	s_sub_i32 s14, s12, s10
	s_cmp_ge_u32 s12, s10
	s_cselect_b32 s12, s14, s12
	s_sub_i32 s14, s12, s10
	s_cmp_ge_u32 s12, s10
	s_cselect_b32 s10, s14, s12
	s_xor_b32 s10, s10, s13
	s_sub_i32 s10, s10, s13
	s_bitcmp0_b32 s10, 0
	s_cbranch_scc1 .LBB131_3
; %bb.2:
	s_add_i32 s12, s10, 3
	s_cmp_gt_i32 s12, s6
	s_cselect_b32 s12, s7, s12
	s_cbranch_execz .LBB131_4
	s_branch .LBB131_5
.LBB131_3:
                                        ; implicit-def: $sgpr12
.LBB131_4:
	s_add_i32 s6, s10, -1
	s_cmp_gt_i32 s10, 1
	s_cselect_b32 s12, s6, 2
.LBB131_5:
	v_mov_b32_e32 v1, 0
	v_mov_b32_e32 v2, s12
	global_store_dword v1, v2, s[2:3]
.LBB131_6:
	s_or_b64 exec, exec, s[4:5]
	v_add_u32_e32 v4, 1, v0
	v_cmp_gt_i32_e32 vcc, s8, v4
	s_and_saveexec_b64 s[4:5], vcc
	s_cbranch_execz .LBB131_17
; %bb.7:
	s_lshl_b32 s9, s9, 1
	s_or_b32 s10, s9, 1
	v_cvt_f32_u32_e32 v1, s10
	v_lshlrev_b32_e32 v0, 2, v0
	v_add_co_u32_e32 v0, vcc, 4, v0
	v_rcp_iflag_f32_e32 v1, v1
	s_and_b32 s11, 0xffff, s11
	s_mov_b32 s6, 0
	s_lshl_b32 s12, s11, 2
	v_mul_f32_e32 v1, 0x4f7ffffe, v1
	v_cvt_u32_f32_e32 v2, v1
	v_addc_co_u32_e64 v1, s[4:5], 0, 0, vcc
	s_sub_i32 s4, 0, s10
	v_mul_lo_u32 v3, s4, v2
	v_mul_hi_u32 v3, v2, v3
	v_add_u32_e32 v5, v2, v3
	s_mov_b64 s[4:5], 0
	v_mov_b32_e32 v6, s1
	v_mov_b32_e32 v7, s3
	;; [unrolled: 1-line block ×3, first 2 shown]
	s_branch .LBB131_9
.LBB131_8:                              ;   in Loop: Header=BB131_9 Depth=1
	s_or_b64 exec, exec, s[6:7]
	v_add_u32_e32 v4, s11, v4
	v_cmp_le_i32_e32 vcc, s8, v4
	s_or_b64 s[4:5], vcc, s[4:5]
	v_add_co_u32_e32 v0, vcc, s12, v0
	v_addc_co_u32_e32 v1, vcc, v1, v8, vcc
	global_store_dword v[2:3], v9, off
	s_andn2_b64 exec, exec, s[4:5]
	s_cbranch_execz .LBB131_17
.LBB131_9:                              ; =>This Inner Loop Header: Depth=1
	v_add_co_u32_e32 v2, vcc, s0, v0
	v_addc_co_u32_e32 v3, vcc, v6, v1, vcc
	global_load_dword v9, v[2:3], off
	s_waitcnt vmcnt(0)
	v_add_u32_e32 v9, -1, v9
	v_sub_u32_e32 v11, 0, v9
	v_ashrrev_i32_e32 v10, 31, v9
	v_max_i32_e32 v9, v9, v11
	v_mul_hi_u32 v11, v9, v5
	v_mul_lo_u32 v11, v11, s10
	v_sub_u32_e32 v9, v9, v11
	v_subrev_u32_e32 v11, s10, v9
	v_cmp_le_u32_e32 vcc, s10, v9
	v_cndmask_b32_e32 v9, v9, v11, vcc
	v_subrev_u32_e32 v11, s10, v9
	v_cmp_le_u32_e32 vcc, s10, v9
	v_cndmask_b32_e32 v9, v9, v11, vcc
	v_xor_b32_e32 v9, v9, v10
	v_sub_u32_e32 v10, v9, v10
	v_and_b32_e32 v9, 1, v10
	v_cmp_eq_u32_e32 vcc, 1, v9
                                        ; implicit-def: $vgpr9
	s_and_saveexec_b64 s[6:7], vcc
	s_xor_b64 s[6:7], exec, s[6:7]
; %bb.10:                               ;   in Loop: Header=BB131_9 Depth=1
	v_add_u32_e32 v9, 3, v10
	v_mov_b32_e32 v10, s10
	v_cmp_lt_i32_e32 vcc, s9, v9
	v_cndmask_b32_e32 v9, v9, v10, vcc
                                        ; implicit-def: $vgpr10
; %bb.11:                               ;   in Loop: Header=BB131_9 Depth=1
	s_andn2_saveexec_b64 s[6:7], s[6:7]
; %bb.12:                               ;   in Loop: Header=BB131_9 Depth=1
	v_add_u32_e32 v9, -1, v10
	v_cmp_lt_i32_e32 vcc, 1, v10
	v_cndmask_b32_e32 v9, 2, v9, vcc
; %bb.13:                               ;   in Loop: Header=BB131_9 Depth=1
	s_or_b64 exec, exec, s[6:7]
	global_store_dword v[2:3], v9, off
	v_add_co_u32_e32 v2, vcc, s2, v0
	v_addc_co_u32_e32 v3, vcc, v7, v1, vcc
	global_load_dword v9, v[2:3], off
	s_waitcnt vmcnt(0)
	v_add_u32_e32 v9, -1, v9
	v_sub_u32_e32 v11, 0, v9
	v_ashrrev_i32_e32 v10, 31, v9
	v_max_i32_e32 v9, v9, v11
	v_mul_hi_u32 v11, v9, v5
	v_mul_lo_u32 v11, v11, s10
	v_sub_u32_e32 v9, v9, v11
	v_subrev_u32_e32 v11, s10, v9
	v_cmp_le_u32_e32 vcc, s10, v9
	v_cndmask_b32_e32 v9, v9, v11, vcc
	v_subrev_u32_e32 v11, s10, v9
	v_cmp_le_u32_e32 vcc, s10, v9
	v_cndmask_b32_e32 v9, v9, v11, vcc
	v_xor_b32_e32 v9, v9, v10
	v_sub_u32_e32 v10, v9, v10
	v_and_b32_e32 v9, 1, v10
	v_cmp_eq_u32_e32 vcc, 1, v9
                                        ; implicit-def: $vgpr9
	s_and_saveexec_b64 s[6:7], vcc
	s_xor_b64 s[6:7], exec, s[6:7]
; %bb.14:                               ;   in Loop: Header=BB131_9 Depth=1
	v_add_u32_e32 v9, 3, v10
	v_mov_b32_e32 v10, s10
	v_cmp_lt_i32_e32 vcc, s9, v9
	v_cndmask_b32_e32 v9, v9, v10, vcc
                                        ; implicit-def: $vgpr10
; %bb.15:                               ;   in Loop: Header=BB131_9 Depth=1
	s_andn2_saveexec_b64 s[6:7], s[6:7]
	s_cbranch_execz .LBB131_8
; %bb.16:                               ;   in Loop: Header=BB131_9 Depth=1
	v_add_u32_e32 v9, -1, v10
	v_cmp_lt_i32_e32 vcc, 1, v10
	v_cndmask_b32_e32 v9, 2, v9, vcc
	s_branch .LBB131_8
.LBB131_17:
	s_endpgm
	.section	.rodata,"a",@progbits
	.p2align	6, 0x0
	.amdhsa_kernel _ZN9rocsolver6v33100L17syevj_cycle_pairsI19rocblas_complex_numIdEEEviPiS4_
		.amdhsa_group_segment_fixed_size 0
		.amdhsa_private_segment_fixed_size 0
		.amdhsa_kernarg_size 280
		.amdhsa_user_sgpr_count 6
		.amdhsa_user_sgpr_private_segment_buffer 1
		.amdhsa_user_sgpr_dispatch_ptr 0
		.amdhsa_user_sgpr_queue_ptr 0
		.amdhsa_user_sgpr_kernarg_segment_ptr 1
		.amdhsa_user_sgpr_dispatch_id 0
		.amdhsa_user_sgpr_flat_scratch_init 0
		.amdhsa_user_sgpr_kernarg_preload_length 0
		.amdhsa_user_sgpr_kernarg_preload_offset 0
		.amdhsa_user_sgpr_private_segment_size 0
		.amdhsa_uses_dynamic_stack 0
		.amdhsa_system_sgpr_private_segment_wavefront_offset 0
		.amdhsa_system_sgpr_workgroup_id_x 1
		.amdhsa_system_sgpr_workgroup_id_y 0
		.amdhsa_system_sgpr_workgroup_id_z 0
		.amdhsa_system_sgpr_workgroup_info 0
		.amdhsa_system_vgpr_workitem_id 0
		.amdhsa_next_free_vgpr 12
		.amdhsa_next_free_sgpr 16
		.amdhsa_accum_offset 12
		.amdhsa_reserve_vcc 1
		.amdhsa_reserve_flat_scratch 0
		.amdhsa_float_round_mode_32 0
		.amdhsa_float_round_mode_16_64 0
		.amdhsa_float_denorm_mode_32 3
		.amdhsa_float_denorm_mode_16_64 3
		.amdhsa_dx10_clamp 1
		.amdhsa_ieee_mode 1
		.amdhsa_fp16_overflow 0
		.amdhsa_tg_split 0
		.amdhsa_exception_fp_ieee_invalid_op 0
		.amdhsa_exception_fp_denorm_src 0
		.amdhsa_exception_fp_ieee_div_zero 0
		.amdhsa_exception_fp_ieee_overflow 0
		.amdhsa_exception_fp_ieee_underflow 0
		.amdhsa_exception_fp_ieee_inexact 0
		.amdhsa_exception_int_div_zero 0
	.end_amdhsa_kernel
	.section	.text._ZN9rocsolver6v33100L17syevj_cycle_pairsI19rocblas_complex_numIdEEEviPiS4_,"axG",@progbits,_ZN9rocsolver6v33100L17syevj_cycle_pairsI19rocblas_complex_numIdEEEviPiS4_,comdat
.Lfunc_end131:
	.size	_ZN9rocsolver6v33100L17syevj_cycle_pairsI19rocblas_complex_numIdEEEviPiS4_, .Lfunc_end131-_ZN9rocsolver6v33100L17syevj_cycle_pairsI19rocblas_complex_numIdEEEviPiS4_
                                        ; -- End function
	.section	.AMDGPU.csdata,"",@progbits
; Kernel info:
; codeLenInByte = 692
; NumSgprs: 20
; NumVgprs: 12
; NumAgprs: 0
; TotalNumVgprs: 12
; ScratchSize: 0
; MemoryBound: 0
; FloatMode: 240
; IeeeMode: 1
; LDSByteSize: 0 bytes/workgroup (compile time only)
; SGPRBlocks: 2
; VGPRBlocks: 1
; NumSGPRsForWavesPerEU: 20
; NumVGPRsForWavesPerEU: 12
; AccumOffset: 12
; Occupancy: 8
; WaveLimiterHint : 0
; COMPUTE_PGM_RSRC2:SCRATCH_EN: 0
; COMPUTE_PGM_RSRC2:USER_SGPR: 6
; COMPUTE_PGM_RSRC2:TRAP_HANDLER: 0
; COMPUTE_PGM_RSRC2:TGID_X_EN: 1
; COMPUTE_PGM_RSRC2:TGID_Y_EN: 0
; COMPUTE_PGM_RSRC2:TGID_Z_EN: 0
; COMPUTE_PGM_RSRC2:TIDIG_COMP_CNT: 0
; COMPUTE_PGM_RSRC3_GFX90A:ACCUM_OFFSET: 2
; COMPUTE_PGM_RSRC3_GFX90A:TG_SPLIT: 0
	.section	.text._ZN9rocsolver6v33100L15syevj_calc_normI19rocblas_complex_numIdEdEEviiPT0_PT_S5_Pi,"axG",@progbits,_ZN9rocsolver6v33100L15syevj_calc_normI19rocblas_complex_numIdEdEEviiPT0_PT_S5_Pi,comdat
	.globl	_ZN9rocsolver6v33100L15syevj_calc_normI19rocblas_complex_numIdEdEEviiPT0_PT_S5_Pi ; -- Begin function _ZN9rocsolver6v33100L15syevj_calc_normI19rocblas_complex_numIdEdEEviiPT0_PT_S5_Pi
	.p2align	8
	.type	_ZN9rocsolver6v33100L15syevj_calc_normI19rocblas_complex_numIdEdEEviiPT0_PT_S5_Pi,@function
_ZN9rocsolver6v33100L15syevj_calc_normI19rocblas_complex_numIdEdEEviiPT0_PT_S5_Pi: ; @_ZN9rocsolver6v33100L15syevj_calc_normI19rocblas_complex_numIdEdEEviiPT0_PT_S5_Pi
; %bb.0:
	s_load_dwordx8 s[8:15], s[4:5], 0x8
	s_mov_b32 s2, s7
	s_ashr_i32 s3, s7, 31
	s_lshl_b64 s[0:1], s[2:3], 2
	s_waitcnt lgkmcnt(0)
	s_add_u32 s0, s14, s0
	s_addc_u32 s1, s15, s1
	s_load_dword s6, s[0:1], 0x4
	s_waitcnt lgkmcnt(0)
	s_cmp_lg_u32 s6, 0
	s_cbranch_scc0 .LBB132_2
.LBB132_1:
	s_endpgm
.LBB132_2:
	s_load_dword s16, s[4:5], 0x34
	s_load_dwordx2 s[6:7], s[4:5], 0x0
	v_pk_mov_b32 v[2:3], 0, 0
	s_waitcnt lgkmcnt(0)
	s_and_b32 s22, s16, 0xffff
	v_cmp_gt_i32_e32 vcc, s6, v0
	s_and_saveexec_b64 s[4:5], vcc
	s_cbranch_execz .LBB132_10
; %bb.3:
	s_mul_i32 s16, s2, s6
	s_mul_i32 s16, s16, s6
	s_ashr_i32 s17, s16, 31
	s_lshl_b64 s[16:17], s[16:17], 4
	s_add_u32 s10, s10, s16
	v_lshlrev_b32_e32 v1, 4, v0
	s_addc_u32 s11, s11, s17
	v_mov_b32_e32 v2, s11
	v_add_co_u32_e32 v1, vcc, s10, v1
	v_addc_co_u32_e32 v2, vcc, 0, v2, vcc
	s_ashr_i32 s11, s6, 31
	s_mov_b32 s10, s6
	s_mov_b32 s18, 0
	v_add_co_u32_e32 v4, vcc, 8, v1
	s_lshl_b64 s[16:17], s[10:11], 4
	v_addc_co_u32_e32 v5, vcc, 0, v2, vcc
	s_lshl_b32 s23, s22, 4
	s_mov_b64 s[10:11], 0
	v_pk_mov_b32 v[2:3], 0, 0
	v_mov_b32_e32 v1, s17
	v_mov_b32_e32 v8, s18
	;; [unrolled: 1-line block ×3, first 2 shown]
	s_branch .LBB132_6
.LBB132_4:                              ;   in Loop: Header=BB132_6 Depth=1
	s_or_b64 exec, exec, s[20:21]
.LBB132_5:                              ;   in Loop: Header=BB132_6 Depth=1
	s_or_b64 exec, exec, s[18:19]
	v_add_u32_e32 v9, s22, v9
	v_cmp_le_i32_e32 vcc, s6, v9
	s_or_b64 s[10:11], vcc, s[10:11]
	v_add_co_u32_e32 v4, vcc, s23, v4
	v_addc_co_u32_e32 v5, vcc, v5, v8, vcc
	s_andn2_b64 exec, exec, s[10:11]
	s_cbranch_execz .LBB132_9
.LBB132_6:                              ; =>This Loop Header: Depth=1
                                        ;     Child Loop BB132_8 Depth 2
	v_cmp_ne_u32_e32 vcc, 0, v9
	s_and_saveexec_b64 s[18:19], vcc
	s_cbranch_execz .LBB132_5
; %bb.7:                                ;   in Loop: Header=BB132_6 Depth=1
	s_mov_b32 s17, 0
	s_mov_b64 s[20:21], 0
	v_pk_mov_b32 v[6:7], v[4:5], v[4:5] op_sel:[0,1]
.LBB132_8:                              ;   Parent Loop BB132_6 Depth=1
                                        ; =>  This Inner Loop Header: Depth=2
	global_load_dwordx4 v[10:13], v[6:7], off offset:-8
	v_add_co_u32_e32 v6, vcc, s16, v6
	s_add_i32 s17, s17, 1
	v_addc_co_u32_e32 v7, vcc, v7, v1, vcc
	v_cmp_ge_u32_e32 vcc, s17, v9
	s_or_b64 s[20:21], vcc, s[20:21]
	s_waitcnt vmcnt(0)
	v_mul_f64 v[12:13], v[12:13], v[12:13]
	v_fmac_f64_e32 v[12:13], v[10:11], v[10:11]
	v_fmac_f64_e32 v[2:3], 2.0, v[12:13]
	s_andn2_b64 exec, exec, s[20:21]
	s_cbranch_execnz .LBB132_8
	s_branch .LBB132_4
.LBB132_9:
	s_or_b64 exec, exec, s[10:11]
.LBB132_10:
	s_or_b64 exec, exec, s[4:5]
	v_lshl_add_u32 v1, v0, 3, 0
	v_cmp_eq_u32_e32 vcc, 0, v0
	ds_write_b64 v1, v[2:3]
	s_waitcnt lgkmcnt(0)
	s_barrier
	s_and_saveexec_b64 s[4:5], vcc
	s_cbranch_execz .LBB132_1
; %bb.11:
	s_min_i32 s5, s22, s6
	s_cmp_lt_i32 s5, 2
	s_cbranch_scc1 .LBB132_20
; %bb.12:
	s_add_i32 s4, s5, -1
	s_add_i32 s5, s5, -2
	s_cmp_lt_u32 s5, 7
	s_cbranch_scc1 .LBB132_16
; %bb.13:
	s_mov_b32 s10, 0
	s_add_i32 s5, 0, 8
	s_and_b32 s6, s4, -8
.LBB132_14:                             ; =>This Inner Loop Header: Depth=1
	v_mov_b32_e32 v0, s5
	ds_read2_b64 v[4:7], v0 offset1:1
	ds_read2_b64 v[8:11], v0 offset0:2 offset1:3
	ds_read2_b64 v[12:15], v0 offset0:4 offset1:5
	;; [unrolled: 1-line block ×3, first 2 shown]
	s_mov_b32 s11, s10
	s_waitcnt lgkmcnt(3)
	v_add_f64 v[0:1], v[2:3], v[4:5]
	v_add_f64 v[0:1], v[0:1], v[6:7]
	s_waitcnt lgkmcnt(2)
	v_add_f64 v[0:1], v[0:1], v[8:9]
	v_add_f64 v[0:1], v[0:1], v[10:11]
	;; [unrolled: 3-line block ×3, first 2 shown]
	s_add_i32 s5, s5, 64
	s_add_i32 s10, s10, 8
	s_waitcnt lgkmcnt(0)
	v_add_f64 v[0:1], v[0:1], v[16:17]
	s_cmp_lg_u32 s6, s10
	v_add_f64 v[2:3], v[0:1], v[18:19]
	s_cbranch_scc1 .LBB132_14
; %bb.15:
	s_add_i32 s5, s11, 9
	s_branch .LBB132_17
.LBB132_16:
	s_mov_b32 s5, 1
.LBB132_17:
	s_and_b32 s4, s4, 7
	s_cmp_eq_u32 s4, 0
	s_cbranch_scc1 .LBB132_20
; %bb.18:
	s_lshl_b32 s5, s5, 3
	s_add_i32 s5, s5, 0
.LBB132_19:                             ; =>This Inner Loop Header: Depth=1
	v_mov_b32_e32 v0, s5
	ds_read_b64 v[0:1], v0
	s_add_i32 s5, s5, 8
	s_add_i32 s4, s4, -1
	s_cmp_lg_u32 s4, 0
	s_waitcnt lgkmcnt(0)
	v_add_f64 v[2:3], v[2:3], v[0:1]
	s_cbranch_scc1 .LBB132_19
.LBB132_20:
	s_lshl_b64 s[2:3], s[2:3], 3
	s_add_u32 s4, s8, s2
	s_addc_u32 s5, s9, s3
	v_mov_b32_e32 v0, 0
	s_add_u32 s2, s12, s2
	global_store_dwordx2 v0, v[2:3], s[4:5]
	s_addc_u32 s3, s13, s3
	global_load_dwordx2 v[4:5], v0, s[2:3]
	s_waitcnt vmcnt(0)
	v_cmp_lt_f64_e32 vcc, v[2:3], v[4:5]
	s_and_b64 exec, exec, vcc
	s_cbranch_execz .LBB132_1
; %bb.21:
	s_add_i32 s4, s7, 1
	s_mov_b64 s[2:3], exec
	v_mov_b32_e32 v1, s4
	global_store_dword v0, v1, s[0:1] offset:4
	v_mbcnt_lo_u32_b32 v0, s2, 0
	v_mbcnt_hi_u32_b32 v0, s3, v0
	v_cmp_eq_u32_e32 vcc, 0, v0
	s_and_b64 s[0:1], exec, vcc
	s_mov_b64 exec, s[0:1]
	s_cbranch_execz .LBB132_1
; %bb.22:
	s_bcnt1_i32_b64 s0, s[2:3]
	v_mov_b32_e32 v0, 0
	v_mov_b32_e32 v1, s0
	global_atomic_add v0, v1, s[14:15]
	s_endpgm
	.section	.rodata,"a",@progbits
	.p2align	6, 0x0
	.amdhsa_kernel _ZN9rocsolver6v33100L15syevj_calc_normI19rocblas_complex_numIdEdEEviiPT0_PT_S5_Pi
		.amdhsa_group_segment_fixed_size 0
		.amdhsa_private_segment_fixed_size 0
		.amdhsa_kernarg_size 296
		.amdhsa_user_sgpr_count 6
		.amdhsa_user_sgpr_private_segment_buffer 1
		.amdhsa_user_sgpr_dispatch_ptr 0
		.amdhsa_user_sgpr_queue_ptr 0
		.amdhsa_user_sgpr_kernarg_segment_ptr 1
		.amdhsa_user_sgpr_dispatch_id 0
		.amdhsa_user_sgpr_flat_scratch_init 0
		.amdhsa_user_sgpr_kernarg_preload_length 0
		.amdhsa_user_sgpr_kernarg_preload_offset 0
		.amdhsa_user_sgpr_private_segment_size 0
		.amdhsa_uses_dynamic_stack 0
		.amdhsa_system_sgpr_private_segment_wavefront_offset 0
		.amdhsa_system_sgpr_workgroup_id_x 1
		.amdhsa_system_sgpr_workgroup_id_y 1
		.amdhsa_system_sgpr_workgroup_id_z 0
		.amdhsa_system_sgpr_workgroup_info 0
		.amdhsa_system_vgpr_workitem_id 0
		.amdhsa_next_free_vgpr 20
		.amdhsa_next_free_sgpr 24
		.amdhsa_accum_offset 20
		.amdhsa_reserve_vcc 1
		.amdhsa_reserve_flat_scratch 0
		.amdhsa_float_round_mode_32 0
		.amdhsa_float_round_mode_16_64 0
		.amdhsa_float_denorm_mode_32 3
		.amdhsa_float_denorm_mode_16_64 3
		.amdhsa_dx10_clamp 1
		.amdhsa_ieee_mode 1
		.amdhsa_fp16_overflow 0
		.amdhsa_tg_split 0
		.amdhsa_exception_fp_ieee_invalid_op 0
		.amdhsa_exception_fp_denorm_src 0
		.amdhsa_exception_fp_ieee_div_zero 0
		.amdhsa_exception_fp_ieee_overflow 0
		.amdhsa_exception_fp_ieee_underflow 0
		.amdhsa_exception_fp_ieee_inexact 0
		.amdhsa_exception_int_div_zero 0
	.end_amdhsa_kernel
	.section	.text._ZN9rocsolver6v33100L15syevj_calc_normI19rocblas_complex_numIdEdEEviiPT0_PT_S5_Pi,"axG",@progbits,_ZN9rocsolver6v33100L15syevj_calc_normI19rocblas_complex_numIdEdEEviiPT0_PT_S5_Pi,comdat
.Lfunc_end132:
	.size	_ZN9rocsolver6v33100L15syevj_calc_normI19rocblas_complex_numIdEdEEviiPT0_PT_S5_Pi, .Lfunc_end132-_ZN9rocsolver6v33100L15syevj_calc_normI19rocblas_complex_numIdEdEEviiPT0_PT_S5_Pi
                                        ; -- End function
	.section	.AMDGPU.csdata,"",@progbits
; Kernel info:
; codeLenInByte = 748
; NumSgprs: 28
; NumVgprs: 20
; NumAgprs: 0
; TotalNumVgprs: 20
; ScratchSize: 0
; MemoryBound: 0
; FloatMode: 240
; IeeeMode: 1
; LDSByteSize: 0 bytes/workgroup (compile time only)
; SGPRBlocks: 3
; VGPRBlocks: 2
; NumSGPRsForWavesPerEU: 28
; NumVGPRsForWavesPerEU: 20
; AccumOffset: 20
; Occupancy: 8
; WaveLimiterHint : 0
; COMPUTE_PGM_RSRC2:SCRATCH_EN: 0
; COMPUTE_PGM_RSRC2:USER_SGPR: 6
; COMPUTE_PGM_RSRC2:TRAP_HANDLER: 0
; COMPUTE_PGM_RSRC2:TGID_X_EN: 1
; COMPUTE_PGM_RSRC2:TGID_Y_EN: 1
; COMPUTE_PGM_RSRC2:TGID_Z_EN: 0
; COMPUTE_PGM_RSRC2:TIDIG_COMP_CNT: 0
; COMPUTE_PGM_RSRC3_GFX90A:ACCUM_OFFSET: 4
; COMPUTE_PGM_RSRC3_GFX90A:TG_SPLIT: 0
	.section	.text._ZN9rocsolver6v33100L14syevj_finalizeI19rocblas_complex_numIdEdPS3_EEv14rocblas_esort_14rocblas_evect_iT1_iilPT0_iPiS9_lSA_PT_SA_,"axG",@progbits,_ZN9rocsolver6v33100L14syevj_finalizeI19rocblas_complex_numIdEdPS3_EEv14rocblas_esort_14rocblas_evect_iT1_iilPT0_iPiS9_lSA_PT_SA_,comdat
	.globl	_ZN9rocsolver6v33100L14syevj_finalizeI19rocblas_complex_numIdEdPS3_EEv14rocblas_esort_14rocblas_evect_iT1_iilPT0_iPiS9_lSA_PT_SA_ ; -- Begin function _ZN9rocsolver6v33100L14syevj_finalizeI19rocblas_complex_numIdEdPS3_EEv14rocblas_esort_14rocblas_evect_iT1_iilPT0_iPiS9_lSA_PT_SA_
	.p2align	8
	.type	_ZN9rocsolver6v33100L14syevj_finalizeI19rocblas_complex_numIdEdPS3_EEv14rocblas_esort_14rocblas_evect_iT1_iilPT0_iPiS9_lSA_PT_SA_,@function
_ZN9rocsolver6v33100L14syevj_finalizeI19rocblas_complex_numIdEdPS3_EEv14rocblas_esort_14rocblas_evect_iT1_iilPT0_iPiS9_lSA_PT_SA_: ; @_ZN9rocsolver6v33100L14syevj_finalizeI19rocblas_complex_numIdEdPS3_EEv14rocblas_esort_14rocblas_evect_iT1_iilPT0_iPiS9_lSA_PT_SA_
; %bb.0:
	s_mov_b32 s28, s9
	s_load_dwordx4 s[20:23], s[6:7], 0x20
	s_load_dwordx8 s[8:15], s[6:7], 0x38
	s_load_dwordx4 s[24:27], s[6:7], 0x58
	v_and_b32_e32 v2, 0x3ff, v0
	s_ashr_i32 s29, s28, 31
	v_cmp_eq_u32_e64 s[0:1], 0, v2
	s_and_saveexec_b64 s[2:3], s[0:1]
	s_cbranch_execz .LBB133_2
; %bb.1:
	s_lshl_b64 s[16:17], s[28:29], 2
	s_waitcnt lgkmcnt(0)
	s_add_u32 s18, s26, s16
	s_addc_u32 s19, s27, s17
	s_lshl_b64 s[26:27], s[28:29], 3
	s_add_u32 s22, s22, s26
	s_addc_u32 s23, s23, s27
	s_load_dwordx2 s[26:27], s[22:23], 0x0
	v_mov_b32_e32 v4, 0
	v_bfrev_b32_e32 v5, 8
	v_mov_b32_e32 v3, 0x260
	s_waitcnt lgkmcnt(0)
	v_cmp_lt_f64_e32 vcc, s[26:27], v[4:5]
	v_cndmask_b32_e64 v1, 0, 1, vcc
	v_lshlrev_b32_e32 v1, 8, v1
	v_ldexp_f64 v[4:5], s[26:27], v1
	v_rsq_f64_e32 v[6:7], v[4:5]
	s_load_dword s27, s[18:19], 0x4
	s_and_b64 s[18:19], vcc, exec
	s_cselect_b32 s18, 0xffffff80, 0
	v_mul_f64 v[8:9], v[4:5], v[6:7]
	v_mul_f64 v[6:7], v[6:7], 0.5
	v_fma_f64 v[10:11], -v[6:7], v[8:9], 0.5
	v_fmac_f64_e32 v[8:9], v[8:9], v[10:11]
	v_fma_f64 v[12:13], -v[8:9], v[8:9], v[4:5]
	v_fmac_f64_e32 v[6:7], v[6:7], v[10:11]
	v_fmac_f64_e32 v[8:9], v[12:13], v[6:7]
	v_fma_f64 v[10:11], -v[8:9], v[8:9], v[4:5]
	v_fmac_f64_e32 v[8:9], v[10:11], v[6:7]
	v_ldexp_f64 v[6:7], v[8:9], s18
	v_cmp_class_f64_e32 vcc, v[4:5], v3
	s_load_dword s26, s[6:7], 0x30
	v_mov_b32_e32 v1, 0
	v_cndmask_b32_e32 v5, v7, v5, vcc
	v_cndmask_b32_e32 v4, v6, v4, vcc
	s_waitcnt lgkmcnt(0)
	global_store_dwordx2 v1, v[4:5], s[22:23]
	s_add_i32 s22, s27, -1
	s_cmp_lt_i32 s27, 1
	s_cselect_b64 s[18:19], -1, 0
	v_cndmask_b32_e64 v3, 0, 1, s[18:19]
	s_and_b64 s[18:19], s[18:19], exec
	s_cselect_b32 s18, s26, s22
	s_add_u32 s8, s8, s16
	s_addc_u32 s9, s9, s17
	v_mov_b32_e32 v4, s18
	global_store_dword v1, v4, s[8:9]
	s_add_u32 s8, s14, s16
	s_addc_u32 s9, s15, s17
	global_store_dword v1, v3, s[8:9]
.LBB133_2:
	s_or_b64 exec, exec, s[2:3]
	s_load_dwordx4 s[16:19], s[6:7], 0x0
	s_waitcnt lgkmcnt(0)
	s_mul_i32 s2, s28, s13
	s_mul_hi_u32 s3, s28, s12
	s_add_i32 s2, s3, s2
	s_mul_i32 s3, s29, s12
	s_add_i32 s3, s2, s3
	s_mul_i32 s2, s28, s12
	s_lshl_b64 s[22:23], s[2:3], 3
	s_add_u32 s19, s10, s22
	s_addc_u32 s26, s11, s23
	v_cmp_gt_i32_e64 s[2:3], s18, v2
	s_and_saveexec_b64 s[8:9], s[2:3]
	s_cbranch_execz .LBB133_5
; %bb.3:
	s_mul_i32 s12, s28, s18
	s_load_dword s15, s[6:7], 0x74
	s_mul_i32 s12, s12, s18
	s_ashr_i32 s13, s12, 31
	s_lshl_b64 s[12:13], s[12:13], 4
	s_add_u32 s14, s24, s12
	s_addc_u32 s25, s25, s13
	s_add_i32 s24, s18, 1
	s_waitcnt lgkmcnt(0)
	s_and_b32 s15, s15, 0xffff
	v_mad_u64_u32 v[4:5], s[12:13], v2, s18, v[2:3]
	s_mul_i32 s24, s24, s15
	s_mov_b64 s[12:13], 0
	v_mov_b32_e32 v1, s25
	v_mov_b32_e32 v3, s26
	;; [unrolled: 1-line block ×3, first 2 shown]
.LBB133_4:                              ; =>This Inner Loop Header: Depth=1
	v_ashrrev_i32_e32 v5, 31, v4
	v_lshlrev_b64 v[8:9], 4, v[4:5]
	v_add_co_u32_e32 v8, vcc, s14, v8
	v_addc_co_u32_e32 v9, vcc, v1, v9, vcc
	global_load_dwordx2 v[8:9], v[8:9], off
	v_ashrrev_i32_e32 v7, 31, v6
	v_lshlrev_b64 v[10:11], 3, v[6:7]
	v_add_co_u32_e32 v10, vcc, s19, v10
	v_add_u32_e32 v6, s15, v6
	v_addc_co_u32_e32 v11, vcc, v3, v11, vcc
	v_cmp_le_i32_e32 vcc, s18, v6
	s_or_b64 s[12:13], vcc, s[12:13]
	v_add_u32_e32 v4, s24, v4
	s_waitcnt vmcnt(0)
	global_store_dwordx2 v[10:11], v[8:9], off
	s_andn2_b64 exec, exec, s[12:13]
	s_cbranch_execnz .LBB133_4
.LBB133_5:
	s_or_b64 exec, exec, s[8:9]
	s_cmpk_lg_i32 s17, 0xd5
	s_cselect_b64 s[24:25], -1, 0
	v_cmp_eq_u32_e32 vcc, 0, v2
	s_or_b64 s[12:13], vcc, s[24:25]
	s_cmpk_lg_i32 s16, 0xfb
	s_cselect_b64 s[14:15], -1, 0
	s_and_b64 s[12:13], s[14:15], s[12:13]
	s_cmp_gt_i32 s18, 1
	s_cselect_b64 s[14:15], -1, 0
	s_mov_b32 s9, 0
	s_and_b64 s[12:13], s[14:15], s[12:13]
	s_barrier
	s_and_saveexec_b64 s[14:15], s[12:13]
	s_cbranch_execz .LBB133_18
; %bb.6:
	s_load_dwordx2 s[16:17], s[4:5], 0x4
	s_load_dwordx4 s[12:15], s[6:7], 0x10
	s_mul_i32 s8, s28, s21
	v_bfe_u32 v1, v0, 10, 10
	v_bfe_u32 v0, v0, 20, 10
	s_waitcnt lgkmcnt(0)
	s_lshr_b32 s4, s16, 16
	s_mul_i32 s4, s4, s17
	s_ashr_i32 s5, s14, 31
	v_mul_lo_u32 v3, s4, v2
	s_mov_b32 s4, s14
	s_mul_hi_u32 s14, s28, s20
	s_add_i32 s8, s14, s8
	s_mul_i32 s14, s29, s20
	v_mad_u32_u24 v1, v1, s17, v3
	s_add_i32 s17, s8, s14
	s_mul_i32 s16, s28, s20
	s_lshl_b64 s[16:17], s[16:17], 4
	s_add_u32 s8, s12, s16
	s_addc_u32 s12, s13, s17
	s_lshl_b64 s[4:5], s[4:5], 4
	s_add_u32 s14, s8, s4
	s_addc_u32 s27, s12, s5
	s_add_u32 s6, s6, 0x68
	s_addc_u32 s7, s7, 0
	s_add_i32 s28, s18, -2
	s_add_u32 s4, s22, s10
	s_addc_u32 s5, s23, s11
	v_add_lshl_u32 v3, v1, v0, 4
	s_add_u32 s10, s4, 8
	v_cndmask_b32_e64 v0, 0, 1, s[24:25]
	s_addc_u32 s11, s5, 0
	v_mov_b32_e32 v4, 0
	v_cmp_ne_u32_e64 s[4:5], 1, v0
	s_mov_b32 s22, 0
	s_mov_b32 s23, 0
	s_branch .LBB133_9
.LBB133_7:                              ;   in Loop: Header=BB133_9 Depth=1
	s_or_b64 exec, exec, s[16:17]
	s_waitcnt lgkmcnt(0)
	s_barrier
.LBB133_8:                              ;   in Loop: Header=BB133_9 Depth=1
	s_add_u32 s10, s10, 8
	s_addc_u32 s11, s11, 0
	s_add_i32 s22, s22, s15
	s_cmp_lg_u32 s8, s28
	s_cbranch_scc0 .LBB133_18
.LBB133_9:                              ; =>This Loop Header: Depth=1
                                        ;     Child Loop BB133_10 Depth 2
                                        ;     Child Loop BB133_17 Depth 2
	s_mov_b32 s8, s23
	s_lshl_b64 s[12:13], s[8:9], 3
	s_add_u32 s16, s19, s12
	s_addc_u32 s17, s26, s13
	global_load_dwordx2 v[0:1], v4, s[16:17]
	s_add_i32 s23, s23, 1
	s_mov_b64 s[20:21], s[10:11]
	s_mov_b32 s13, s23
	s_mov_b32 s12, s8
.LBB133_10:                             ;   Parent Loop BB133_9 Depth=1
                                        ; =>  This Inner Loop Header: Depth=2
	global_load_dwordx2 v[6:7], v4, s[20:21]
	s_waitcnt vmcnt(0)
	v_cmp_lt_f64_e32 vcc, v[6:7], v[0:1]
	s_and_b64 s[24:25], vcc, exec
	s_cselect_b32 s12, s13, s12
	s_add_i32 s13, s13, 1
	s_add_u32 s20, s20, 8
	s_addc_u32 s21, s21, 0
	v_cndmask_b32_e32 v1, v1, v7, vcc
	s_cmp_lt_i32 s13, s18
	v_cndmask_b32_e32 v0, v0, v6, vcc
	s_cbranch_scc1 .LBB133_10
; %bb.11:                               ;   in Loop: Header=BB133_9 Depth=1
	s_cmp_eq_u32 s12, s8
	s_barrier
	s_cbranch_scc1 .LBB133_8
; %bb.12:                               ;   in Loop: Header=BB133_9 Depth=1
	s_and_saveexec_b64 s[20:21], s[0:1]
	s_cbranch_execz .LBB133_14
; %bb.13:                               ;   in Loop: Header=BB133_9 Depth=1
	global_load_dwordx2 v[6:7], v4, s[16:17]
	s_ashr_i32 s13, s12, 31
	s_lshl_b64 s[24:25], s[12:13], 3
	s_add_u32 s24, s19, s24
	s_addc_u32 s25, s26, s25
	s_waitcnt vmcnt(0)
	global_store_dwordx2 v4, v[6:7], s[24:25]
	global_store_dwordx2 v4, v[0:1], s[16:17]
.LBB133_14:                             ;   in Loop: Header=BB133_9 Depth=1
	s_or_b64 exec, exec, s[20:21]
	s_and_b64 vcc, exec, s[4:5]
	s_cbranch_vccnz .LBB133_8
; %bb.15:                               ;   in Loop: Header=BB133_9 Depth=1
	s_and_saveexec_b64 s[16:17], s[2:3]
	s_cbranch_execz .LBB133_7
; %bb.16:                               ;   in Loop: Header=BB133_9 Depth=1
	s_load_dword s21, s[6:7], 0xc
	s_mul_i32 s20, s12, s15
	s_mov_b64 s[12:13], 0
	v_mov_b32_e32 v0, v2
	s_waitcnt lgkmcnt(0)
	s_and_b32 s21, s21, 0xffff
.LBB133_17:                             ;   Parent Loop BB133_9 Depth=1
                                        ; =>  This Inner Loop Header: Depth=2
	v_add_u32_e32 v6, s20, v0
	v_ashrrev_i32_e32 v7, 31, v6
	v_add_u32_e32 v8, s22, v0
	v_lshlrev_b64 v[6:7], 4, v[6:7]
	v_mov_b32_e32 v1, s27
	v_ashrrev_i32_e32 v9, 31, v8
	v_add_co_u32_e32 v14, vcc, s14, v6
	v_lshlrev_b64 v[8:9], 4, v[8:9]
	v_addc_co_u32_e32 v15, vcc, v1, v7, vcc
	v_mov_b32_e32 v5, s27
	v_add_co_u32_e32 v16, vcc, s14, v8
	v_addc_co_u32_e32 v17, vcc, v5, v9, vcc
	global_load_dwordx4 v[6:9], v[14:15], off
	global_load_dwordx4 v[10:13], v[16:17], off
	v_add_u32_e32 v0, s21, v0
	v_cmp_le_i32_e32 vcc, s18, v0
	s_or_b64 s[12:13], vcc, s[12:13]
	s_waitcnt vmcnt(1)
	ds_write2_b64 v3, v[6:7], v[8:9] offset1:1
	s_waitcnt vmcnt(0)
	global_store_dwordx4 v[14:15], v[10:13], off
	global_store_dwordx4 v[16:17], v[6:9], off
	s_andn2_b64 exec, exec, s[12:13]
	s_cbranch_execnz .LBB133_17
	s_branch .LBB133_7
.LBB133_18:
	s_endpgm
	.section	.rodata,"a",@progbits
	.p2align	6, 0x0
	.amdhsa_kernel _ZN9rocsolver6v33100L14syevj_finalizeI19rocblas_complex_numIdEdPS3_EEv14rocblas_esort_14rocblas_evect_iT1_iilPT0_iPiS9_lSA_PT_SA_
		.amdhsa_group_segment_fixed_size 16384
		.amdhsa_private_segment_fixed_size 0
		.amdhsa_kernarg_size 360
		.amdhsa_user_sgpr_count 8
		.amdhsa_user_sgpr_private_segment_buffer 1
		.amdhsa_user_sgpr_dispatch_ptr 1
		.amdhsa_user_sgpr_queue_ptr 0
		.amdhsa_user_sgpr_kernarg_segment_ptr 1
		.amdhsa_user_sgpr_dispatch_id 0
		.amdhsa_user_sgpr_flat_scratch_init 0
		.amdhsa_user_sgpr_kernarg_preload_length 0
		.amdhsa_user_sgpr_kernarg_preload_offset 0
		.amdhsa_user_sgpr_private_segment_size 0
		.amdhsa_uses_dynamic_stack 0
		.amdhsa_system_sgpr_private_segment_wavefront_offset 0
		.amdhsa_system_sgpr_workgroup_id_x 1
		.amdhsa_system_sgpr_workgroup_id_y 1
		.amdhsa_system_sgpr_workgroup_id_z 0
		.amdhsa_system_sgpr_workgroup_info 0
		.amdhsa_system_vgpr_workitem_id 2
		.amdhsa_next_free_vgpr 18
		.amdhsa_next_free_sgpr 30
		.amdhsa_accum_offset 20
		.amdhsa_reserve_vcc 1
		.amdhsa_reserve_flat_scratch 0
		.amdhsa_float_round_mode_32 0
		.amdhsa_float_round_mode_16_64 0
		.amdhsa_float_denorm_mode_32 3
		.amdhsa_float_denorm_mode_16_64 3
		.amdhsa_dx10_clamp 1
		.amdhsa_ieee_mode 1
		.amdhsa_fp16_overflow 0
		.amdhsa_tg_split 0
		.amdhsa_exception_fp_ieee_invalid_op 0
		.amdhsa_exception_fp_denorm_src 0
		.amdhsa_exception_fp_ieee_div_zero 0
		.amdhsa_exception_fp_ieee_overflow 0
		.amdhsa_exception_fp_ieee_underflow 0
		.amdhsa_exception_fp_ieee_inexact 0
		.amdhsa_exception_int_div_zero 0
	.end_amdhsa_kernel
	.section	.text._ZN9rocsolver6v33100L14syevj_finalizeI19rocblas_complex_numIdEdPS3_EEv14rocblas_esort_14rocblas_evect_iT1_iilPT0_iPiS9_lSA_PT_SA_,"axG",@progbits,_ZN9rocsolver6v33100L14syevj_finalizeI19rocblas_complex_numIdEdPS3_EEv14rocblas_esort_14rocblas_evect_iT1_iilPT0_iPiS9_lSA_PT_SA_,comdat
.Lfunc_end133:
	.size	_ZN9rocsolver6v33100L14syevj_finalizeI19rocblas_complex_numIdEdPS3_EEv14rocblas_esort_14rocblas_evect_iT1_iilPT0_iPiS9_lSA_PT_SA_, .Lfunc_end133-_ZN9rocsolver6v33100L14syevj_finalizeI19rocblas_complex_numIdEdPS3_EEv14rocblas_esort_14rocblas_evect_iT1_iilPT0_iPiS9_lSA_PT_SA_
                                        ; -- End function
	.section	.AMDGPU.csdata,"",@progbits
; Kernel info:
; codeLenInByte = 1172
; NumSgprs: 34
; NumVgprs: 18
; NumAgprs: 0
; TotalNumVgprs: 18
; ScratchSize: 0
; MemoryBound: 0
; FloatMode: 240
; IeeeMode: 1
; LDSByteSize: 16384 bytes/workgroup (compile time only)
; SGPRBlocks: 4
; VGPRBlocks: 2
; NumSGPRsForWavesPerEU: 34
; NumVGPRsForWavesPerEU: 18
; AccumOffset: 20
; Occupancy: 8
; WaveLimiterHint : 0
; COMPUTE_PGM_RSRC2:SCRATCH_EN: 0
; COMPUTE_PGM_RSRC2:USER_SGPR: 8
; COMPUTE_PGM_RSRC2:TRAP_HANDLER: 0
; COMPUTE_PGM_RSRC2:TGID_X_EN: 1
; COMPUTE_PGM_RSRC2:TGID_Y_EN: 1
; COMPUTE_PGM_RSRC2:TGID_Z_EN: 0
; COMPUTE_PGM_RSRC2:TIDIG_COMP_CNT: 2
; COMPUTE_PGM_RSRC3_GFX90A:ACCUM_OFFSET: 4
; COMPUTE_PGM_RSRC3_GFX90A:TG_SPLIT: 0
	.section	.text._ZN9rocsolver6v33100L18geqr2_kernel_smallILi256E19rocblas_complex_numIdEidPS3_EEvT1_S5_T3_lS5_lPT2_lPT0_l,"axG",@progbits,_ZN9rocsolver6v33100L18geqr2_kernel_smallILi256E19rocblas_complex_numIdEidPS3_EEvT1_S5_T3_lS5_lPT2_lPT0_l,comdat
	.globl	_ZN9rocsolver6v33100L18geqr2_kernel_smallILi256E19rocblas_complex_numIdEidPS3_EEvT1_S5_T3_lS5_lPT2_lPT0_l ; -- Begin function _ZN9rocsolver6v33100L18geqr2_kernel_smallILi256E19rocblas_complex_numIdEidPS3_EEvT1_S5_T3_lS5_lPT2_lPT0_l
	.p2align	8
	.type	_ZN9rocsolver6v33100L18geqr2_kernel_smallILi256E19rocblas_complex_numIdEidPS3_EEvT1_S5_T3_lS5_lPT2_lPT0_l,@function
_ZN9rocsolver6v33100L18geqr2_kernel_smallILi256E19rocblas_complex_numIdEidPS3_EEvT1_S5_T3_lS5_lPT2_lPT0_l: ; @_ZN9rocsolver6v33100L18geqr2_kernel_smallILi256E19rocblas_complex_numIdEidPS3_EEvT1_S5_T3_lS5_lPT2_lPT0_l
; %bb.0:
	s_load_dwordx8 s[8:15], s[4:5], 0x20
	s_load_dwordx2 s[16:17], s[4:5], 0x0
	s_load_dwordx4 s[0:3], s[4:5], 0x8
	s_load_dword s37, s[4:5], 0x18
	s_load_dwordx2 s[18:19], s[4:5], 0x40
	s_ashr_i32 s6, s7, 31
	s_waitcnt lgkmcnt(0)
	s_mul_i32 s4, s7, s9
	s_mul_hi_u32 s5, s7, s8
	s_add_i32 s4, s5, s4
	s_mul_i32 s5, s6, s8
	s_add_i32 s5, s4, s5
	s_mul_i32 s4, s7, s8
	s_lshl_b64 s[4:5], s[4:5], 4
	s_add_u32 s4, s0, s4
	s_addc_u32 s5, s1, s5
	s_lshl_b64 s[0:1], s[2:3], 4
	s_add_u32 s33, s4, s0
	v_and_b32_e32 v6, 0x7f, v0
	s_addc_u32 s36, s5, s1
	v_cmp_gt_i32_e64 s[0:1], s16, v6
	v_lshrrev_b32_e32 v7, 7, v0
	v_lshlrev_b32_e32 v18, 4, v6
	s_and_saveexec_b64 s[4:5], s[0:1]
	s_cbranch_execz .LBB134_6
; %bb.1:
	v_lshrrev_b32_e32 v1, 7, v0
	v_mul_lo_u32 v2, s16, v1
	v_lshlrev_b32_e32 v2, 4, v2
	v_add3_u32 v8, v2, v18, 0
	v_mad_u64_u32 v[2:3], s[2:3], s37, v1, v[6:7]
	v_cmp_gt_i32_e32 vcc, s17, v1
	s_lshl_b32 s24, s16, 5
	s_lshl_b32 s25, s37, 1
	s_mov_b64 s[8:9], 0
	v_mov_b32_e32 v3, v6
	s_branch .LBB134_3
.LBB134_2:                              ;   in Loop: Header=BB134_3 Depth=1
	s_or_b64 exec, exec, s[20:21]
	v_add_u32_e32 v3, 0x80, v3
	v_cmp_le_i32_e64 s[2:3], s16, v3
	v_add_u32_e32 v8, 0x800, v8
	s_or_b64 s[8:9], s[2:3], s[8:9]
	v_add_u32_e32 v2, 0x80, v2
	s_andn2_b64 exec, exec, s[8:9]
	s_cbranch_execz .LBB134_6
.LBB134_3:                              ; =>This Loop Header: Depth=1
                                        ;     Child Loop BB134_5 Depth 2
	s_and_saveexec_b64 s[20:21], vcc
	s_cbranch_execz .LBB134_2
; %bb.4:                                ;   in Loop: Header=BB134_3 Depth=1
	s_mov_b64 s[22:23], 0
	v_mov_b32_e32 v4, v2
	v_mov_b32_e32 v9, v8
	;; [unrolled: 1-line block ×3, first 2 shown]
.LBB134_5:                              ;   Parent Loop BB134_3 Depth=1
                                        ; =>  This Inner Loop Header: Depth=2
	v_ashrrev_i32_e32 v5, 31, v4
	v_lshlrev_b64 v[12:13], 4, v[4:5]
	v_mov_b32_e32 v11, s36
	v_add_co_u32_e64 v12, s[2:3], s33, v12
	v_addc_co_u32_e64 v13, s[2:3], v11, v13, s[2:3]
	global_load_dwordx4 v[12:15], v[12:13], off
	v_add_u32_e32 v10, 2, v10
	v_cmp_le_i32_e64 s[2:3], s17, v10
	v_add_u32_e32 v4, s25, v4
	s_or_b64 s[22:23], s[2:3], s[22:23]
	s_waitcnt vmcnt(0)
	ds_write2_b64 v9, v[12:13], v[14:15] offset1:1
	v_add_u32_e32 v9, s24, v9
	s_andn2_b64 exec, exec, s[22:23]
	s_cbranch_execnz .LBB134_5
	s_branch .LBB134_2
.LBB134_6:
	s_or_b64 exec, exec, s[4:5]
	s_min_i32 s38, s17, s16
	s_cmp_lt_i32 s38, 1
	s_waitcnt lgkmcnt(0)
	s_barrier
	s_cbranch_scc1 .LBB134_42
; %bb.7:
	s_mul_i32 s2, s7, s13
	s_mul_hi_u32 s3, s7, s12
	v_mbcnt_lo_u32_b32 v1, -1, 0
	s_add_i32 s2, s3, s2
	s_mul_i32 s3, s6, s12
	v_mbcnt_hi_u32_b32 v2, -1, v1
	s_add_i32 s3, s2, s3
	s_mul_i32 s2, s7, s12
	v_and_b32_e32 v3, 63, v2
	s_lshl_b64 s[2:3], s[2:3], 3
	v_cmp_ne_u32_e32 vcc, 63, v3
	s_add_u32 s39, s10, s2
	v_addc_co_u32_e32 v1, vcc, 0, v2, vcc
	s_addc_u32 s40, s11, s3
	s_mul_i32 s2, s7, s19
	s_mul_hi_u32 s3, s7, s18
	v_cmp_gt_u32_e32 vcc, 62, v3
	s_add_i32 s2, s3, s2
	s_mul_i32 s3, s6, s18
	v_cndmask_b32_e64 v4, 0, 1, vcc
	s_add_i32 s3, s2, s3
	s_mul_i32 s2, s7, s18
	v_lshlrev_b32_e32 v4, 1, v4
	v_cmp_gt_u32_e32 vcc, 60, v3
	s_lshl_b64 s[2:3], s[2:3], 4
	v_add_lshl_u32 v19, v4, v2, 2
	v_cndmask_b32_e64 v4, 0, 1, vcc
	s_add_u32 s41, s14, s2
	s_mul_i32 s2, s17, s16
	v_lshlrev_b32_e32 v4, 2, v4
	v_cmp_gt_u32_e32 vcc, 56, v3
	s_addc_u32 s42, s15, s3
	s_lshl_b32 s2, s2, 4
	v_add_lshl_u32 v20, v4, v2, 2
	v_cndmask_b32_e64 v4, 0, 1, vcc
	s_add_i32 s43, s2, 0
	s_lshl_b32 s2, s17, 4
	v_lshlrev_b32_e32 v4, 3, v4
	v_cmp_gt_u32_e32 vcc, 48, v3
	s_add_i32 s44, s43, s2
	v_add_lshl_u32 v21, v4, v2, 2
	v_cndmask_b32_e64 v4, 0, 1, vcc
	v_cmp_gt_u32_e32 vcc, 32, v3
	v_cndmask_b32_e64 v3, 0, 1, vcc
	s_cmp_eq_u64 s[10:11], 0
	v_lshlrev_b32_e32 v4, 4, v4
	v_lshlrev_b32_e32 v3, 5, v3
	s_cselect_b64 s[12:13], -1, 0
	s_cmp_lg_u64 s[10:11], 0
	v_add_lshl_u32 v22, v4, v2, 2
	v_add_lshl_u32 v23, v3, v2, 2
	v_and_b32_e32 v2, 63, v0
	s_cselect_b64 s[10:11], -1, 0
	s_lshl_b32 s45, s16, 4
	v_mul_lo_u32 v4, s16, v0
	s_mov_b32 s9, 0
	v_cmp_eq_u32_e64 s[2:3], 0, v2
	v_lshrrev_b32_e32 v2, 2, v0
	v_lshlrev_b32_e32 v3, 4, v0
	v_add_u32_e32 v4, s16, v4
	s_add_i32 s6, s45, 0
	s_mov_b32 s14, 0
	v_lshlrev_b32_e32 v1, 2, v1
	v_cmp_eq_u32_e64 s[4:5], 0, v0
	v_add3_u32 v24, v3, 0, 16
	s_add_i32 s46, s45, 16
	v_lshl_add_u32 v25, v4, 4, 0
	s_lshl_b32 s47, s16, 12
	v_add_u32_e32 v26, s6, v3
	v_add_u32_e32 v27, s44, v2
	s_brev_b32 s15, 8
	v_mov_b32_e32 v28, 0x260
	v_mov_b32_e32 v8, 0
	;; [unrolled: 1-line block ×3, first 2 shown]
	s_mov_b32 s48, 0
	s_mov_b32 s8, s9
	s_branch .LBB134_9
.LBB134_8:                              ;   in Loop: Header=BB134_9 Depth=1
	s_or_b64 exec, exec, s[6:7]
	s_add_i32 s8, s8, 1
	s_add_i32 s48, s48, s46
	v_add_u32_e32 v24, s46, v24
	v_add_u32_e32 v25, s46, v25
	s_cmp_eq_u32 s8, s38
	v_add_u32_e32 v26, s46, v26
	s_waitcnt lgkmcnt(0)
	s_barrier
	s_cbranch_scc1 .LBB134_42
.LBB134_9:                              ; =>This Loop Header: Depth=1
                                        ;     Child Loop BB134_11 Depth 2
                                        ;     Child Loop BB134_29 Depth 2
	;; [unrolled: 1-line block ×3, first 2 shown]
                                        ;       Child Loop BB134_35 Depth 3
                                        ;     Child Loop BB134_39 Depth 2
                                        ;       Child Loop BB134_41 Depth 3
	s_sub_i32 s49, s16, s8
	s_add_i32 s51, s49, -1
	v_pk_mov_b32 v[2:3], 0, 0
	v_cmp_gt_i32_e64 s[6:7], s51, v0
	v_pk_mov_b32 v[4:5], v[2:3], v[2:3] op_sel:[0,1]
	s_and_saveexec_b64 s[18:19], s[6:7]
	s_cbranch_execz .LBB134_13
; %bb.10:                               ;   in Loop: Header=BB134_9 Depth=1
	v_pk_mov_b32 v[2:3], 0, 0
	s_mov_b64 s[20:21], 0
	v_mov_b32_e32 v9, v24
	v_mov_b32_e32 v10, v0
	v_pk_mov_b32 v[4:5], v[2:3], v[2:3] op_sel:[0,1]
.LBB134_11:                             ;   Parent Loop BB134_9 Depth=1
                                        ; =>  This Inner Loop Header: Depth=2
	ds_read2_b64 v[12:15], v9 offset1:1
	v_add_u32_e32 v10, 0x100, v10
	v_cmp_le_i32_e32 vcc, s51, v10
	v_add_u32_e32 v9, 0x1000, v9
	s_or_b64 s[20:21], vcc, s[20:21]
	s_waitcnt lgkmcnt(0)
	v_mul_f64 v[16:17], v[14:15], v[14:15]
	v_mul_f64 v[30:31], v[12:13], v[14:15]
	v_fmac_f64_e32 v[16:17], v[12:13], v[12:13]
	v_fma_f64 v[12:13], v[12:13], v[14:15], -v[30:31]
	v_add_f64 v[4:5], v[4:5], v[16:17]
	v_add_f64 v[2:3], v[2:3], v[12:13]
	s_andn2_b64 exec, exec, s[20:21]
	s_cbranch_execnz .LBB134_11
; %bb.12:                               ;   in Loop: Header=BB134_9 Depth=1
	s_or_b64 exec, exec, s[20:21]
.LBB134_13:                             ;   in Loop: Header=BB134_9 Depth=1
	s_or_b64 exec, exec, s[18:19]
	ds_bpermute_b32 v10, v1, v4
	ds_bpermute_b32 v11, v1, v5
	;; [unrolled: 1-line block ×4, first 2 shown]
	s_waitcnt lgkmcnt(2)
	v_add_f64 v[4:5], v[4:5], v[10:11]
	ds_bpermute_b32 v10, v19, v4
	s_waitcnt lgkmcnt(1)
	v_add_f64 v[2:3], v[2:3], v[12:13]
	ds_bpermute_b32 v11, v19, v5
	ds_bpermute_b32 v12, v19, v2
	ds_bpermute_b32 v13, v19, v3
	s_waitcnt lgkmcnt(2)
	v_add_f64 v[4:5], v[4:5], v[10:11]
	ds_bpermute_b32 v10, v20, v4
	s_waitcnt lgkmcnt(1)
	v_add_f64 v[2:3], v[2:3], v[12:13]
	ds_bpermute_b32 v11, v20, v5
	ds_bpermute_b32 v12, v20, v2
	ds_bpermute_b32 v13, v20, v3
	;; [unrolled: 8-line block ×4, first 2 shown]
	s_waitcnt lgkmcnt(2)
	v_add_f64 v[14:15], v[4:5], v[10:11]
	s_waitcnt lgkmcnt(0)
	v_add_f64 v[4:5], v[2:3], v[12:13]
	ds_bpermute_b32 v2, v23, v14
	ds_bpermute_b32 v3, v23, v15
	;; [unrolled: 1-line block ×4, first 2 shown]
	s_waitcnt lgkmcnt(2)
	v_add_f64 v[2:3], v[14:15], v[2:3]
	s_and_saveexec_b64 s[18:19], s[2:3]
	s_cbranch_execz .LBB134_15
; %bb.14:                               ;   in Loop: Header=BB134_9 Depth=1
	s_waitcnt lgkmcnt(0)
	v_add_f64 v[4:5], v[4:5], v[10:11]
	ds_write2_b64 v27, v[2:3], v[4:5] offset0:2 offset1:3
.LBB134_15:                             ;   in Loop: Header=BB134_9 Depth=1
	s_or_b64 exec, exec, s[18:19]
	s_lshl_b32 s18, s8, 4
	s_add_i32 s50, s18, 0
	s_mul_i32 s18, s8, s16
	s_lshl_b32 s18, s18, 4
	s_add_i32 s50, s50, s18
	s_waitcnt lgkmcnt(0)
	s_barrier
	s_and_saveexec_b64 s[18:19], s[4:5]
	s_cbranch_execz .LBB134_27
; %bb.16:                               ;   in Loop: Header=BB134_9 Depth=1
	v_mov_b32_e32 v4, s44
	ds_read2_b64 v[12:15], v4 offset0:4 offset1:6
	v_mov_b32_e32 v5, s50
	ds_read_b64 v[10:11], v5 offset:8
	ds_read_b64 v[4:5], v4 offset:64
	s_mov_b64 s[28:29], 0
	s_mov_b64 s[24:25], 0
	s_waitcnt lgkmcnt(2)
	v_add_f64 v[2:3], v[2:3], v[12:13]
	v_add_f64 v[2:3], v[2:3], v[14:15]
	s_waitcnt lgkmcnt(1)
	v_mul_f64 v[12:13], v[10:11], v[10:11]
	s_waitcnt lgkmcnt(0)
	v_add_f64 v[16:17], v[2:3], v[4:5]
	v_max_f64 v[2:3], v[16:17], v[12:13]
	v_cmp_nlt_f64_e32 vcc, 0, v[2:3]
                                        ; implicit-def: $sgpr22_sgpr23
                                        ; implicit-def: $sgpr20_sgpr21
                                        ; implicit-def: $sgpr34_sgpr35
                                        ; implicit-def: $sgpr30_sgpr31
	s_and_saveexec_b64 s[26:27], vcc
	s_xor_b64 s[26:27], exec, s[26:27]
                                        ; implicit-def: $vgpr2_vgpr3_vgpr4_vgpr5
	s_cbranch_execz .LBB134_20
; %bb.17:                               ;   in Loop: Header=BB134_9 Depth=1
	s_mov_b32 s20, s9
	s_mov_b32 s21, s9
	;; [unrolled: 1-line block ×4, first 2 shown]
	v_mov_b32_e32 v9, s44
	v_pk_mov_b32 v[2:3], s[20:21], s[20:21] op_sel:[0,1]
	v_pk_mov_b32 v[4:5], s[22:23], s[22:23] op_sel:[0,1]
	s_mov_b64 s[20:21], 0
	s_and_b64 vcc, exec, s[10:11]
	ds_write2_b64 v9, v[2:3], v[4:5] offset1:1
                                        ; implicit-def: $sgpr34_sgpr35
                                        ; implicit-def: $sgpr30_sgpr31
                                        ; implicit-def: $vgpr2_vgpr3_vgpr4_vgpr5
	s_cbranch_vccz .LBB134_19
; %bb.18:                               ;   in Loop: Header=BB134_9 Depth=1
	v_mov_b32_e32 v2, s50
	ds_read_b64 v[2:3], v2
	s_mov_b64 s[24:25], -1
	s_mov_b64 s[30:31], 1.0
	s_mov_b64 s[34:35], 0
.LBB134_19:                             ;   in Loop: Header=BB134_9 Depth=1
	s_mov_b64 s[22:23], 1.0
	s_and_b64 s[24:25], s[24:25], exec
                                        ; implicit-def: $vgpr12_vgpr13
                                        ; implicit-def: $vgpr16_vgpr17
                                        ; implicit-def: $vgpr10_vgpr11
.LBB134_20:                             ;   in Loop: Header=BB134_9 Depth=1
	s_or_saveexec_b64 s[26:27], s[26:27]
	v_pk_mov_b32 v[14:15], s[34:35], s[34:35] op_sel:[0,1]
	v_pk_mov_b32 v[4:5], s[30:31], s[30:31] op_sel:[0,1]
	s_xor_b64 exec, exec, s[26:27]
	s_cbranch_execz .LBB134_22
; %bb.21:                               ;   in Loop: Header=BB134_9 Depth=1
	s_waitcnt lgkmcnt(0)
	v_mov_b32_e32 v2, s50
	ds_read_b64 v[14:15], v2
	s_andn2_b64 s[24:25], s[24:25], exec
	s_and_b64 s[30:31], s[10:11], exec
	s_or_b64 s[24:25], s[24:25], s[30:31]
	s_waitcnt lgkmcnt(0)
	v_fma_f64 v[2:3], v[14:15], v[14:15], v[12:13]
	v_add_f64 v[2:3], v[16:17], v[2:3]
	v_cmp_gt_f64_e32 vcc, s[14:15], v[2:3]
	v_cndmask_b32_e64 v4, 0, 1, vcc
	v_lshlrev_b32_e32 v4, 8, v4
	v_ldexp_f64 v[2:3], v[2:3], v4
	v_rsq_f64_e32 v[4:5], v[2:3]
	v_cndmask_b32_e32 v9, 0, v29, vcc
	v_cmp_class_f64_e32 vcc, v[2:3], v28
	v_mul_f64 v[16:17], v[2:3], v[4:5]
	v_mul_f64 v[4:5], v[4:5], 0.5
	v_fma_f64 v[30:31], -v[4:5], v[16:17], 0.5
	v_fmac_f64_e32 v[16:17], v[16:17], v[30:31]
	v_fmac_f64_e32 v[4:5], v[4:5], v[30:31]
	v_fma_f64 v[30:31], -v[16:17], v[16:17], v[2:3]
	v_fmac_f64_e32 v[16:17], v[30:31], v[4:5]
	v_fma_f64 v[30:31], -v[16:17], v[16:17], v[2:3]
	v_fmac_f64_e32 v[16:17], v[30:31], v[4:5]
	v_ldexp_f64 v[4:5], v[16:17], v9
	v_cndmask_b32_e32 v3, v5, v3, vcc
	v_cndmask_b32_e32 v2, v4, v2, vcc
	v_xor_b32_e32 v4, 0x80000000, v3
	v_cmp_le_f64_e32 vcc, 0, v[14:15]
	v_cndmask_b32_e32 v3, v3, v4, vcc
	v_add_f64 v[4:5], v[14:15], -v[2:3]
	v_fmac_f64_e32 v[12:13], v[4:5], v[4:5]
	v_div_scale_f64 v[16:17], s[28:29], v[12:13], v[12:13], v[4:5]
	v_rcp_f64_e32 v[30:31], v[16:17]
	v_div_scale_f64 v[32:33], vcc, v[4:5], v[12:13], v[4:5]
	v_mov_b32_e32 v9, s44
	v_fma_f64 v[34:35], -v[16:17], v[30:31], 1.0
	v_fmac_f64_e32 v[30:31], v[30:31], v[34:35]
	v_fma_f64 v[34:35], -v[16:17], v[30:31], 1.0
	v_fmac_f64_e32 v[30:31], v[30:31], v[34:35]
	v_mul_f64 v[34:35], v[32:33], v[30:31]
	v_fma_f64 v[16:17], -v[16:17], v[34:35], v[32:33]
	v_div_scale_f64 v[32:33], s[28:29], v[12:13], v[12:13], -v[10:11]
	v_rcp_f64_e32 v[36:37], v[32:33]
	v_div_fmas_f64 v[16:17], v[16:17], v[30:31], v[34:35]
	v_div_fixup_f64 v[4:5], v[16:17], v[12:13], v[4:5]
	v_fma_f64 v[16:17], -v[32:33], v[36:37], 1.0
	v_fmac_f64_e32 v[36:37], v[36:37], v[16:17]
	v_fma_f64 v[16:17], -v[32:33], v[36:37], 1.0
	v_fmac_f64_e32 v[36:37], v[36:37], v[16:17]
	v_div_scale_f64 v[16:17], vcc, -v[10:11], v[12:13], -v[10:11]
	v_mul_f64 v[30:31], v[16:17], v[36:37]
	v_fma_f64 v[16:17], -v[32:33], v[30:31], v[16:17]
	v_add_f64 v[32:33], v[2:3], -v[14:15]
	v_div_scale_f64 v[34:35], s[28:29], v[2:3], v[2:3], v[32:33]
	v_rcp_f64_e32 v[38:39], v[34:35]
	v_div_fmas_f64 v[14:15], v[16:17], v[36:37], v[30:31]
	v_div_fixup_f64 v[14:15], v[14:15], v[12:13], -v[10:11]
	v_div_scale_f64 v[30:31], s[28:29], v[2:3], v[2:3], -v[10:11]
	v_fma_f64 v[12:13], -v[34:35], v[38:39], 1.0
	v_fmac_f64_e32 v[38:39], v[38:39], v[12:13]
	v_fma_f64 v[12:13], -v[34:35], v[38:39], 1.0
	v_fmac_f64_e32 v[38:39], v[38:39], v[12:13]
	v_div_scale_f64 v[12:13], vcc, v[32:33], v[2:3], v[32:33]
	v_mul_f64 v[16:17], v[12:13], v[38:39]
	v_fma_f64 v[12:13], -v[34:35], v[16:17], v[12:13]
	v_rcp_f64_e32 v[34:35], v[30:31]
	s_nop 0
	v_div_fmas_f64 v[12:13], v[12:13], v[38:39], v[16:17]
	v_div_fixup_f64 v[12:13], v[12:13], v[2:3], v[32:33]
	s_and_b64 s[28:29], s[12:13], exec
	v_fma_f64 v[16:17], -v[30:31], v[34:35], 1.0
	v_fmac_f64_e32 v[34:35], v[34:35], v[16:17]
	v_fma_f64 v[16:17], -v[30:31], v[34:35], 1.0
	v_fmac_f64_e32 v[34:35], v[34:35], v[16:17]
	v_div_scale_f64 v[16:17], vcc, -v[10:11], v[2:3], -v[10:11]
	v_mul_f64 v[32:33], v[16:17], v[34:35]
	v_fma_f64 v[16:17], -v[30:31], v[32:33], v[16:17]
	s_nop 1
	v_div_fmas_f64 v[16:17], v[16:17], v[34:35], v[32:33]
	v_div_fixup_f64 v[10:11], v[16:17], v[2:3], -v[10:11]
	ds_write2_b64 v9, v[12:13], v[10:11] offset1:1
.LBB134_22:                             ;   in Loop: Header=BB134_9 Depth=1
	s_or_b64 exec, exec, s[26:27]
	s_and_saveexec_b64 s[26:27], s[24:25]
	s_cbranch_execz .LBB134_24
; %bb.23:                               ;   in Loop: Header=BB134_9 Depth=1
	s_lshl_b64 s[24:25], s[8:9], 3
	s_add_u32 s24, s39, s24
	s_addc_u32 s25, s40, s25
	s_waitcnt lgkmcnt(0)
	global_store_dwordx2 v8, v[2:3], s[24:25]
	v_mov_b32_e32 v2, 0
	v_mov_b32_e32 v3, 0x3ff00000
	s_or_b64 s[28:29], s[28:29], exec
.LBB134_24:                             ;   in Loop: Header=BB134_9 Depth=1
	s_or_b64 exec, exec, s[26:27]
	v_pk_mov_b32 v[10:11], s[20:21], s[20:21] op_sel:[0,1]
	v_pk_mov_b32 v[12:13], s[22:23], s[22:23] op_sel:[0,1]
	;; [unrolled: 1-line block ×3, first 2 shown]
	s_and_saveexec_b64 s[20:21], s[28:29]
	s_cbranch_execz .LBB134_26
; %bb.25:                               ;   in Loop: Header=BB134_9 Depth=1
	v_mov_b32_e32 v9, v8
	v_mov_b32_e32 v10, s50
	s_waitcnt lgkmcnt(0)
	ds_write2_b64 v10, v[2:3], v[8:9] offset1:1
	v_mov_b32_e32 v2, s44
	ds_read_b64 v[10:11], v2 offset:8
	v_pk_mov_b32 v[12:13], v[4:5], v[4:5] op_sel:[0,1]
	v_pk_mov_b32 v[16:17], v[14:15], v[14:15] op_sel:[0,1]
.LBB134_26:                             ;   in Loop: Header=BB134_9 Depth=1
	s_or_b64 exec, exec, s[20:21]
	v_mov_b32_e32 v9, s44
	s_waitcnt lgkmcnt(0)
	ds_read2_b64 v[2:5], v9 offset1:1
	s_lshl_b64 s[20:21], s[8:9], 4
	s_add_u32 s20, s41, s20
	s_addc_u32 s21, s42, s21
	v_xor_b32_e32 v11, 0x80000000, v11
	ds_write_b64 v9, v[16:17] offset:24
	s_waitcnt lgkmcnt(1)
	global_store_dwordx4 v8, v[2:5], s[20:21]
	ds_write2_b64 v9, v[10:11], v[12:13] offset0:1 offset1:2
.LBB134_27:                             ;   in Loop: Header=BB134_9 Depth=1
	s_or_b64 exec, exec, s[18:19]
	s_waitcnt lgkmcnt(0)
	s_barrier
	s_and_saveexec_b64 s[18:19], s[6:7]
	s_cbranch_execz .LBB134_30
; %bb.28:                               ;   in Loop: Header=BB134_9 Depth=1
	s_mov_b32 s20, 0
	s_mov_b64 s[6:7], 0
	v_mov_b32_e32 v2, v0
.LBB134_29:                             ;   Parent Loop BB134_9 Depth=1
                                        ; =>  This Inner Loop Header: Depth=2
	v_mov_b32_e32 v4, s44
	v_add_u32_e32 v3, s20, v24
	ds_read2_b64 v[10:13], v4 offset0:2 offset1:3
	ds_read2_b64 v[14:17], v3 offset1:1
	v_add_u32_e32 v2, 0x100, v2
	s_addk_i32 s20, 0x1000
	v_cmp_le_i32_e32 vcc, s51, v2
	s_or_b64 s[6:7], vcc, s[6:7]
	s_waitcnt lgkmcnt(0)
	v_mul_f64 v[4:5], v[12:13], v[16:17]
	v_mul_f64 v[16:17], v[10:11], v[16:17]
	v_fma_f64 v[4:5], v[10:11], v[14:15], -v[4:5]
	v_fmac_f64_e32 v[16:17], v[12:13], v[14:15]
	ds_write2_b64 v3, v[4:5], v[16:17] offset1:1
	s_andn2_b64 exec, exec, s[6:7]
	s_cbranch_execnz .LBB134_29
.LBB134_30:                             ;   in Loop: Header=BB134_9 Depth=1
	s_or_b64 exec, exec, s[18:19]
	s_not_b32 s22, s8
	s_add_i32 s22, s22, s17
	v_cmp_gt_i32_e32 vcc, s22, v0
	s_waitcnt lgkmcnt(0)
	s_barrier
	s_and_saveexec_b64 s[6:7], vcc
	s_cbranch_execz .LBB134_36
; %bb.31:                               ;   in Loop: Header=BB134_9 Depth=1
	s_cmp_gt_i32 s49, 0
	s_mov_b64 s[18:19], 0
	s_cselect_b64 s[20:21], -1, 0
	v_mov_b32_e32 v9, v25
	v_mov_b32_e32 v10, v0
	s_branch .LBB134_33
.LBB134_32:                             ;   in Loop: Header=BB134_33 Depth=2
	v_mov_b32_e32 v11, s44
	ds_read2_b64 v[12:15], v11 offset1:1
	v_lshl_add_u32 v11, v10, 4, s43
	v_add_u32_e32 v10, 0x100, v10
	v_cmp_le_i32_e32 vcc, s22, v10
	s_or_b64 s[18:19], vcc, s[18:19]
	s_waitcnt lgkmcnt(0)
	v_mul_f64 v[16:17], v[2:3], v[14:15]
	v_mul_f64 v[14:15], v[4:5], v[14:15]
	v_fma_f64 v[4:5], v[4:5], v[12:13], -v[16:17]
	v_fmac_f64_e32 v[14:15], v[2:3], v[12:13]
	v_add_u32_e32 v9, s47, v9
	ds_write2_b64 v11, v[4:5], v[14:15] offset1:1
	s_andn2_b64 exec, exec, s[18:19]
	s_cbranch_execz .LBB134_36
.LBB134_33:                             ;   Parent Loop BB134_9 Depth=1
                                        ; =>  This Loop Header: Depth=2
                                        ;       Child Loop BB134_35 Depth 3
	v_pk_mov_b32 v[2:3], 0, 0
	s_andn2_b64 vcc, exec, s[20:21]
	v_pk_mov_b32 v[4:5], v[2:3], v[2:3] op_sel:[0,1]
	s_cbranch_vccnz .LBB134_32
; %bb.34:                               ;   in Loop: Header=BB134_33 Depth=2
	v_pk_mov_b32 v[2:3], 0, 0
	s_mov_b32 s23, 0
	s_mov_b32 s24, s48
	v_mov_b32_e32 v11, v9
	v_pk_mov_b32 v[4:5], v[2:3], v[2:3] op_sel:[0,1]
.LBB134_35:                             ;   Parent Loop BB134_9 Depth=1
                                        ;     Parent Loop BB134_33 Depth=2
                                        ; =>    This Inner Loop Header: Depth=3
	v_mov_b32_e32 v16, s24
	ds_read2_b64 v[12:15], v11 offset1:1
	ds_read2_b64 v[30:33], v16 offset1:1
	s_add_i32 s23, s23, 1
	s_add_i32 s24, s24, 16
	v_add_u32_e32 v11, 16, v11
	s_cmp_ge_i32 s23, s49
	s_waitcnt lgkmcnt(0)
	v_mul_f64 v[16:17], v[32:33], v[14:15]
	v_mul_f64 v[32:33], v[32:33], v[12:13]
	v_fmac_f64_e32 v[16:17], v[30:31], v[12:13]
	v_fma_f64 v[12:13], v[30:31], v[14:15], -v[32:33]
	v_add_f64 v[4:5], v[4:5], v[16:17]
	v_add_f64 v[2:3], v[2:3], v[12:13]
	s_cbranch_scc0 .LBB134_35
	s_branch .LBB134_32
.LBB134_36:                             ;   in Loop: Header=BB134_9 Depth=1
	s_or_b64 exec, exec, s[6:7]
	v_cmp_gt_i32_e32 vcc, s49, v0
	s_waitcnt lgkmcnt(0)
	s_barrier
	s_and_saveexec_b64 s[6:7], vcc
	s_cbranch_execz .LBB134_8
; %bb.37:                               ;   in Loop: Header=BB134_9 Depth=1
	s_cmp_gt_i32 s22, 0
	s_mov_b64 s[18:19], 0
	s_cselect_b64 s[20:21], -1, 0
	v_mov_b32_e32 v2, v26
	v_mov_b32_e32 v3, v0
	s_branch .LBB134_39
.LBB134_38:                             ;   in Loop: Header=BB134_39 Depth=2
	v_add_u32_e32 v3, 0x100, v3
	v_cmp_le_i32_e32 vcc, s49, v3
	s_or_b64 s[18:19], vcc, s[18:19]
	v_add_u32_e32 v2, 0x1000, v2
	s_andn2_b64 exec, exec, s[18:19]
	s_cbranch_execz .LBB134_8
.LBB134_39:                             ;   Parent Loop BB134_9 Depth=1
                                        ; =>  This Loop Header: Depth=2
                                        ;       Child Loop BB134_41 Depth 3
	s_andn2_b64 vcc, exec, s[20:21]
	s_cbranch_vccnz .LBB134_38
; %bb.40:                               ;   in Loop: Header=BB134_39 Depth=2
	v_lshl_add_u32 v4, v3, 4, s50
	s_mov_b32 s23, 0
	s_mov_b32 s24, s43
	v_mov_b32_e32 v5, v2
.LBB134_41:                             ;   Parent Loop BB134_9 Depth=1
                                        ;     Parent Loop BB134_39 Depth=2
                                        ; =>    This Inner Loop Header: Depth=3
	v_mov_b32_e32 v9, s24
	ds_read2_b64 v[10:13], v4 offset1:1
	ds_read2_b64 v[14:17], v5 offset1:1
	;; [unrolled: 1-line block ×3, first 2 shown]
	s_add_i32 s23, s23, 1
	s_add_i32 s24, s24, 16
	s_cmp_ge_i32 s23, s22
	s_waitcnt lgkmcnt(0)
	v_mul_f64 v[34:35], v[32:33], v[12:13]
	v_mul_f64 v[12:13], v[30:31], v[12:13]
	v_fma_f64 v[30:31], v[30:31], v[10:11], -v[34:35]
	v_fmac_f64_e32 v[12:13], v[32:33], v[10:11]
	v_add_f64 v[10:11], v[14:15], -v[30:31]
	v_add_f64 v[12:13], v[16:17], -v[12:13]
	ds_write2_b64 v5, v[10:11], v[12:13] offset1:1
	v_add_u32_e32 v5, s45, v5
	s_cbranch_scc0 .LBB134_41
	s_branch .LBB134_38
.LBB134_42:
	s_and_saveexec_b64 s[2:3], s[0:1]
	s_cbranch_execz .LBB134_48
; %bb.43:
	v_mad_u64_u32 v[0:1], s[0:1], s37, v7, v[6:7]
	v_mul_lo_u32 v1, s16, v7
	v_lshlrev_b32_e32 v1, 4, v1
	v_cmp_gt_i32_e32 vcc, s17, v7
	s_lshl_b32 s10, s37, 1
	v_add3_u32 v1, v1, v18, 0
	s_lshl_b32 s11, s16, 5
	s_mov_b64 s[4:5], 0
	s_branch .LBB134_45
.LBB134_44:                             ;   in Loop: Header=BB134_45 Depth=1
	s_or_b64 exec, exec, s[6:7]
	v_add_u32_e32 v6, 0x80, v6
	v_cmp_le_i32_e64 s[0:1], s16, v6
	v_add_u32_e32 v0, 0x80, v0
	s_or_b64 s[4:5], s[0:1], s[4:5]
	v_add_u32_e32 v1, 0x800, v1
	s_andn2_b64 exec, exec, s[4:5]
	s_cbranch_execz .LBB134_48
.LBB134_45:                             ; =>This Loop Header: Depth=1
                                        ;     Child Loop BB134_47 Depth 2
	s_and_saveexec_b64 s[6:7], vcc
	s_cbranch_execz .LBB134_44
; %bb.46:                               ;   in Loop: Header=BB134_45 Depth=1
	s_mov_b64 s[8:9], 0
	v_mov_b32_e32 v4, v1
	v_mov_b32_e32 v2, v0
	;; [unrolled: 1-line block ×3, first 2 shown]
.LBB134_47:                             ;   Parent Loop BB134_45 Depth=1
                                        ; =>  This Inner Loop Header: Depth=2
	ds_read2_b64 v[8:11], v4 offset1:1
	v_ashrrev_i32_e32 v3, 31, v2
	v_add_u32_e32 v5, 2, v5
	v_lshlrev_b64 v[12:13], 4, v[2:3]
	v_mov_b32_e32 v14, s36
	v_cmp_le_i32_e64 s[0:1], s17, v5
	v_add_co_u32_e64 v12, s[2:3], s33, v12
	v_add_u32_e32 v4, s11, v4
	v_add_u32_e32 v2, s10, v2
	v_addc_co_u32_e64 v13, s[2:3], v14, v13, s[2:3]
	s_or_b64 s[8:9], s[0:1], s[8:9]
	s_waitcnt lgkmcnt(0)
	global_store_dwordx4 v[12:13], v[8:11], off
	s_andn2_b64 exec, exec, s[8:9]
	s_cbranch_execnz .LBB134_47
	s_branch .LBB134_44
.LBB134_48:
	s_endpgm
	.section	.rodata,"a",@progbits
	.p2align	6, 0x0
	.amdhsa_kernel _ZN9rocsolver6v33100L18geqr2_kernel_smallILi256E19rocblas_complex_numIdEidPS3_EEvT1_S5_T3_lS5_lPT2_lPT0_l
		.amdhsa_group_segment_fixed_size 0
		.amdhsa_private_segment_fixed_size 0
		.amdhsa_kernarg_size 72
		.amdhsa_user_sgpr_count 6
		.amdhsa_user_sgpr_private_segment_buffer 1
		.amdhsa_user_sgpr_dispatch_ptr 0
		.amdhsa_user_sgpr_queue_ptr 0
		.amdhsa_user_sgpr_kernarg_segment_ptr 1
		.amdhsa_user_sgpr_dispatch_id 0
		.amdhsa_user_sgpr_flat_scratch_init 0
		.amdhsa_user_sgpr_kernarg_preload_length 0
		.amdhsa_user_sgpr_kernarg_preload_offset 0
		.amdhsa_user_sgpr_private_segment_size 0
		.amdhsa_uses_dynamic_stack 0
		.amdhsa_system_sgpr_private_segment_wavefront_offset 0
		.amdhsa_system_sgpr_workgroup_id_x 1
		.amdhsa_system_sgpr_workgroup_id_y 0
		.amdhsa_system_sgpr_workgroup_id_z 1
		.amdhsa_system_sgpr_workgroup_info 0
		.amdhsa_system_vgpr_workitem_id 0
		.amdhsa_next_free_vgpr 40
		.amdhsa_next_free_sgpr 52
		.amdhsa_accum_offset 40
		.amdhsa_reserve_vcc 1
		.amdhsa_reserve_flat_scratch 0
		.amdhsa_float_round_mode_32 0
		.amdhsa_float_round_mode_16_64 0
		.amdhsa_float_denorm_mode_32 3
		.amdhsa_float_denorm_mode_16_64 3
		.amdhsa_dx10_clamp 1
		.amdhsa_ieee_mode 1
		.amdhsa_fp16_overflow 0
		.amdhsa_tg_split 0
		.amdhsa_exception_fp_ieee_invalid_op 0
		.amdhsa_exception_fp_denorm_src 0
		.amdhsa_exception_fp_ieee_div_zero 0
		.amdhsa_exception_fp_ieee_overflow 0
		.amdhsa_exception_fp_ieee_underflow 0
		.amdhsa_exception_fp_ieee_inexact 0
		.amdhsa_exception_int_div_zero 0
	.end_amdhsa_kernel
	.section	.text._ZN9rocsolver6v33100L18geqr2_kernel_smallILi256E19rocblas_complex_numIdEidPS3_EEvT1_S5_T3_lS5_lPT2_lPT0_l,"axG",@progbits,_ZN9rocsolver6v33100L18geqr2_kernel_smallILi256E19rocblas_complex_numIdEidPS3_EEvT1_S5_T3_lS5_lPT2_lPT0_l,comdat
.Lfunc_end134:
	.size	_ZN9rocsolver6v33100L18geqr2_kernel_smallILi256E19rocblas_complex_numIdEidPS3_EEvT1_S5_T3_lS5_lPT2_lPT0_l, .Lfunc_end134-_ZN9rocsolver6v33100L18geqr2_kernel_smallILi256E19rocblas_complex_numIdEidPS3_EEvT1_S5_T3_lS5_lPT2_lPT0_l
                                        ; -- End function
	.section	.AMDGPU.csdata,"",@progbits
; Kernel info:
; codeLenInByte = 3144
; NumSgprs: 56
; NumVgprs: 40
; NumAgprs: 0
; TotalNumVgprs: 40
; ScratchSize: 0
; MemoryBound: 0
; FloatMode: 240
; IeeeMode: 1
; LDSByteSize: 0 bytes/workgroup (compile time only)
; SGPRBlocks: 6
; VGPRBlocks: 4
; NumSGPRsForWavesPerEU: 56
; NumVGPRsForWavesPerEU: 40
; AccumOffset: 40
; Occupancy: 8
; WaveLimiterHint : 0
; COMPUTE_PGM_RSRC2:SCRATCH_EN: 0
; COMPUTE_PGM_RSRC2:USER_SGPR: 6
; COMPUTE_PGM_RSRC2:TRAP_HANDLER: 0
; COMPUTE_PGM_RSRC2:TGID_X_EN: 1
; COMPUTE_PGM_RSRC2:TGID_Y_EN: 0
; COMPUTE_PGM_RSRC2:TGID_Z_EN: 1
; COMPUTE_PGM_RSRC2:TIDIG_COMP_CNT: 0
; COMPUTE_PGM_RSRC3_GFX90A:ACCUM_OFFSET: 9
; COMPUTE_PGM_RSRC3_GFX90A:TG_SPLIT: 0
	.section	.text._ZN9rocsolver6v33100L16reset_batch_infoI19rocblas_complex_numIdEiiPS3_EEvT2_lT0_T1_,"axG",@progbits,_ZN9rocsolver6v33100L16reset_batch_infoI19rocblas_complex_numIdEiiPS3_EEvT2_lT0_T1_,comdat
	.globl	_ZN9rocsolver6v33100L16reset_batch_infoI19rocblas_complex_numIdEiiPS3_EEvT2_lT0_T1_ ; -- Begin function _ZN9rocsolver6v33100L16reset_batch_infoI19rocblas_complex_numIdEiiPS3_EEvT2_lT0_T1_
	.p2align	8
	.type	_ZN9rocsolver6v33100L16reset_batch_infoI19rocblas_complex_numIdEiiPS3_EEvT2_lT0_T1_,@function
_ZN9rocsolver6v33100L16reset_batch_infoI19rocblas_complex_numIdEiiPS3_EEvT2_lT0_T1_: ; @_ZN9rocsolver6v33100L16reset_batch_infoI19rocblas_complex_numIdEiiPS3_EEvT2_lT0_T1_
; %bb.0:
	s_load_dword s2, s[4:5], 0x24
	s_load_dwordx2 s[0:1], s[4:5], 0x10
	s_waitcnt lgkmcnt(0)
	s_and_b32 s2, s2, 0xffff
	s_mul_i32 s6, s6, s2
	v_add_u32_e32 v0, s6, v0
	v_cmp_gt_i32_e32 vcc, s0, v0
	s_and_saveexec_b64 s[2:3], vcc
	s_cbranch_execz .LBB135_2
; %bb.1:
	s_load_dwordx4 s[8:11], s[4:5], 0x0
	s_ashr_i32 s0, s7, 31
	v_ashrrev_i32_e32 v1, 31, v0
	v_lshlrev_b64 v[0:1], 4, v[0:1]
	s_waitcnt lgkmcnt(0)
	s_mul_i32 s3, s7, s11
	s_mul_hi_u32 s4, s7, s10
	s_mul_i32 s0, s0, s10
	s_add_i32 s3, s4, s3
	s_mul_i32 s2, s7, s10
	s_add_i32 s3, s3, s0
	s_lshl_b64 s[2:3], s[2:3], 4
	s_add_u32 s0, s8, s2
	s_addc_u32 s2, s9, s3
	v_mov_b32_e32 v2, s2
	v_add_co_u32_e32 v4, vcc, s0, v0
	v_addc_co_u32_e32 v5, vcc, v2, v1, vcc
	v_mov_b32_e32 v2, 0
	v_cvt_f64_i32_e32 v[0:1], s1
	v_mov_b32_e32 v3, v2
	global_store_dwordx4 v[4:5], v[0:3], off
.LBB135_2:
	s_endpgm
	.section	.rodata,"a",@progbits
	.p2align	6, 0x0
	.amdhsa_kernel _ZN9rocsolver6v33100L16reset_batch_infoI19rocblas_complex_numIdEiiPS3_EEvT2_lT0_T1_
		.amdhsa_group_segment_fixed_size 0
		.amdhsa_private_segment_fixed_size 0
		.amdhsa_kernarg_size 280
		.amdhsa_user_sgpr_count 6
		.amdhsa_user_sgpr_private_segment_buffer 1
		.amdhsa_user_sgpr_dispatch_ptr 0
		.amdhsa_user_sgpr_queue_ptr 0
		.amdhsa_user_sgpr_kernarg_segment_ptr 1
		.amdhsa_user_sgpr_dispatch_id 0
		.amdhsa_user_sgpr_flat_scratch_init 0
		.amdhsa_user_sgpr_kernarg_preload_length 0
		.amdhsa_user_sgpr_kernarg_preload_offset 0
		.amdhsa_user_sgpr_private_segment_size 0
		.amdhsa_uses_dynamic_stack 0
		.amdhsa_system_sgpr_private_segment_wavefront_offset 0
		.amdhsa_system_sgpr_workgroup_id_x 1
		.amdhsa_system_sgpr_workgroup_id_y 1
		.amdhsa_system_sgpr_workgroup_id_z 0
		.amdhsa_system_sgpr_workgroup_info 0
		.amdhsa_system_vgpr_workitem_id 0
		.amdhsa_next_free_vgpr 6
		.amdhsa_next_free_sgpr 12
		.amdhsa_accum_offset 8
		.amdhsa_reserve_vcc 1
		.amdhsa_reserve_flat_scratch 0
		.amdhsa_float_round_mode_32 0
		.amdhsa_float_round_mode_16_64 0
		.amdhsa_float_denorm_mode_32 3
		.amdhsa_float_denorm_mode_16_64 3
		.amdhsa_dx10_clamp 1
		.amdhsa_ieee_mode 1
		.amdhsa_fp16_overflow 0
		.amdhsa_tg_split 0
		.amdhsa_exception_fp_ieee_invalid_op 0
		.amdhsa_exception_fp_denorm_src 0
		.amdhsa_exception_fp_ieee_div_zero 0
		.amdhsa_exception_fp_ieee_overflow 0
		.amdhsa_exception_fp_ieee_underflow 0
		.amdhsa_exception_fp_ieee_inexact 0
		.amdhsa_exception_int_div_zero 0
	.end_amdhsa_kernel
	.section	.text._ZN9rocsolver6v33100L16reset_batch_infoI19rocblas_complex_numIdEiiPS3_EEvT2_lT0_T1_,"axG",@progbits,_ZN9rocsolver6v33100L16reset_batch_infoI19rocblas_complex_numIdEiiPS3_EEvT2_lT0_T1_,comdat
.Lfunc_end135:
	.size	_ZN9rocsolver6v33100L16reset_batch_infoI19rocblas_complex_numIdEiiPS3_EEvT2_lT0_T1_, .Lfunc_end135-_ZN9rocsolver6v33100L16reset_batch_infoI19rocblas_complex_numIdEiiPS3_EEvT2_lT0_T1_
                                        ; -- End function
	.section	.AMDGPU.csdata,"",@progbits
; Kernel info:
; codeLenInByte = 148
; NumSgprs: 16
; NumVgprs: 6
; NumAgprs: 0
; TotalNumVgprs: 6
; ScratchSize: 0
; MemoryBound: 0
; FloatMode: 240
; IeeeMode: 1
; LDSByteSize: 0 bytes/workgroup (compile time only)
; SGPRBlocks: 1
; VGPRBlocks: 0
; NumSGPRsForWavesPerEU: 16
; NumVGPRsForWavesPerEU: 6
; AccumOffset: 8
; Occupancy: 8
; WaveLimiterHint : 0
; COMPUTE_PGM_RSRC2:SCRATCH_EN: 0
; COMPUTE_PGM_RSRC2:USER_SGPR: 6
; COMPUTE_PGM_RSRC2:TRAP_HANDLER: 0
; COMPUTE_PGM_RSRC2:TGID_X_EN: 1
; COMPUTE_PGM_RSRC2:TGID_Y_EN: 1
; COMPUTE_PGM_RSRC2:TGID_Z_EN: 0
; COMPUTE_PGM_RSRC2:TIDIG_COMP_CNT: 0
; COMPUTE_PGM_RSRC3_GFX90A:ACCUM_OFFSET: 1
; COMPUTE_PGM_RSRC3_GFX90A:TG_SPLIT: 0
	.section	.text._ZN9rocsolver6v33100L8set_diagI19rocblas_complex_numIdEidPS3_TnNSt9enable_ifIXaa18rocblas_is_complexIT_Ent18rocblas_is_complexIT1_EEiE4typeELi0EEEvPS7_llT2_lT0_lSC_b,"axG",@progbits,_ZN9rocsolver6v33100L8set_diagI19rocblas_complex_numIdEidPS3_TnNSt9enable_ifIXaa18rocblas_is_complexIT_Ent18rocblas_is_complexIT1_EEiE4typeELi0EEEvPS7_llT2_lT0_lSC_b,comdat
	.globl	_ZN9rocsolver6v33100L8set_diagI19rocblas_complex_numIdEidPS3_TnNSt9enable_ifIXaa18rocblas_is_complexIT_Ent18rocblas_is_complexIT1_EEiE4typeELi0EEEvPS7_llT2_lT0_lSC_b ; -- Begin function _ZN9rocsolver6v33100L8set_diagI19rocblas_complex_numIdEidPS3_TnNSt9enable_ifIXaa18rocblas_is_complexIT_Ent18rocblas_is_complexIT1_EEiE4typeELi0EEEvPS7_llT2_lT0_lSC_b
	.p2align	8
	.type	_ZN9rocsolver6v33100L8set_diagI19rocblas_complex_numIdEidPS3_TnNSt9enable_ifIXaa18rocblas_is_complexIT_Ent18rocblas_is_complexIT1_EEiE4typeELi0EEEvPS7_llT2_lT0_lSC_b,@function
_ZN9rocsolver6v33100L8set_diagI19rocblas_complex_numIdEidPS3_TnNSt9enable_ifIXaa18rocblas_is_complexIT_Ent18rocblas_is_complexIT1_EEiE4typeELi0EEEvPS7_llT2_lT0_lSC_b: ; @_ZN9rocsolver6v33100L8set_diagI19rocblas_complex_numIdEidPS3_TnNSt9enable_ifIXaa18rocblas_is_complexIT_Ent18rocblas_is_complexIT1_EEiE4typeELi0EEEvPS7_llT2_lT0_lSC_b
; %bb.0:
	s_load_dword s2, s[4:5], 0x4c
	s_load_dwordx2 s[0:1], s[4:5], 0x38
	v_bfe_u32 v0, v0, 10, 10
	s_waitcnt lgkmcnt(0)
	s_lshr_b32 s2, s2, 16
	s_mul_i32 s7, s7, s2
	v_add_u32_e32 v2, s7, v0
	v_cmp_gt_i32_e32 vcc, s0, v2
	s_and_saveexec_b64 s[2:3], vcc
	s_cbranch_execz .LBB136_5
; %bb.1:
	s_load_dwordx2 s[2:3], s[4:5], 0x20
	s_load_dword s7, s[4:5], 0x28
	s_load_dwordx2 s[16:17], s[4:5], 0x30
	s_load_dwordx8 s[8:15], s[4:5], 0x0
	s_bitcmp1_b32 s1, 0
	s_cselect_b64 s[0:1], -1, 0
	s_ashr_i32 s18, s6, 31
	s_waitcnt lgkmcnt(0)
	s_mul_i32 s4, s6, s17
	s_mul_hi_u32 s5, s6, s16
	s_add_i32 s4, s5, s4
	s_mul_i32 s5, s18, s16
	s_add_i32 s5, s4, s5
	s_mul_i32 s4, s6, s16
	s_lshl_b64 s[4:5], s[4:5], 4
	s_add_u32 s4, s14, s4
	s_addc_u32 s5, s15, s5
	s_lshl_b64 s[2:3], s[2:3], 4
	s_add_u32 s4, s4, s2
	s_addc_u32 s5, s5, s3
	v_mad_u64_u32 v[0:1], s[2:3], v2, s7, v[2:3]
	v_ashrrev_i32_e32 v1, 31, v0
	v_lshlrev_b64 v[0:1], 4, v[0:1]
	v_mov_b32_e32 v3, s5
	v_add_co_u32_e32 v4, vcc, s4, v0
	v_addc_co_u32_e32 v5, vcc, v3, v1, vcc
	global_load_dwordx2 v[0:1], v[4:5], off
	s_mul_i32 s3, s6, s13
	s_mul_hi_u32 s4, s6, s12
	s_mul_i32 s18, s18, s12
	s_add_i32 s3, s4, s3
	s_mul_i32 s2, s6, s12
	s_add_i32 s3, s3, s18
	s_lshl_b64 s[2:3], s[2:3], 3
	s_add_u32 s4, s8, s2
	s_addc_u32 s5, s9, s3
	s_lshl_b64 s[2:3], s[10:11], 3
	v_ashrrev_i32_e32 v3, 31, v2
	s_add_u32 s2, s4, s2
	v_lshlrev_b64 v[2:3], 3, v[2:3]
	s_addc_u32 s3, s5, s3
	s_and_b64 vcc, exec, s[0:1]
	v_mov_b32_e32 v6, s3
	v_add_co_u32_e64 v2, s[0:1], s2, v2
	v_addc_co_u32_e64 v3, s[0:1], v6, v3, s[0:1]
	s_waitcnt vmcnt(0)
	global_store_dwordx2 v[2:3], v[0:1], off
	s_cbranch_vccnz .LBB136_3
; %bb.2:
	global_load_dwordx2 v[2:3], v[4:5], off offset:8
	s_branch .LBB136_4
.LBB136_3:
	v_mov_b32_e32 v0, 0
	v_pk_mov_b32 v[2:3], 0, 0
	v_mov_b32_e32 v1, 0x3ff00000
.LBB136_4:
	s_waitcnt vmcnt(0)
	global_store_dwordx4 v[4:5], v[0:3], off
.LBB136_5:
	s_endpgm
	.section	.rodata,"a",@progbits
	.p2align	6, 0x0
	.amdhsa_kernel _ZN9rocsolver6v33100L8set_diagI19rocblas_complex_numIdEidPS3_TnNSt9enable_ifIXaa18rocblas_is_complexIT_Ent18rocblas_is_complexIT1_EEiE4typeELi0EEEvPS7_llT2_lT0_lSC_b
		.amdhsa_group_segment_fixed_size 0
		.amdhsa_private_segment_fixed_size 0
		.amdhsa_kernarg_size 320
		.amdhsa_user_sgpr_count 6
		.amdhsa_user_sgpr_private_segment_buffer 1
		.amdhsa_user_sgpr_dispatch_ptr 0
		.amdhsa_user_sgpr_queue_ptr 0
		.amdhsa_user_sgpr_kernarg_segment_ptr 1
		.amdhsa_user_sgpr_dispatch_id 0
		.amdhsa_user_sgpr_flat_scratch_init 0
		.amdhsa_user_sgpr_kernarg_preload_length 0
		.amdhsa_user_sgpr_kernarg_preload_offset 0
		.amdhsa_user_sgpr_private_segment_size 0
		.amdhsa_uses_dynamic_stack 0
		.amdhsa_system_sgpr_private_segment_wavefront_offset 0
		.amdhsa_system_sgpr_workgroup_id_x 1
		.amdhsa_system_sgpr_workgroup_id_y 1
		.amdhsa_system_sgpr_workgroup_id_z 0
		.amdhsa_system_sgpr_workgroup_info 0
		.amdhsa_system_vgpr_workitem_id 1
		.amdhsa_next_free_vgpr 7
		.amdhsa_next_free_sgpr 19
		.amdhsa_accum_offset 8
		.amdhsa_reserve_vcc 1
		.amdhsa_reserve_flat_scratch 0
		.amdhsa_float_round_mode_32 0
		.amdhsa_float_round_mode_16_64 0
		.amdhsa_float_denorm_mode_32 3
		.amdhsa_float_denorm_mode_16_64 3
		.amdhsa_dx10_clamp 1
		.amdhsa_ieee_mode 1
		.amdhsa_fp16_overflow 0
		.amdhsa_tg_split 0
		.amdhsa_exception_fp_ieee_invalid_op 0
		.amdhsa_exception_fp_denorm_src 0
		.amdhsa_exception_fp_ieee_div_zero 0
		.amdhsa_exception_fp_ieee_overflow 0
		.amdhsa_exception_fp_ieee_underflow 0
		.amdhsa_exception_fp_ieee_inexact 0
		.amdhsa_exception_int_div_zero 0
	.end_amdhsa_kernel
	.section	.text._ZN9rocsolver6v33100L8set_diagI19rocblas_complex_numIdEidPS3_TnNSt9enable_ifIXaa18rocblas_is_complexIT_Ent18rocblas_is_complexIT1_EEiE4typeELi0EEEvPS7_llT2_lT0_lSC_b,"axG",@progbits,_ZN9rocsolver6v33100L8set_diagI19rocblas_complex_numIdEidPS3_TnNSt9enable_ifIXaa18rocblas_is_complexIT_Ent18rocblas_is_complexIT1_EEiE4typeELi0EEEvPS7_llT2_lT0_lSC_b,comdat
.Lfunc_end136:
	.size	_ZN9rocsolver6v33100L8set_diagI19rocblas_complex_numIdEidPS3_TnNSt9enable_ifIXaa18rocblas_is_complexIT_Ent18rocblas_is_complexIT1_EEiE4typeELi0EEEvPS7_llT2_lT0_lSC_b, .Lfunc_end136-_ZN9rocsolver6v33100L8set_diagI19rocblas_complex_numIdEidPS3_TnNSt9enable_ifIXaa18rocblas_is_complexIT_Ent18rocblas_is_complexIT1_EEiE4typeELi0EEEvPS7_llT2_lT0_lSC_b
                                        ; -- End function
	.section	.AMDGPU.csdata,"",@progbits
; Kernel info:
; codeLenInByte = 336
; NumSgprs: 23
; NumVgprs: 7
; NumAgprs: 0
; TotalNumVgprs: 7
; ScratchSize: 0
; MemoryBound: 0
; FloatMode: 240
; IeeeMode: 1
; LDSByteSize: 0 bytes/workgroup (compile time only)
; SGPRBlocks: 2
; VGPRBlocks: 0
; NumSGPRsForWavesPerEU: 23
; NumVGPRsForWavesPerEU: 7
; AccumOffset: 8
; Occupancy: 8
; WaveLimiterHint : 0
; COMPUTE_PGM_RSRC2:SCRATCH_EN: 0
; COMPUTE_PGM_RSRC2:USER_SGPR: 6
; COMPUTE_PGM_RSRC2:TRAP_HANDLER: 0
; COMPUTE_PGM_RSRC2:TGID_X_EN: 1
; COMPUTE_PGM_RSRC2:TGID_Y_EN: 1
; COMPUTE_PGM_RSRC2:TGID_Z_EN: 0
; COMPUTE_PGM_RSRC2:TIDIG_COMP_CNT: 1
; COMPUTE_PGM_RSRC3_GFX90A:ACCUM_OFFSET: 1
; COMPUTE_PGM_RSRC3_GFX90A:TG_SPLIT: 0
	.section	.text._ZN9rocsolver6v33100L11set_taubetaI19rocblas_complex_numIdEidPS3_EEvPT_lS6_T2_llPT1_ll,"axG",@progbits,_ZN9rocsolver6v33100L11set_taubetaI19rocblas_complex_numIdEidPS3_EEvPT_lS6_T2_llPT1_ll,comdat
	.globl	_ZN9rocsolver6v33100L11set_taubetaI19rocblas_complex_numIdEidPS3_EEvPT_lS6_T2_llPT1_ll ; -- Begin function _ZN9rocsolver6v33100L11set_taubetaI19rocblas_complex_numIdEidPS3_EEvPT_lS6_T2_llPT1_ll
	.p2align	8
	.type	_ZN9rocsolver6v33100L11set_taubetaI19rocblas_complex_numIdEidPS3_EEvPT_lS6_T2_llPT1_ll,@function
_ZN9rocsolver6v33100L11set_taubetaI19rocblas_complex_numIdEidPS3_EEvPT_lS6_T2_llPT1_ll: ; @_ZN9rocsolver6v33100L11set_taubetaI19rocblas_complex_numIdEidPS3_EEvPT_lS6_T2_llPT1_ll
; %bb.0:
	s_load_dwordx16 s[8:23], s[4:5], 0x0
	s_ashr_i32 s7, s6, 31
	s_mov_b64 s[24:25], 0
	s_mov_b64 s[0:1], 0
	s_waitcnt lgkmcnt(0)
	s_cmp_eq_u64 s[20:21], 0
	s_cbranch_scc1 .LBB137_2
; %bb.1:
	s_load_dwordx2 s[0:1], s[4:5], 0x40
	s_waitcnt lgkmcnt(0)
	s_mul_i32 s1, s6, s1
	s_mul_hi_u32 s2, s6, s0
	s_mul_i32 s3, s7, s0
	s_add_i32 s1, s2, s1
	s_mul_i32 s0, s6, s0
	s_add_i32 s1, s1, s3
	s_lshl_b64 s[0:1], s[0:1], 3
	s_add_u32 s2, s20, s0
	s_addc_u32 s3, s21, s1
	s_lshl_b64 s[0:1], s[22:23], 3
	s_add_u32 s0, s2, s0
	s_addc_u32 s1, s3, s1
.LBB137_2:
	s_mul_i32 s2, s6, s19
	s_mul_hi_u32 s3, s6, s18
	s_add_i32 s2, s3, s2
	s_mul_i32 s3, s7, s18
	s_add_i32 s3, s2, s3
	s_mul_i32 s2, s6, s18
	s_lshl_b64 s[2:3], s[2:3], 4
	s_add_u32 s4, s14, s2
	s_addc_u32 s5, s15, s3
	s_lshl_b64 s[2:3], s[16:17], 4
	s_add_u32 s2, s4, s2
	s_addc_u32 s3, s5, s3
	s_mul_i32 s4, s6, s11
	s_mul_hi_u32 s5, s6, s10
	s_add_i32 s4, s5, s4
	s_mul_i32 s5, s7, s10
	s_add_i32 s5, s4, s5
	s_mul_i32 s4, s6, s10
	s_lshl_b64 s[4:5], s[4:5], 4
	s_add_u32 s8, s8, s4
	s_addc_u32 s9, s9, s5
	s_lshl_b64 s[4:5], s[6:7], 4
	s_add_u32 s12, s12, s4
	s_addc_u32 s13, s13, s5
	s_load_dwordx2 s[10:11], s[2:3], 0x8
	s_load_dwordx2 s[14:15], s[12:13], 0x0
	s_cmp_eq_u64 s[0:1], 0
	s_cselect_b64 s[4:5], -1, 0
	s_cmp_lg_u64 s[0:1], 0
	s_waitcnt lgkmcnt(0)
	v_mul_f64 v[4:5], s[10:11], s[10:11]
	v_max_f64 v[0:1], s[14:15], s[14:15]
	v_max_f64 v[0:1], v[0:1], v[4:5]
	v_cmp_nlt_f64_e32 vcc, 0, v[0:1]
	s_cselect_b64 s[6:7], -1, 0
	s_cbranch_vccz .LBB137_6
; %bb.3:
	v_mov_b32_e32 v0, 0
	v_mov_b32_e32 v1, 0x3ff00000
	;; [unrolled: 1-line block ×4, first 2 shown]
	global_store_dwordx4 v0, v[0:3], s[12:13]
	s_mov_b64 s[16:17], 0
	v_mov_b32_e32 v1, v0
	s_and_b64 vcc, exec, s[6:7]
	global_store_dwordx4 v0, v[0:3], s[8:9]
	s_cbranch_vccz .LBB137_7
; %bb.4:
	global_load_dwordx2 v[0:1], v0, s[2:3]
	s_mov_b64 s[24:25], -1
	s_and_b64 vcc, exec, s[16:17]
	s_cbranch_vccnz .LBB137_8
.LBB137_5:
	s_mov_b64 s[4:5], 0
	s_andn2_b64 vcc, exec, s[24:25]
	s_cbranch_vccz .LBB137_9
	s_branch .LBB137_10
.LBB137_6:
	s_mov_b64 s[16:17], -1
.LBB137_7:
                                        ; implicit-def: $vgpr0_vgpr1
	s_and_b64 vcc, exec, s[16:17]
	s_cbranch_vccz .LBB137_5
.LBB137_8:
	s_load_dwordx2 s[16:17], s[2:3], 0x0
	s_mov_b32 s18, 0
	s_brev_b32 s19, 8
	s_mov_b64 s[24:25], s[6:7]
	s_waitcnt vmcnt(0) lgkmcnt(0)
	v_fma_f64 v[0:1], s[16:17], s[16:17], v[4:5]
	v_add_f64 v[0:1], s[14:15], v[0:1]
	v_cmp_gt_f64_e32 vcc, s[18:19], v[0:1]
	v_cndmask_b32_e64 v2, 0, 1, vcc
	v_lshlrev_b32_e32 v2, 8, v2
	v_ldexp_f64 v[0:1], v[0:1], v2
	v_rsq_f64_e32 v[2:3], v[0:1]
	s_and_b64 s[14:15], vcc, exec
	s_cselect_b32 s14, 0xffffff80, 0
	v_mul_f64 v[6:7], v[0:1], v[2:3]
	v_mul_f64 v[2:3], v[2:3], 0.5
	v_fma_f64 v[8:9], -v[2:3], v[6:7], 0.5
	v_fmac_f64_e32 v[6:7], v[6:7], v[8:9]
	v_fmac_f64_e32 v[2:3], v[2:3], v[8:9]
	v_fma_f64 v[8:9], -v[6:7], v[6:7], v[0:1]
	v_fmac_f64_e32 v[6:7], v[8:9], v[2:3]
	v_fma_f64 v[8:9], -v[6:7], v[6:7], v[0:1]
	v_fmac_f64_e32 v[6:7], v[8:9], v[2:3]
	v_ldexp_f64 v[2:3], v[6:7], s14
	v_mov_b32_e32 v6, 0x260
	v_cmp_class_f64_e32 vcc, v[0:1], v6
	v_cndmask_b32_e32 v1, v3, v1, vcc
	v_cndmask_b32_e32 v0, v2, v0, vcc
	v_xor_b32_e32 v2, 0x80000000, v1
	v_cmp_ge_f64_e64 vcc, s[16:17], 0
	v_cndmask_b32_e32 v1, v1, v2, vcc
	v_add_f64 v[2:3], s[16:17], -v[0:1]
	v_fmac_f64_e32 v[4:5], v[2:3], v[2:3]
	v_div_scale_f64 v[6:7], s[14:15], v[4:5], v[4:5], v[2:3]
	v_rcp_f64_e32 v[8:9], v[6:7]
	v_fma_f64 v[10:11], -v[6:7], v[8:9], 1.0
	v_fmac_f64_e32 v[8:9], v[8:9], v[10:11]
	v_fma_f64 v[10:11], -v[6:7], v[8:9], 1.0
	v_fmac_f64_e32 v[8:9], v[8:9], v[10:11]
	v_div_scale_f64 v[10:11], vcc, v[2:3], v[4:5], v[2:3]
	v_mul_f64 v[12:13], v[10:11], v[8:9]
	v_fma_f64 v[6:7], -v[6:7], v[12:13], v[10:11]
	v_div_scale_f64 v[10:11], s[14:15], v[4:5], v[4:5], -s[10:11]
	v_rcp_f64_e32 v[14:15], v[10:11]
	v_div_fmas_f64 v[6:7], v[6:7], v[8:9], v[12:13]
	v_div_fixup_f64 v[2:3], v[6:7], v[4:5], v[2:3]
	v_fma_f64 v[6:7], -v[10:11], v[14:15], 1.0
	v_fmac_f64_e32 v[14:15], v[14:15], v[6:7]
	v_fma_f64 v[6:7], -v[10:11], v[14:15], 1.0
	v_fmac_f64_e32 v[14:15], v[14:15], v[6:7]
	v_div_scale_f64 v[6:7], vcc, -s[10:11], v[4:5], -s[10:11]
	v_mul_f64 v[8:9], v[6:7], v[14:15]
	v_fma_f64 v[6:7], -v[10:11], v[8:9], v[6:7]
	s_nop 1
	v_div_fmas_f64 v[6:7], v[6:7], v[14:15], v[8:9]
	v_add_f64 v[8:9], v[0:1], -s[16:17]
	v_div_scale_f64 v[10:11], s[14:15], v[0:1], v[0:1], v[8:9]
	v_rcp_f64_e32 v[12:13], v[10:11]
	v_div_fixup_f64 v[4:5], v[6:7], v[4:5], -s[10:11]
	v_mov_b32_e32 v14, 0
	global_store_dwordx4 v14, v[2:5], s[12:13]
	v_div_scale_f64 v[6:7], s[12:13], v[0:1], v[0:1], -s[10:11]
	v_fma_f64 v[2:3], -v[10:11], v[12:13], 1.0
	v_fmac_f64_e32 v[12:13], v[12:13], v[2:3]
	v_fma_f64 v[2:3], -v[10:11], v[12:13], 1.0
	v_fmac_f64_e32 v[12:13], v[12:13], v[2:3]
	v_div_scale_f64 v[2:3], vcc, v[8:9], v[0:1], v[8:9]
	v_mul_f64 v[4:5], v[2:3], v[12:13]
	v_fma_f64 v[2:3], -v[10:11], v[4:5], v[2:3]
	v_rcp_f64_e32 v[10:11], v[6:7]
	s_nop 0
	v_div_fmas_f64 v[2:3], v[2:3], v[12:13], v[4:5]
	v_div_fixup_f64 v[2:3], v[2:3], v[0:1], v[8:9]
	v_fma_f64 v[4:5], -v[6:7], v[10:11], 1.0
	v_fmac_f64_e32 v[10:11], v[10:11], v[4:5]
	v_fma_f64 v[4:5], -v[6:7], v[10:11], 1.0
	v_fmac_f64_e32 v[10:11], v[10:11], v[4:5]
	v_div_scale_f64 v[4:5], vcc, -s[10:11], v[0:1], -s[10:11]
	v_mul_f64 v[8:9], v[4:5], v[10:11]
	v_fma_f64 v[4:5], -v[6:7], v[8:9], v[4:5]
	s_nop 1
	v_div_fmas_f64 v[4:5], v[4:5], v[10:11], v[8:9]
	v_div_fixup_f64 v[4:5], v[4:5], v[0:1], -s[10:11]
	global_store_dwordx4 v14, v[2:5], s[8:9]
	s_andn2_b64 vcc, exec, s[24:25]
	s_cbranch_vccnz .LBB137_10
.LBB137_9:
	v_pk_mov_b32 v[2:3], s[0:1], s[0:1] op_sel:[0,1]
	s_waitcnt vmcnt(0)
	flat_store_dwordx2 v[2:3], v[0:1]
	v_mov_b32_e32 v0, 0
	s_mov_b64 s[4:5], -1
	v_mov_b32_e32 v1, 0x3ff00000
.LBB137_10:
	s_andn2_b64 vcc, exec, s[4:5]
	s_cbranch_vccz .LBB137_12
; %bb.11:
	s_endpgm
.LBB137_12:
	v_mov_b32_e32 v2, 0
	v_mov_b32_e32 v3, v2
	s_waitcnt vmcnt(0) lgkmcnt(0)
	global_store_dwordx4 v2, v[0:3], s[2:3]
	s_endpgm
	.section	.rodata,"a",@progbits
	.p2align	6, 0x0
	.amdhsa_kernel _ZN9rocsolver6v33100L11set_taubetaI19rocblas_complex_numIdEidPS3_EEvPT_lS6_T2_llPT1_ll
		.amdhsa_group_segment_fixed_size 0
		.amdhsa_private_segment_fixed_size 0
		.amdhsa_kernarg_size 72
		.amdhsa_user_sgpr_count 6
		.amdhsa_user_sgpr_private_segment_buffer 1
		.amdhsa_user_sgpr_dispatch_ptr 0
		.amdhsa_user_sgpr_queue_ptr 0
		.amdhsa_user_sgpr_kernarg_segment_ptr 1
		.amdhsa_user_sgpr_dispatch_id 0
		.amdhsa_user_sgpr_flat_scratch_init 0
		.amdhsa_user_sgpr_kernarg_preload_length 0
		.amdhsa_user_sgpr_kernarg_preload_offset 0
		.amdhsa_user_sgpr_private_segment_size 0
		.amdhsa_uses_dynamic_stack 0
		.amdhsa_system_sgpr_private_segment_wavefront_offset 0
		.amdhsa_system_sgpr_workgroup_id_x 1
		.amdhsa_system_sgpr_workgroup_id_y 0
		.amdhsa_system_sgpr_workgroup_id_z 0
		.amdhsa_system_sgpr_workgroup_info 0
		.amdhsa_system_vgpr_workitem_id 0
		.amdhsa_next_free_vgpr 16
		.amdhsa_next_free_sgpr 26
		.amdhsa_accum_offset 16
		.amdhsa_reserve_vcc 1
		.amdhsa_reserve_flat_scratch 0
		.amdhsa_float_round_mode_32 0
		.amdhsa_float_round_mode_16_64 0
		.amdhsa_float_denorm_mode_32 3
		.amdhsa_float_denorm_mode_16_64 3
		.amdhsa_dx10_clamp 1
		.amdhsa_ieee_mode 1
		.amdhsa_fp16_overflow 0
		.amdhsa_tg_split 0
		.amdhsa_exception_fp_ieee_invalid_op 0
		.amdhsa_exception_fp_denorm_src 0
		.amdhsa_exception_fp_ieee_div_zero 0
		.amdhsa_exception_fp_ieee_overflow 0
		.amdhsa_exception_fp_ieee_underflow 0
		.amdhsa_exception_fp_ieee_inexact 0
		.amdhsa_exception_int_div_zero 0
	.end_amdhsa_kernel
	.section	.text._ZN9rocsolver6v33100L11set_taubetaI19rocblas_complex_numIdEidPS3_EEvPT_lS6_T2_llPT1_ll,"axG",@progbits,_ZN9rocsolver6v33100L11set_taubetaI19rocblas_complex_numIdEidPS3_EEvPT_lS6_T2_llPT1_ll,comdat
.Lfunc_end137:
	.size	_ZN9rocsolver6v33100L11set_taubetaI19rocblas_complex_numIdEidPS3_EEvPT_lS6_T2_llPT1_ll, .Lfunc_end137-_ZN9rocsolver6v33100L11set_taubetaI19rocblas_complex_numIdEidPS3_EEvPT_lS6_T2_llPT1_ll
                                        ; -- End function
	.section	.AMDGPU.csdata,"",@progbits
; Kernel info:
; codeLenInByte = 976
; NumSgprs: 30
; NumVgprs: 16
; NumAgprs: 0
; TotalNumVgprs: 16
; ScratchSize: 0
; MemoryBound: 0
; FloatMode: 240
; IeeeMode: 1
; LDSByteSize: 0 bytes/workgroup (compile time only)
; SGPRBlocks: 3
; VGPRBlocks: 1
; NumSGPRsForWavesPerEU: 30
; NumVGPRsForWavesPerEU: 16
; AccumOffset: 16
; Occupancy: 8
; WaveLimiterHint : 0
; COMPUTE_PGM_RSRC2:SCRATCH_EN: 0
; COMPUTE_PGM_RSRC2:USER_SGPR: 6
; COMPUTE_PGM_RSRC2:TRAP_HANDLER: 0
; COMPUTE_PGM_RSRC2:TGID_X_EN: 1
; COMPUTE_PGM_RSRC2:TGID_Y_EN: 0
; COMPUTE_PGM_RSRC2:TGID_Z_EN: 0
; COMPUTE_PGM_RSRC2:TIDIG_COMP_CNT: 0
; COMPUTE_PGM_RSRC3_GFX90A:ACCUM_OFFSET: 3
; COMPUTE_PGM_RSRC3_GFX90A:TG_SPLIT: 0
	.section	.text._ZN9rocsolver6v33100L13conj_in_placeI19rocblas_complex_numIdEiPS3_TnNSt9enable_ifIX18rocblas_is_complexIT_EEiE4typeELi0EEEvT0_S9_T1_lS9_l,"axG",@progbits,_ZN9rocsolver6v33100L13conj_in_placeI19rocblas_complex_numIdEiPS3_TnNSt9enable_ifIX18rocblas_is_complexIT_EEiE4typeELi0EEEvT0_S9_T1_lS9_l,comdat
	.globl	_ZN9rocsolver6v33100L13conj_in_placeI19rocblas_complex_numIdEiPS3_TnNSt9enable_ifIX18rocblas_is_complexIT_EEiE4typeELi0EEEvT0_S9_T1_lS9_l ; -- Begin function _ZN9rocsolver6v33100L13conj_in_placeI19rocblas_complex_numIdEiPS3_TnNSt9enable_ifIX18rocblas_is_complexIT_EEiE4typeELi0EEEvT0_S9_T1_lS9_l
	.p2align	8
	.type	_ZN9rocsolver6v33100L13conj_in_placeI19rocblas_complex_numIdEiPS3_TnNSt9enable_ifIX18rocblas_is_complexIT_EEiE4typeELi0EEEvT0_S9_T1_lS9_l,@function
_ZN9rocsolver6v33100L13conj_in_placeI19rocblas_complex_numIdEiPS3_TnNSt9enable_ifIX18rocblas_is_complexIT_EEiE4typeELi0EEEvT0_S9_T1_lS9_l: ; @_ZN9rocsolver6v33100L13conj_in_placeI19rocblas_complex_numIdEiPS3_TnNSt9enable_ifIX18rocblas_is_complexIT_EEiE4typeELi0EEEvT0_S9_T1_lS9_l
; %bb.0:
	s_load_dword s2, s[4:5], 0x34
	s_load_dwordx2 s[0:1], s[4:5], 0x0
	v_and_b32_e32 v1, 0x3ff, v0
	v_bfe_u32 v0, v0, 10, 10
	s_waitcnt lgkmcnt(0)
	s_lshr_b32 s3, s2, 16
	s_and_b32 s2, s2, 0xffff
	s_mul_i32 s6, s6, s2
	s_mul_i32 s7, s7, s3
	v_add_u32_e32 v2, s6, v1
	v_add_u32_e32 v0, s7, v0
	v_cmp_gt_i32_e32 vcc, s0, v2
	v_cmp_gt_i32_e64 s[0:1], s1, v0
	s_and_b64 s[0:1], vcc, s[0:1]
	s_and_saveexec_b64 s[2:3], s[0:1]
	s_cbranch_execz .LBB138_2
; %bb.1:
	s_load_dwordx2 s[6:7], s[4:5], 0x20
	s_load_dwordx4 s[0:3], s[4:5], 0x8
	s_load_dword s9, s[4:5], 0x18
	s_ashr_i32 s4, s8, 31
	v_ashrrev_i32_e32 v3, 31, v2
	s_waitcnt lgkmcnt(0)
	s_mul_i32 s5, s8, s7
	s_mul_hi_u32 s7, s8, s6
	s_add_i32 s5, s7, s5
	s_mul_i32 s4, s4, s6
	s_add_i32 s5, s5, s4
	s_mul_i32 s4, s8, s6
	s_lshl_b64 s[4:5], s[4:5], 4
	s_add_u32 s4, s0, s4
	s_addc_u32 s5, s1, s5
	s_lshl_b64 s[0:1], s[2:3], 4
	s_add_u32 s2, s4, s0
	s_addc_u32 s3, s5, s1
	v_mad_i64_i32 v[0:1], s[0:1], v0, s9, 0
	v_lshlrev_b64 v[4:5], 4, v[0:1]
	v_mov_b32_e32 v1, s3
	v_add_co_u32_e32 v6, vcc, s2, v4
	v_addc_co_u32_e32 v1, vcc, v1, v5, vcc
	v_lshlrev_b64 v[4:5], 4, v[2:3]
	v_add_co_u32_e32 v4, vcc, v6, v4
	v_addc_co_u32_e32 v5, vcc, v1, v5, vcc
	global_load_dwordx4 v[4:7], v[4:5], off
	v_add_u32_e32 v0, v0, v2
	v_ashrrev_i32_e32 v1, 31, v0
	v_lshlrev_b64 v[0:1], 4, v[0:1]
	v_mov_b32_e32 v2, s3
	v_add_co_u32_e32 v0, vcc, s2, v0
	v_addc_co_u32_e32 v1, vcc, v2, v1, vcc
	s_waitcnt vmcnt(0)
	v_xor_b32_e32 v7, 0x80000000, v7
	global_store_dwordx4 v[0:1], v[4:7], off
.LBB138_2:
	s_endpgm
	.section	.rodata,"a",@progbits
	.p2align	6, 0x0
	.amdhsa_kernel _ZN9rocsolver6v33100L13conj_in_placeI19rocblas_complex_numIdEiPS3_TnNSt9enable_ifIX18rocblas_is_complexIT_EEiE4typeELi0EEEvT0_S9_T1_lS9_l
		.amdhsa_group_segment_fixed_size 0
		.amdhsa_private_segment_fixed_size 0
		.amdhsa_kernarg_size 296
		.amdhsa_user_sgpr_count 6
		.amdhsa_user_sgpr_private_segment_buffer 1
		.amdhsa_user_sgpr_dispatch_ptr 0
		.amdhsa_user_sgpr_queue_ptr 0
		.amdhsa_user_sgpr_kernarg_segment_ptr 1
		.amdhsa_user_sgpr_dispatch_id 0
		.amdhsa_user_sgpr_flat_scratch_init 0
		.amdhsa_user_sgpr_kernarg_preload_length 0
		.amdhsa_user_sgpr_kernarg_preload_offset 0
		.amdhsa_user_sgpr_private_segment_size 0
		.amdhsa_uses_dynamic_stack 0
		.amdhsa_system_sgpr_private_segment_wavefront_offset 0
		.amdhsa_system_sgpr_workgroup_id_x 1
		.amdhsa_system_sgpr_workgroup_id_y 1
		.amdhsa_system_sgpr_workgroup_id_z 1
		.amdhsa_system_sgpr_workgroup_info 0
		.amdhsa_system_vgpr_workitem_id 1
		.amdhsa_next_free_vgpr 8
		.amdhsa_next_free_sgpr 10
		.amdhsa_accum_offset 8
		.amdhsa_reserve_vcc 1
		.amdhsa_reserve_flat_scratch 0
		.amdhsa_float_round_mode_32 0
		.amdhsa_float_round_mode_16_64 0
		.amdhsa_float_denorm_mode_32 3
		.amdhsa_float_denorm_mode_16_64 3
		.amdhsa_dx10_clamp 1
		.amdhsa_ieee_mode 1
		.amdhsa_fp16_overflow 0
		.amdhsa_tg_split 0
		.amdhsa_exception_fp_ieee_invalid_op 0
		.amdhsa_exception_fp_denorm_src 0
		.amdhsa_exception_fp_ieee_div_zero 0
		.amdhsa_exception_fp_ieee_overflow 0
		.amdhsa_exception_fp_ieee_underflow 0
		.amdhsa_exception_fp_ieee_inexact 0
		.amdhsa_exception_int_div_zero 0
	.end_amdhsa_kernel
	.section	.text._ZN9rocsolver6v33100L13conj_in_placeI19rocblas_complex_numIdEiPS3_TnNSt9enable_ifIX18rocblas_is_complexIT_EEiE4typeELi0EEEvT0_S9_T1_lS9_l,"axG",@progbits,_ZN9rocsolver6v33100L13conj_in_placeI19rocblas_complex_numIdEiPS3_TnNSt9enable_ifIX18rocblas_is_complexIT_EEiE4typeELi0EEEvT0_S9_T1_lS9_l,comdat
.Lfunc_end138:
	.size	_ZN9rocsolver6v33100L13conj_in_placeI19rocblas_complex_numIdEiPS3_TnNSt9enable_ifIX18rocblas_is_complexIT_EEiE4typeELi0EEEvT0_S9_T1_lS9_l, .Lfunc_end138-_ZN9rocsolver6v33100L13conj_in_placeI19rocblas_complex_numIdEiPS3_TnNSt9enable_ifIX18rocblas_is_complexIT_EEiE4typeELi0EEEvT0_S9_T1_lS9_l
                                        ; -- End function
	.section	.AMDGPU.csdata,"",@progbits
; Kernel info:
; codeLenInByte = 276
; NumSgprs: 14
; NumVgprs: 8
; NumAgprs: 0
; TotalNumVgprs: 8
; ScratchSize: 0
; MemoryBound: 0
; FloatMode: 240
; IeeeMode: 1
; LDSByteSize: 0 bytes/workgroup (compile time only)
; SGPRBlocks: 1
; VGPRBlocks: 0
; NumSGPRsForWavesPerEU: 14
; NumVGPRsForWavesPerEU: 8
; AccumOffset: 8
; Occupancy: 8
; WaveLimiterHint : 0
; COMPUTE_PGM_RSRC2:SCRATCH_EN: 0
; COMPUTE_PGM_RSRC2:USER_SGPR: 6
; COMPUTE_PGM_RSRC2:TRAP_HANDLER: 0
; COMPUTE_PGM_RSRC2:TGID_X_EN: 1
; COMPUTE_PGM_RSRC2:TGID_Y_EN: 1
; COMPUTE_PGM_RSRC2:TGID_Z_EN: 1
; COMPUTE_PGM_RSRC2:TIDIG_COMP_CNT: 1
; COMPUTE_PGM_RSRC3_GFX90A:ACCUM_OFFSET: 1
; COMPUTE_PGM_RSRC3_GFX90A:TG_SPLIT: 0
	.section	.text._ZN9rocsolver6v33100L16larf_left_kernelILi1024E19rocblas_complex_numIdEiPS3_EEvT1_S5_T2_lS5_lPKT0_lS6_lS5_l,"axG",@progbits,_ZN9rocsolver6v33100L16larf_left_kernelILi1024E19rocblas_complex_numIdEiPS3_EEvT1_S5_T2_lS5_lPKT0_lS6_lS5_l,comdat
	.globl	_ZN9rocsolver6v33100L16larf_left_kernelILi1024E19rocblas_complex_numIdEiPS3_EEvT1_S5_T2_lS5_lPKT0_lS6_lS5_l ; -- Begin function _ZN9rocsolver6v33100L16larf_left_kernelILi1024E19rocblas_complex_numIdEiPS3_EEvT1_S5_T2_lS5_lPKT0_lS6_lS5_l
	.p2align	8
	.type	_ZN9rocsolver6v33100L16larf_left_kernelILi1024E19rocblas_complex_numIdEiPS3_EEvT1_S5_T2_lS5_lPKT0_lS6_lS5_l,@function
_ZN9rocsolver6v33100L16larf_left_kernelILi1024E19rocblas_complex_numIdEiPS3_EEvT1_S5_T2_lS5_lPKT0_lS6_lS5_l: ; @_ZN9rocsolver6v33100L16larf_left_kernelILi1024E19rocblas_complex_numIdEiPS3_EEvT1_S5_T2_lS5_lPKT0_lS6_lS5_l
; %bb.0:
	s_load_dword s9, s[4:5], 0x0
	s_load_dwordx8 s[12:19], s[4:5], 0x20
	s_load_dwordx2 s[2:3], s[4:5], 0x40
	s_load_dword s20, s[4:5], 0x48
	s_load_dwordx2 s[10:11], s[4:5], 0x50
	s_ashr_i32 s27, s8, 31
	v_pk_mov_b32 v[2:3], 0, 0
	s_waitcnt lgkmcnt(0)
	v_cmp_gt_i32_e64 s[0:1], s9, v0
	s_mov_b64 s[22:23], 0
	s_mul_i32 s24, s10, s27
	s_mul_hi_u32 s25, s10, s8
	s_mul_i32 s26, s11, s8
	s_mul_i32 s6, s10, s8
	s_mul_hi_i32 s11, s7, s20
	s_mul_i32 s10, s7, s20
	v_pk_mov_b32 v[4:5], v[2:3], v[2:3] op_sel:[0,1]
	s_and_saveexec_b64 s[20:21], s[0:1]
	s_cbranch_execz .LBB139_6
; %bb.1:
	s_load_dword s34, s[4:5], 0x18
	s_load_dwordx4 s[28:31], s[4:5], 0x8
	s_sub_i32 s4, 1, s9
	s_mul_hi_u32 s33, s12, s8
	s_mul_i32 s13, s13, s8
	s_waitcnt lgkmcnt(0)
	s_ashr_i32 s35, s34, 31
	s_mul_i32 s7, s4, s34
	v_cmp_lt_i64_e64 s[4:5], s[34:35], 1
	s_and_b64 s[4:5], s[4:5], exec
	s_cselect_b32 s4, s7, 0
	s_mul_i32 s7, s12, s27
	s_add_i32 s7, s33, s7
	s_ashr_i32 s5, s4, 31
	s_add_i32 s13, s7, s13
	s_mul_i32 s12, s12, s8
	s_lshl_b64 s[12:13], s[12:13], 4
	s_lshl_b64 s[30:31], s[30:31], 4
	;; [unrolled: 1-line block ×3, first 2 shown]
	s_add_u32 s4, s28, s4
	s_addc_u32 s5, s29, s5
	s_add_u32 s4, s4, s30
	s_addc_u32 s5, s5, s31
	v_mad_i64_i32 v[2:3], s[36:37], s34, v0, 0
	s_add_u32 s4, s4, s12
	v_lshl_add_u32 v1, v0, 4, 0
	v_lshlrev_b64 v[2:3], 4, v[2:3]
	s_addc_u32 s5, s5, s13
	v_add_u32_e32 v1, 0x100, v1
	v_mov_b32_e32 v4, s5
	v_add_co_u32_e32 v2, vcc, s4, v2
	s_lshl_b64 s[4:5], s[34:35], 14
	v_addc_co_u32_e32 v3, vcc, v4, v3, vcc
	v_mov_b32_e32 v4, s5
	v_mov_b32_e32 v5, v1
	;; [unrolled: 1-line block ×3, first 2 shown]
.LBB139_2:                              ; =>This Inner Loop Header: Depth=1
	global_load_dwordx4 v[8:11], v[2:3], off
	v_add_co_u32_e32 v2, vcc, s4, v2
	v_add_u32_e32 v6, 0x400, v6
	v_addc_co_u32_e32 v3, vcc, v3, v4, vcc
	v_cmp_le_i32_e32 vcc, s9, v6
	s_or_b64 s[22:23], vcc, s[22:23]
	s_waitcnt vmcnt(0)
	ds_write2_b64 v5, v[8:9], v[10:11] offset1:1
	v_add_u32_e32 v5, 0x4000, v5
	s_andn2_b64 exec, exec, s[22:23]
	s_cbranch_execnz .LBB139_2
; %bb.3:
	s_or_b64 exec, exec, s[22:23]
	s_add_i32 s4, s25, s24
	s_add_i32 s7, s4, s26
	s_lshl_b64 s[4:5], s[6:7], 4
	s_lshl_b64 s[12:13], s[10:11], 4
	s_add_u32 s7, s4, s12
	s_addc_u32 s12, s5, s13
	s_lshl_b64 s[4:5], s[2:3], 4
	s_add_u32 s4, s7, s4
	s_addc_u32 s5, s12, s5
	s_add_u32 s4, s18, s4
	v_lshlrev_b32_e32 v2, 4, v0
	s_addc_u32 s5, s19, s5
	v_mov_b32_e32 v3, s5
	v_add_co_u32_e32 v2, vcc, s4, v2
	v_addc_co_u32_e32 v3, vcc, 0, v3, vcc
	v_add_co_u32_e32 v6, vcc, 8, v2
	v_addc_co_u32_e32 v7, vcc, 0, v3, vcc
	v_pk_mov_b32 v[2:3], 0, 0
	s_mov_b64 s[4:5], 0
	v_mov_b32_e32 v8, v0
	v_pk_mov_b32 v[4:5], v[2:3], v[2:3] op_sel:[0,1]
.LBB139_4:                              ; =>This Inner Loop Header: Depth=1
	global_load_dwordx4 v[10:13], v[6:7], off offset:-8
	ds_read2_b64 v[14:17], v1 offset1:1
	v_add_co_u32_e32 v6, vcc, 0x4000, v6
	v_add_u32_e32 v8, 0x400, v8
	v_addc_co_u32_e32 v7, vcc, 0, v7, vcc
	v_cmp_le_i32_e32 vcc, s9, v8
	v_add_u32_e32 v1, 0x4000, v1
	s_or_b64 s[4:5], vcc, s[4:5]
	s_waitcnt vmcnt(0) lgkmcnt(0)
	v_mul_f64 v[18:19], v[12:13], v[16:17]
	v_mul_f64 v[12:13], v[12:13], v[14:15]
	v_fmac_f64_e32 v[18:19], v[10:11], v[14:15]
	v_fma_f64 v[10:11], v[10:11], v[16:17], -v[12:13]
	v_add_f64 v[4:5], v[4:5], v[18:19]
	v_add_f64 v[2:3], v[2:3], v[10:11]
	s_andn2_b64 exec, exec, s[4:5]
	s_cbranch_execnz .LBB139_4
; %bb.5:
	s_or_b64 exec, exec, s[4:5]
.LBB139_6:
	s_or_b64 exec, exec, s[20:21]
	v_mbcnt_lo_u32_b32 v1, -1, 0
	v_mbcnt_hi_u32_b32 v1, -1, v1
	v_and_b32_e32 v10, 63, v1
	v_cmp_ne_u32_e32 vcc, 63, v10
	v_addc_co_u32_e32 v6, vcc, 0, v1, vcc
	v_lshlrev_b32_e32 v9, 2, v6
	ds_bpermute_b32 v6, v9, v4
	ds_bpermute_b32 v7, v9, v5
	ds_bpermute_b32 v8, v9, v2
	ds_bpermute_b32 v9, v9, v3
	v_cmp_gt_u32_e32 vcc, 62, v10
	s_waitcnt lgkmcnt(2)
	v_add_f64 v[4:5], v[4:5], v[6:7]
	v_cndmask_b32_e64 v6, 0, 1, vcc
	v_lshlrev_b32_e32 v6, 1, v6
	s_waitcnt lgkmcnt(0)
	v_add_f64 v[2:3], v[2:3], v[8:9]
	v_add_lshl_u32 v9, v6, v1, 2
	ds_bpermute_b32 v6, v9, v4
	ds_bpermute_b32 v7, v9, v5
	ds_bpermute_b32 v8, v9, v2
	ds_bpermute_b32 v9, v9, v3
	v_cmp_gt_u32_e32 vcc, 60, v10
	s_waitcnt lgkmcnt(2)
	v_add_f64 v[4:5], v[4:5], v[6:7]
	v_cndmask_b32_e64 v6, 0, 1, vcc
	v_lshlrev_b32_e32 v6, 2, v6
	s_waitcnt lgkmcnt(0)
	v_add_f64 v[2:3], v[2:3], v[8:9]
	v_add_lshl_u32 v9, v6, v1, 2
	;; [unrolled: 12-line block ×4, first 2 shown]
	ds_bpermute_b32 v6, v9, v4
	ds_bpermute_b32 v7, v9, v5
	;; [unrolled: 1-line block ×4, first 2 shown]
	v_cmp_gt_u32_e32 vcc, 32, v10
	s_waitcnt lgkmcnt(2)
	v_add_f64 v[4:5], v[4:5], v[6:7]
	s_waitcnt lgkmcnt(0)
	v_add_f64 v[6:7], v[2:3], v[8:9]
	v_cndmask_b32_e64 v2, 0, 1, vcc
	v_lshlrev_b32_e32 v2, 5, v2
	v_add_lshl_u32 v1, v2, v1, 2
	ds_bpermute_b32 v2, v1, v4
	ds_bpermute_b32 v3, v1, v5
	;; [unrolled: 1-line block ×4, first 2 shown]
	v_and_b32_e32 v1, 63, v0
	v_cmp_eq_u32_e32 vcc, 0, v1
	s_waitcnt lgkmcnt(2)
	v_add_f64 v[2:3], v[4:5], v[2:3]
	s_waitcnt lgkmcnt(0)
	v_add_f64 v[4:5], v[6:7], v[8:9]
	s_and_saveexec_b64 s[4:5], vcc
	s_cbranch_execz .LBB139_8
; %bb.7:
	v_lshrrev_b32_e32 v1, 2, v0
	v_add_u32_e32 v1, 0, v1
	ds_write2_b64 v1, v[2:3], v[4:5] offset1:1
.LBB139_8:
	s_or_b64 exec, exec, s[4:5]
	v_cmp_eq_u32_e32 vcc, 0, v0
	s_waitcnt lgkmcnt(0)
	s_barrier
	s_and_saveexec_b64 s[4:5], vcc
	s_cbranch_execz .LBB139_10
; %bb.9:
	v_mov_b32_e32 v1, 0
	ds_read2_b64 v[6:9], v1 offset0:2 offset1:3
	ds_read2_b64 v[10:13], v1 offset0:4 offset1:5
	ds_read2_b64 v[14:17], v1 offset0:6 offset1:7
	ds_read2_b64 v[18:21], v1 offset0:8 offset1:9
	s_waitcnt lgkmcnt(3)
	v_add_f64 v[2:3], v[2:3], v[6:7]
	v_add_f64 v[4:5], v[4:5], v[8:9]
	s_waitcnt lgkmcnt(2)
	v_add_f64 v[2:3], v[2:3], v[10:11]
	v_add_f64 v[6:7], v[4:5], v[12:13]
	s_waitcnt lgkmcnt(1)
	v_add_f64 v[8:9], v[2:3], v[14:15]
	ds_read2_b64 v[2:5], v1 offset0:10 offset1:11
	v_add_f64 v[10:11], v[6:7], v[16:17]
	s_waitcnt lgkmcnt(1)
	v_add_f64 v[12:13], v[8:9], v[18:19]
	ds_read2_b64 v[6:9], v1 offset0:12 offset1:13
	;; [unrolled: 4-line block ×8, first 2 shown]
	v_add_f64 v[12:13], v[14:15], v[12:13]
	s_waitcnt lgkmcnt(1)
	v_add_f64 v[10:11], v[10:11], v[2:3]
	v_add_f64 v[14:15], v[12:13], v[4:5]
	ds_read2_b64 v[2:5], v1 offset0:26 offset1:27
	s_waitcnt lgkmcnt(1)
	v_add_f64 v[16:17], v[10:11], v[6:7]
	ds_read2_b64 v[10:13], v1 offset0:28 offset1:29
	v_add_f64 v[14:15], v[14:15], v[8:9]
	ds_read2_b64 v[6:9], v1 offset0:30 offset1:31
	s_waitcnt lgkmcnt(2)
	v_add_f64 v[2:3], v[16:17], v[2:3]
	v_add_f64 v[4:5], v[14:15], v[4:5]
	s_waitcnt lgkmcnt(1)
	v_add_f64 v[2:3], v[2:3], v[10:11]
	v_add_f64 v[4:5], v[4:5], v[12:13]
	;; [unrolled: 3-line block ×3, first 2 shown]
	ds_write2_b64 v1, v[2:3], v[4:5] offset1:1
.LBB139_10:
	s_or_b64 exec, exec, s[4:5]
	s_waitcnt lgkmcnt(0)
	s_barrier
	s_and_saveexec_b64 s[4:5], s[0:1]
	s_cbranch_execz .LBB139_13
; %bb.11:
	s_mul_i32 s0, s8, s17
	s_mul_hi_u32 s1, s8, s16
	s_add_i32 s0, s1, s0
	s_mul_i32 s1, s27, s16
	s_add_i32 s1, s0, s1
	s_mul_i32 s0, s8, s16
	s_lshl_b64 s[0:1], s[0:1], 4
	s_add_u32 s0, s14, s0
	s_addc_u32 s1, s15, s1
	s_load_dwordx4 s[12:15], s[0:1], 0x0
	v_mov_b32_e32 v1, 0
	s_add_i32 s0, s25, s24
	ds_read2_b64 v[4:7], v1 offset1:1
	s_add_i32 s7, s0, s26
	s_lshl_b64 s[0:1], s[6:7], 4
	s_lshl_b64 s[4:5], s[10:11], 4
	s_add_u32 s4, s0, s4
	s_addc_u32 s5, s1, s5
	s_lshl_b64 s[0:1], s[2:3], 4
	s_add_u32 s0, s4, s0
	s_waitcnt lgkmcnt(0)
	v_mul_f64 v[2:3], s[14:15], v[6:7]
	s_addc_u32 s1, s5, s1
	v_fma_f64 v[2:3], v[4:5], -s[12:13], -v[2:3]
	v_mul_f64 v[4:5], s[14:15], v[4:5]
	s_add_u32 s0, s18, s0
	v_fma_f64 v[4:5], s[12:13], v[6:7], -v[4:5]
	v_lshlrev_b32_e32 v6, 4, v0
	s_addc_u32 s1, s19, s1
	v_add_u32_e32 v1, 0, v6
	v_mov_b32_e32 v7, s1
	v_add_co_u32_e32 v6, vcc, s0, v6
	v_addc_co_u32_e32 v7, vcc, 0, v7, vcc
	v_add_co_u32_e32 v6, vcc, 8, v6
	v_add_u32_e32 v1, 0x100, v1
	v_addc_co_u32_e32 v7, vcc, 0, v7, vcc
	s_mov_b64 s[0:1], 0
.LBB139_12:                             ; =>This Inner Loop Header: Depth=1
	global_load_dwordx4 v[8:11], v[6:7], off offset:-8
	ds_read2_b64 v[12:15], v1 offset1:1
	v_add_u32_e32 v0, 0x400, v0
	v_cmp_le_i32_e32 vcc, s9, v0
	s_or_b64 s[0:1], vcc, s[0:1]
	v_add_u32_e32 v1, 0x4000, v1
	s_waitcnt lgkmcnt(0)
	v_mul_f64 v[16:17], v[4:5], v[14:15]
	v_mul_f64 v[14:15], v[2:3], v[14:15]
	v_fma_f64 v[16:17], v[2:3], v[12:13], -v[16:17]
	v_fmac_f64_e32 v[14:15], v[4:5], v[12:13]
	s_waitcnt vmcnt(0)
	v_add_f64 v[8:9], v[8:9], v[16:17]
	v_add_f64 v[10:11], v[10:11], v[14:15]
	global_store_dwordx4 v[6:7], v[8:11], off offset:-8
	v_add_co_u32_e32 v6, vcc, 0x4000, v6
	v_addc_co_u32_e32 v7, vcc, 0, v7, vcc
	s_andn2_b64 exec, exec, s[0:1]
	s_cbranch_execnz .LBB139_12
.LBB139_13:
	s_endpgm
	.section	.rodata,"a",@progbits
	.p2align	6, 0x0
	.amdhsa_kernel _ZN9rocsolver6v33100L16larf_left_kernelILi1024E19rocblas_complex_numIdEiPS3_EEvT1_S5_T2_lS5_lPKT0_lS6_lS5_l
		.amdhsa_group_segment_fixed_size 0
		.amdhsa_private_segment_fixed_size 0
		.amdhsa_kernarg_size 88
		.amdhsa_user_sgpr_count 6
		.amdhsa_user_sgpr_private_segment_buffer 1
		.amdhsa_user_sgpr_dispatch_ptr 0
		.amdhsa_user_sgpr_queue_ptr 0
		.amdhsa_user_sgpr_kernarg_segment_ptr 1
		.amdhsa_user_sgpr_dispatch_id 0
		.amdhsa_user_sgpr_flat_scratch_init 0
		.amdhsa_user_sgpr_kernarg_preload_length 0
		.amdhsa_user_sgpr_kernarg_preload_offset 0
		.amdhsa_user_sgpr_private_segment_size 0
		.amdhsa_uses_dynamic_stack 0
		.amdhsa_system_sgpr_private_segment_wavefront_offset 0
		.amdhsa_system_sgpr_workgroup_id_x 1
		.amdhsa_system_sgpr_workgroup_id_y 1
		.amdhsa_system_sgpr_workgroup_id_z 1
		.amdhsa_system_sgpr_workgroup_info 0
		.amdhsa_system_vgpr_workitem_id 0
		.amdhsa_next_free_vgpr 22
		.amdhsa_next_free_sgpr 38
		.amdhsa_accum_offset 24
		.amdhsa_reserve_vcc 1
		.amdhsa_reserve_flat_scratch 0
		.amdhsa_float_round_mode_32 0
		.amdhsa_float_round_mode_16_64 0
		.amdhsa_float_denorm_mode_32 3
		.amdhsa_float_denorm_mode_16_64 3
		.amdhsa_dx10_clamp 1
		.amdhsa_ieee_mode 1
		.amdhsa_fp16_overflow 0
		.amdhsa_tg_split 0
		.amdhsa_exception_fp_ieee_invalid_op 0
		.amdhsa_exception_fp_denorm_src 0
		.amdhsa_exception_fp_ieee_div_zero 0
		.amdhsa_exception_fp_ieee_overflow 0
		.amdhsa_exception_fp_ieee_underflow 0
		.amdhsa_exception_fp_ieee_inexact 0
		.amdhsa_exception_int_div_zero 0
	.end_amdhsa_kernel
	.section	.text._ZN9rocsolver6v33100L16larf_left_kernelILi1024E19rocblas_complex_numIdEiPS3_EEvT1_S5_T2_lS5_lPKT0_lS6_lS5_l,"axG",@progbits,_ZN9rocsolver6v33100L16larf_left_kernelILi1024E19rocblas_complex_numIdEiPS3_EEvT1_S5_T2_lS5_lPKT0_lS6_lS5_l,comdat
.Lfunc_end139:
	.size	_ZN9rocsolver6v33100L16larf_left_kernelILi1024E19rocblas_complex_numIdEiPS3_EEvT1_S5_T2_lS5_lPKT0_lS6_lS5_l, .Lfunc_end139-_ZN9rocsolver6v33100L16larf_left_kernelILi1024E19rocblas_complex_numIdEiPS3_EEvT1_S5_T2_lS5_lPKT0_lS6_lS5_l
                                        ; -- End function
	.section	.AMDGPU.csdata,"",@progbits
; Kernel info:
; codeLenInByte = 1848
; NumSgprs: 42
; NumVgprs: 22
; NumAgprs: 0
; TotalNumVgprs: 22
; ScratchSize: 0
; MemoryBound: 0
; FloatMode: 240
; IeeeMode: 1
; LDSByteSize: 0 bytes/workgroup (compile time only)
; SGPRBlocks: 5
; VGPRBlocks: 2
; NumSGPRsForWavesPerEU: 42
; NumVGPRsForWavesPerEU: 22
; AccumOffset: 24
; Occupancy: 8
; WaveLimiterHint : 0
; COMPUTE_PGM_RSRC2:SCRATCH_EN: 0
; COMPUTE_PGM_RSRC2:USER_SGPR: 6
; COMPUTE_PGM_RSRC2:TRAP_HANDLER: 0
; COMPUTE_PGM_RSRC2:TGID_X_EN: 1
; COMPUTE_PGM_RSRC2:TGID_Y_EN: 1
; COMPUTE_PGM_RSRC2:TGID_Z_EN: 1
; COMPUTE_PGM_RSRC2:TIDIG_COMP_CNT: 0
; COMPUTE_PGM_RSRC3_GFX90A:ACCUM_OFFSET: 5
; COMPUTE_PGM_RSRC3_GFX90A:TG_SPLIT: 0
	.section	.text._ZN9rocsolver6v33100L17larf_right_kernelILi1024E19rocblas_complex_numIdEiPS3_EEvT1_S5_T2_lS5_lPKT0_lS6_lS5_l,"axG",@progbits,_ZN9rocsolver6v33100L17larf_right_kernelILi1024E19rocblas_complex_numIdEiPS3_EEvT1_S5_T2_lS5_lPKT0_lS6_lS5_l,comdat
	.globl	_ZN9rocsolver6v33100L17larf_right_kernelILi1024E19rocblas_complex_numIdEiPS3_EEvT1_S5_T2_lS5_lPKT0_lS6_lS5_l ; -- Begin function _ZN9rocsolver6v33100L17larf_right_kernelILi1024E19rocblas_complex_numIdEiPS3_EEvT1_S5_T2_lS5_lPKT0_lS6_lS5_l
	.p2align	8
	.type	_ZN9rocsolver6v33100L17larf_right_kernelILi1024E19rocblas_complex_numIdEiPS3_EEvT1_S5_T2_lS5_lPKT0_lS6_lS5_l,@function
_ZN9rocsolver6v33100L17larf_right_kernelILi1024E19rocblas_complex_numIdEiPS3_EEvT1_S5_T2_lS5_lPKT0_lS6_lS5_l: ; @_ZN9rocsolver6v33100L17larf_right_kernelILi1024E19rocblas_complex_numIdEiPS3_EEvT1_S5_T2_lS5_lPKT0_lS6_lS5_l
; %bb.0:
	s_load_dword s9, s[4:5], 0x4
	s_load_dwordx8 s[12:19], s[4:5], 0x20
	s_load_dwordx2 s[10:11], s[4:5], 0x40
	s_load_dword s2, s[4:5], 0x48
	s_load_dwordx2 s[0:1], s[4:5], 0x50
	s_ashr_i32 s29, s8, 31
	v_pk_mov_b32 v[2:3], 0, 0
	s_mov_b32 s6, s7
	s_ashr_i32 s7, s7, 31
	s_waitcnt lgkmcnt(0)
	v_cmp_gt_i32_e32 vcc, s9, v0
	s_mov_b64 s[24:25], 0
	v_lshl_add_u32 v1, v0, 4, 0
	s_mul_i32 s26, s0, s29
	s_mul_hi_u32 s27, s0, s8
	s_mul_i32 s28, s1, s8
	s_mul_i32 s20, s0, s8
	v_pk_mov_b32 v[4:5], v[2:3], v[2:3] op_sel:[0,1]
	s_and_saveexec_b64 s[22:23], vcc
	s_cbranch_execz .LBB140_6
; %bb.1:
	s_load_dword s30, s[4:5], 0x18
	s_load_dwordx4 s[36:39], s[4:5], 0x8
	s_sub_i32 s0, 1, s9
	s_mul_hi_u32 s4, s12, s8
	v_add_u32_e32 v8, 0x100, v1
	s_waitcnt lgkmcnt(0)
	s_ashr_i32 s31, s30, 31
	s_mul_i32 s3, s0, s30
	v_cmp_lt_i64_e64 s[0:1], s[30:31], 1
	s_and_b64 s[0:1], s[0:1], exec
	s_cselect_b32 s0, s3, 0
	s_mul_i32 s3, s12, s29
	s_add_i32 s3, s4, s3
	s_mul_i32 s4, s13, s8
	s_ashr_i32 s1, s0, 31
	s_add_i32 s5, s3, s4
	s_mul_i32 s4, s12, s8
	v_mad_i64_i32 v[2:3], s[12:13], s30, v0, 0
	s_lshl_b64 s[4:5], s[4:5], 4
	s_lshl_b64 s[12:13], s[38:39], 4
	;; [unrolled: 1-line block ×3, first 2 shown]
	s_add_u32 s0, s36, s0
	s_addc_u32 s1, s37, s1
	s_add_u32 s0, s0, s12
	s_addc_u32 s1, s1, s13
	s_add_u32 s0, s0, s4
	v_lshlrev_b64 v[2:3], 4, v[2:3]
	s_addc_u32 s1, s1, s5
	v_mov_b32_e32 v4, s1
	v_add_co_u32_e64 v2, s[0:1], s0, v2
	s_lshl_b64 s[4:5], s[30:31], 14
	v_addc_co_u32_e64 v3, s[0:1], v4, v3, s[0:1]
	v_mov_b32_e32 v4, s5
	v_mov_b32_e32 v5, v8
	;; [unrolled: 1-line block ×3, first 2 shown]
.LBB140_2:                              ; =>This Inner Loop Header: Depth=1
	global_load_dwordx4 v[10:13], v[2:3], off
	v_add_co_u32_e64 v2, s[0:1], s4, v2
	v_add_u32_e32 v6, 0x400, v6
	v_addc_co_u32_e64 v3, s[0:1], v3, v4, s[0:1]
	v_cmp_le_i32_e64 s[0:1], s9, v6
	s_or_b64 s[24:25], s[0:1], s[24:25]
	s_waitcnt vmcnt(0)
	ds_write2_b64 v5, v[10:11], v[12:13] offset1:1
	v_add_u32_e32 v5, 0x4000, v5
	s_andn2_b64 exec, exec, s[24:25]
	s_cbranch_execnz .LBB140_2
; %bb.3:
	s_or_b64 exec, exec, s[24:25]
	s_add_i32 s0, s27, s26
	s_add_i32 s21, s0, s28
	v_mad_i64_i32 v[2:3], s[4:5], s2, v0, 0
	s_ashr_i32 s3, s2, 31
	s_lshl_b64 s[0:1], s[20:21], 4
	s_lshl_b64 s[4:5], s[10:11], 4
	;; [unrolled: 1-line block ×3, first 2 shown]
	s_add_u32 s12, s18, s12
	s_addc_u32 s13, s19, s13
	s_add_u32 s4, s12, s4
	s_addc_u32 s5, s13, s5
	s_add_u32 s0, s4, s0
	v_lshlrev_b64 v[2:3], 4, v[2:3]
	s_addc_u32 s1, s5, s1
	v_mov_b32_e32 v4, s1
	v_add_co_u32_e64 v2, s[0:1], s0, v2
	v_addc_co_u32_e64 v3, s[0:1], v4, v3, s[0:1]
	v_add_co_u32_e64 v6, s[0:1], 8, v2
	v_addc_co_u32_e64 v7, s[0:1], 0, v3, s[0:1]
	s_lshl_b64 s[12:13], s[2:3], 14
	v_pk_mov_b32 v[2:3], 0, 0
	s_mov_b64 s[4:5], 0
	v_mov_b32_e32 v9, s13
	v_mov_b32_e32 v10, v0
	v_pk_mov_b32 v[4:5], v[2:3], v[2:3] op_sel:[0,1]
.LBB140_4:                              ; =>This Inner Loop Header: Depth=1
	global_load_dwordx4 v[12:15], v[6:7], off offset:-8
	ds_read2_b64 v[16:19], v8 offset1:1
	v_add_co_u32_e64 v6, s[0:1], s12, v6
	v_add_u32_e32 v10, 0x400, v10
	v_addc_co_u32_e64 v7, s[0:1], v7, v9, s[0:1]
	v_cmp_le_i32_e64 s[0:1], s9, v10
	v_add_u32_e32 v8, 0x4000, v8
	s_or_b64 s[4:5], s[0:1], s[4:5]
	s_waitcnt vmcnt(0) lgkmcnt(0)
	v_mul_f64 v[20:21], v[18:19], v[14:15]
	v_mul_f64 v[14:15], v[16:17], v[14:15]
	v_fma_f64 v[16:17], v[16:17], v[12:13], -v[20:21]
	v_fmac_f64_e32 v[14:15], v[18:19], v[12:13]
	v_add_f64 v[4:5], v[4:5], v[16:17]
	v_add_f64 v[2:3], v[2:3], v[14:15]
	s_andn2_b64 exec, exec, s[4:5]
	s_cbranch_execnz .LBB140_4
; %bb.5:
	s_or_b64 exec, exec, s[4:5]
.LBB140_6:
	s_or_b64 exec, exec, s[22:23]
	v_mbcnt_lo_u32_b32 v6, -1, 0
	v_mbcnt_hi_u32_b32 v10, -1, v6
	v_and_b32_e32 v11, 63, v10
	v_cmp_ne_u32_e64 s[0:1], 63, v11
	v_addc_co_u32_e64 v6, s[0:1], 0, v10, s[0:1]
	v_lshlrev_b32_e32 v9, 2, v6
	ds_bpermute_b32 v6, v9, v4
	ds_bpermute_b32 v7, v9, v5
	ds_bpermute_b32 v8, v9, v2
	ds_bpermute_b32 v9, v9, v3
	v_cmp_gt_u32_e64 s[0:1], 62, v11
	s_waitcnt lgkmcnt(2)
	v_add_f64 v[4:5], v[4:5], v[6:7]
	v_cndmask_b32_e64 v6, 0, 1, s[0:1]
	v_lshlrev_b32_e32 v6, 1, v6
	s_waitcnt lgkmcnt(0)
	v_add_f64 v[2:3], v[2:3], v[8:9]
	v_add_lshl_u32 v9, v6, v10, 2
	ds_bpermute_b32 v6, v9, v4
	ds_bpermute_b32 v7, v9, v5
	ds_bpermute_b32 v8, v9, v2
	ds_bpermute_b32 v9, v9, v3
	v_cmp_gt_u32_e64 s[0:1], 60, v11
	s_waitcnt lgkmcnt(2)
	v_add_f64 v[4:5], v[4:5], v[6:7]
	v_cndmask_b32_e64 v6, 0, 1, s[0:1]
	v_lshlrev_b32_e32 v6, 2, v6
	s_waitcnt lgkmcnt(0)
	v_add_f64 v[2:3], v[2:3], v[8:9]
	v_add_lshl_u32 v9, v6, v10, 2
	;; [unrolled: 12-line block ×4, first 2 shown]
	ds_bpermute_b32 v6, v9, v4
	ds_bpermute_b32 v7, v9, v5
	;; [unrolled: 1-line block ×4, first 2 shown]
	v_cmp_gt_u32_e64 s[0:1], 32, v11
	s_waitcnt lgkmcnt(2)
	v_add_f64 v[4:5], v[4:5], v[6:7]
	s_waitcnt lgkmcnt(0)
	v_add_f64 v[6:7], v[2:3], v[8:9]
	v_cndmask_b32_e64 v2, 0, 1, s[0:1]
	v_lshlrev_b32_e32 v2, 5, v2
	v_add_lshl_u32 v9, v2, v10, 2
	ds_bpermute_b32 v2, v9, v4
	ds_bpermute_b32 v3, v9, v5
	;; [unrolled: 1-line block ×4, first 2 shown]
	s_waitcnt lgkmcnt(2)
	v_add_f64 v[2:3], v[4:5], v[2:3]
	s_waitcnt lgkmcnt(0)
	v_add_f64 v[4:5], v[6:7], v[8:9]
	v_and_b32_e32 v6, 63, v0
	v_cmp_eq_u32_e64 s[0:1], 0, v6
	s_and_saveexec_b64 s[4:5], s[0:1]
	s_cbranch_execz .LBB140_8
; %bb.7:
	v_lshrrev_b32_e32 v6, 2, v0
	v_add_u32_e32 v6, 0, v6
	ds_write2_b64 v6, v[2:3], v[4:5] offset1:1
.LBB140_8:
	s_or_b64 exec, exec, s[4:5]
	v_cmp_eq_u32_e64 s[0:1], 0, v0
	s_waitcnt lgkmcnt(0)
	s_barrier
	s_and_saveexec_b64 s[4:5], s[0:1]
	s_cbranch_execz .LBB140_10
; %bb.9:
	v_mov_b32_e32 v22, 0
	ds_read2_b64 v[6:9], v22 offset0:2 offset1:3
	ds_read2_b64 v[10:13], v22 offset0:4 offset1:5
	;; [unrolled: 1-line block ×4, first 2 shown]
	s_waitcnt lgkmcnt(3)
	v_add_f64 v[2:3], v[2:3], v[6:7]
	v_add_f64 v[4:5], v[4:5], v[8:9]
	s_waitcnt lgkmcnt(2)
	v_add_f64 v[2:3], v[2:3], v[10:11]
	v_add_f64 v[6:7], v[4:5], v[12:13]
	s_waitcnt lgkmcnt(1)
	v_add_f64 v[8:9], v[2:3], v[14:15]
	ds_read2_b64 v[2:5], v22 offset0:10 offset1:11
	v_add_f64 v[10:11], v[6:7], v[16:17]
	s_waitcnt lgkmcnt(1)
	v_add_f64 v[12:13], v[8:9], v[18:19]
	ds_read2_b64 v[6:9], v22 offset0:12 offset1:13
	;; [unrolled: 4-line block ×8, first 2 shown]
	v_add_f64 v[12:13], v[14:15], v[12:13]
	s_waitcnt lgkmcnt(1)
	v_add_f64 v[10:11], v[10:11], v[2:3]
	v_add_f64 v[14:15], v[12:13], v[4:5]
	ds_read2_b64 v[2:5], v22 offset0:26 offset1:27
	s_waitcnt lgkmcnt(1)
	v_add_f64 v[16:17], v[10:11], v[6:7]
	ds_read2_b64 v[10:13], v22 offset0:28 offset1:29
	v_add_f64 v[14:15], v[14:15], v[8:9]
	ds_read2_b64 v[6:9], v22 offset0:30 offset1:31
	s_waitcnt lgkmcnt(2)
	v_add_f64 v[2:3], v[16:17], v[2:3]
	v_add_f64 v[4:5], v[14:15], v[4:5]
	s_waitcnt lgkmcnt(1)
	v_add_f64 v[2:3], v[2:3], v[10:11]
	v_add_f64 v[4:5], v[4:5], v[12:13]
	;; [unrolled: 3-line block ×3, first 2 shown]
	ds_write2_b64 v22, v[2:3], v[4:5] offset1:1
.LBB140_10:
	s_or_b64 exec, exec, s[4:5]
	s_waitcnt lgkmcnt(0)
	s_barrier
	s_and_saveexec_b64 s[0:1], vcc
	s_cbranch_execz .LBB140_13
; %bb.11:
	s_mul_i32 s0, s8, s17
	s_mul_hi_u32 s1, s8, s16
	s_add_i32 s0, s1, s0
	s_mul_i32 s1, s29, s16
	s_add_i32 s1, s0, s1
	s_mul_i32 s0, s8, s16
	s_lshl_b64 s[0:1], s[0:1], 4
	s_add_u32 s0, s14, s0
	s_addc_u32 s1, s15, s1
	v_mov_b32_e32 v2, 0
	s_load_dwordx4 s[12:15], s[0:1], 0x0
	ds_read2_b64 v[4:7], v2 offset1:1
	s_add_i32 s0, s27, s26
	s_add_i32 s21, s0, s28
	s_ashr_i32 s3, s2, 31
	s_lshl_b64 s[0:1], s[20:21], 4
	s_waitcnt lgkmcnt(0)
	v_mul_f64 v[2:3], s[12:13], v[4:5]
	v_fma_f64 v[2:3], s[14:15], v[6:7], -v[2:3]
	v_mul_f64 v[6:7], s[12:13], v[6:7]
	v_fma_f64 v[4:5], v[4:5], -s[14:15], -v[6:7]
	v_mad_i64_i32 v[6:7], s[4:5], s2, v0, 0
	s_lshl_b64 s[4:5], s[10:11], 4
	s_lshl_b64 s[6:7], s[6:7], 4
	s_add_u32 s6, s18, s6
	s_addc_u32 s7, s19, s7
	s_add_u32 s4, s6, s4
	s_addc_u32 s5, s7, s5
	s_add_u32 s0, s4, s0
	v_lshlrev_b64 v[6:7], 4, v[6:7]
	s_addc_u32 s1, s5, s1
	v_mov_b32_e32 v8, s1
	v_add_co_u32_e32 v6, vcc, s0, v6
	v_addc_co_u32_e32 v7, vcc, v8, v7, vcc
	v_add_co_u32_e32 v6, vcc, 8, v6
	s_lshl_b64 s[0:1], s[2:3], 14
	v_add_u32_e32 v1, 0x100, v1
	v_addc_co_u32_e32 v7, vcc, 0, v7, vcc
	s_mov_b64 s[2:3], 0
	v_mov_b32_e32 v8, s1
.LBB140_12:                             ; =>This Inner Loop Header: Depth=1
	global_load_dwordx4 v[10:13], v[6:7], off offset:-8
	ds_read2_b64 v[14:17], v1 offset1:1
	v_add_u32_e32 v0, 0x400, v0
	v_cmp_le_i32_e32 vcc, s9, v0
	s_or_b64 s[2:3], vcc, s[2:3]
	v_add_u32_e32 v1, 0x4000, v1
	s_waitcnt lgkmcnt(0)
	v_mul_f64 v[18:19], v[4:5], v[16:17]
	v_mul_f64 v[16:17], v[2:3], v[16:17]
	v_fmac_f64_e32 v[18:19], v[2:3], v[14:15]
	v_fma_f64 v[14:15], v[4:5], v[14:15], -v[16:17]
	s_waitcnt vmcnt(0)
	v_add_f64 v[10:11], v[10:11], v[18:19]
	v_add_f64 v[12:13], v[12:13], v[14:15]
	global_store_dwordx4 v[6:7], v[10:13], off offset:-8
	v_add_co_u32_e32 v6, vcc, s0, v6
	v_addc_co_u32_e32 v7, vcc, v7, v8, vcc
	s_andn2_b64 exec, exec, s[2:3]
	s_cbranch_execnz .LBB140_12
.LBB140_13:
	s_endpgm
	.section	.rodata,"a",@progbits
	.p2align	6, 0x0
	.amdhsa_kernel _ZN9rocsolver6v33100L17larf_right_kernelILi1024E19rocblas_complex_numIdEiPS3_EEvT1_S5_T2_lS5_lPKT0_lS6_lS5_l
		.amdhsa_group_segment_fixed_size 0
		.amdhsa_private_segment_fixed_size 0
		.amdhsa_kernarg_size 88
		.amdhsa_user_sgpr_count 6
		.amdhsa_user_sgpr_private_segment_buffer 1
		.amdhsa_user_sgpr_dispatch_ptr 0
		.amdhsa_user_sgpr_queue_ptr 0
		.amdhsa_user_sgpr_kernarg_segment_ptr 1
		.amdhsa_user_sgpr_dispatch_id 0
		.amdhsa_user_sgpr_flat_scratch_init 0
		.amdhsa_user_sgpr_kernarg_preload_length 0
		.amdhsa_user_sgpr_kernarg_preload_offset 0
		.amdhsa_user_sgpr_private_segment_size 0
		.amdhsa_uses_dynamic_stack 0
		.amdhsa_system_sgpr_private_segment_wavefront_offset 0
		.amdhsa_system_sgpr_workgroup_id_x 1
		.amdhsa_system_sgpr_workgroup_id_y 1
		.amdhsa_system_sgpr_workgroup_id_z 1
		.amdhsa_system_sgpr_workgroup_info 0
		.amdhsa_system_vgpr_workitem_id 0
		.amdhsa_next_free_vgpr 23
		.amdhsa_next_free_sgpr 40
		.amdhsa_accum_offset 24
		.amdhsa_reserve_vcc 1
		.amdhsa_reserve_flat_scratch 0
		.amdhsa_float_round_mode_32 0
		.amdhsa_float_round_mode_16_64 0
		.amdhsa_float_denorm_mode_32 3
		.amdhsa_float_denorm_mode_16_64 3
		.amdhsa_dx10_clamp 1
		.amdhsa_ieee_mode 1
		.amdhsa_fp16_overflow 0
		.amdhsa_tg_split 0
		.amdhsa_exception_fp_ieee_invalid_op 0
		.amdhsa_exception_fp_denorm_src 0
		.amdhsa_exception_fp_ieee_div_zero 0
		.amdhsa_exception_fp_ieee_overflow 0
		.amdhsa_exception_fp_ieee_underflow 0
		.amdhsa_exception_fp_ieee_inexact 0
		.amdhsa_exception_int_div_zero 0
	.end_amdhsa_kernel
	.section	.text._ZN9rocsolver6v33100L17larf_right_kernelILi1024E19rocblas_complex_numIdEiPS3_EEvT1_S5_T2_lS5_lPKT0_lS6_lS5_l,"axG",@progbits,_ZN9rocsolver6v33100L17larf_right_kernelILi1024E19rocblas_complex_numIdEiPS3_EEvT1_S5_T2_lS5_lPKT0_lS6_lS5_l,comdat
.Lfunc_end140:
	.size	_ZN9rocsolver6v33100L17larf_right_kernelILi1024E19rocblas_complex_numIdEiPS3_EEvT1_S5_T2_lS5_lPKT0_lS6_lS5_l, .Lfunc_end140-_ZN9rocsolver6v33100L17larf_right_kernelILi1024E19rocblas_complex_numIdEiPS3_EEvT1_S5_T2_lS5_lPKT0_lS6_lS5_l
                                        ; -- End function
	.section	.AMDGPU.csdata,"",@progbits
; Kernel info:
; codeLenInByte = 1964
; NumSgprs: 44
; NumVgprs: 23
; NumAgprs: 0
; TotalNumVgprs: 23
; ScratchSize: 0
; MemoryBound: 0
; FloatMode: 240
; IeeeMode: 1
; LDSByteSize: 0 bytes/workgroup (compile time only)
; SGPRBlocks: 5
; VGPRBlocks: 2
; NumSGPRsForWavesPerEU: 44
; NumVGPRsForWavesPerEU: 23
; AccumOffset: 24
; Occupancy: 8
; WaveLimiterHint : 0
; COMPUTE_PGM_RSRC2:SCRATCH_EN: 0
; COMPUTE_PGM_RSRC2:USER_SGPR: 6
; COMPUTE_PGM_RSRC2:TRAP_HANDLER: 0
; COMPUTE_PGM_RSRC2:TGID_X_EN: 1
; COMPUTE_PGM_RSRC2:TGID_Y_EN: 1
; COMPUTE_PGM_RSRC2:TGID_Z_EN: 1
; COMPUTE_PGM_RSRC2:TIDIG_COMP_CNT: 0
; COMPUTE_PGM_RSRC3_GFX90A:ACCUM_OFFSET: 5
; COMPUTE_PGM_RSRC3_GFX90A:TG_SPLIT: 0
	.section	.text._ZN9rocsolver6v33100L12restore_diagI19rocblas_complex_numIdEidPS3_EEvPT1_llT2_lT0_lS8_,"axG",@progbits,_ZN9rocsolver6v33100L12restore_diagI19rocblas_complex_numIdEidPS3_EEvPT1_llT2_lT0_lS8_,comdat
	.globl	_ZN9rocsolver6v33100L12restore_diagI19rocblas_complex_numIdEidPS3_EEvPT1_llT2_lT0_lS8_ ; -- Begin function _ZN9rocsolver6v33100L12restore_diagI19rocblas_complex_numIdEidPS3_EEvPT1_llT2_lT0_lS8_
	.p2align	8
	.type	_ZN9rocsolver6v33100L12restore_diagI19rocblas_complex_numIdEidPS3_EEvPT1_llT2_lT0_lS8_,@function
_ZN9rocsolver6v33100L12restore_diagI19rocblas_complex_numIdEidPS3_EEvPT1_llT2_lT0_lS8_: ; @_ZN9rocsolver6v33100L12restore_diagI19rocblas_complex_numIdEidPS3_EEvPT1_llT2_lT0_lS8_
; %bb.0:
	s_load_dword s0, s[4:5], 0x4c
	s_load_dword s1, s[4:5], 0x38
	v_bfe_u32 v0, v0, 10, 10
	s_waitcnt lgkmcnt(0)
	s_lshr_b32 s0, s0, 16
	s_mul_i32 s7, s7, s0
	v_add_u32_e32 v0, s7, v0
	v_cmp_gt_i32_e32 vcc, s1, v0
	s_and_saveexec_b64 s[0:1], vcc
	s_cbranch_execz .LBB141_2
; %bb.1:
	s_load_dwordx2 s[0:1], s[4:5], 0x30
	s_load_dwordx2 s[2:3], s[4:5], 0x20
	s_load_dword s7, s[4:5], 0x28
	s_load_dwordx8 s[8:15], s[4:5], 0x0
	s_ashr_i32 s4, s6, 31
	s_waitcnt lgkmcnt(0)
	s_mul_i32 s1, s6, s1
	s_mul_hi_u32 s5, s6, s0
	s_add_i32 s1, s5, s1
	s_mul_i32 s5, s4, s0
	s_add_i32 s1, s1, s5
	s_mul_i32 s0, s6, s0
	s_lshl_b64 s[0:1], s[0:1], 4
	s_add_u32 s5, s14, s0
	s_addc_u32 s14, s15, s1
	s_lshl_b64 s[0:1], s[2:3], 4
	s_add_u32 s2, s5, s0
	s_addc_u32 s3, s14, s1
	s_mul_i32 s0, s6, s13
	s_mul_hi_u32 s1, s6, s12
	s_add_i32 s0, s1, s0
	s_mul_i32 s4, s4, s12
	s_add_i32 s1, s0, s4
	s_mul_i32 s0, s6, s12
	s_lshl_b64 s[0:1], s[0:1], 3
	s_add_u32 s4, s8, s0
	s_addc_u32 s5, s9, s1
	s_lshl_b64 s[0:1], s[10:11], 3
	s_add_u32 s4, s4, s0
	s_addc_u32 s5, s5, s1
	v_mad_u64_u32 v[2:3], s[0:1], v0, s7, v[0:1]
	v_ashrrev_i32_e32 v1, 31, v0
	v_lshlrev_b64 v[0:1], 3, v[0:1]
	v_mov_b32_e32 v3, s5
	v_add_co_u32_e32 v0, vcc, s4, v0
	v_addc_co_u32_e32 v1, vcc, v3, v1, vcc
	global_load_dwordx2 v[0:1], v[0:1], off
	v_ashrrev_i32_e32 v3, 31, v2
	v_lshlrev_b64 v[2:3], 4, v[2:3]
	v_mov_b32_e32 v5, s3
	v_add_co_u32_e32 v4, vcc, s2, v2
	v_mov_b32_e32 v2, 0
	v_addc_co_u32_e32 v5, vcc, v5, v3, vcc
	v_mov_b32_e32 v3, v2
	s_waitcnt vmcnt(0)
	global_store_dwordx4 v[4:5], v[0:3], off
.LBB141_2:
	s_endpgm
	.section	.rodata,"a",@progbits
	.p2align	6, 0x0
	.amdhsa_kernel _ZN9rocsolver6v33100L12restore_diagI19rocblas_complex_numIdEidPS3_EEvPT1_llT2_lT0_lS8_
		.amdhsa_group_segment_fixed_size 0
		.amdhsa_private_segment_fixed_size 0
		.amdhsa_kernarg_size 320
		.amdhsa_user_sgpr_count 6
		.amdhsa_user_sgpr_private_segment_buffer 1
		.amdhsa_user_sgpr_dispatch_ptr 0
		.amdhsa_user_sgpr_queue_ptr 0
		.amdhsa_user_sgpr_kernarg_segment_ptr 1
		.amdhsa_user_sgpr_dispatch_id 0
		.amdhsa_user_sgpr_flat_scratch_init 0
		.amdhsa_user_sgpr_kernarg_preload_length 0
		.amdhsa_user_sgpr_kernarg_preload_offset 0
		.amdhsa_user_sgpr_private_segment_size 0
		.amdhsa_uses_dynamic_stack 0
		.amdhsa_system_sgpr_private_segment_wavefront_offset 0
		.amdhsa_system_sgpr_workgroup_id_x 1
		.amdhsa_system_sgpr_workgroup_id_y 1
		.amdhsa_system_sgpr_workgroup_id_z 0
		.amdhsa_system_sgpr_workgroup_info 0
		.amdhsa_system_vgpr_workitem_id 1
		.amdhsa_next_free_vgpr 6
		.amdhsa_next_free_sgpr 16
		.amdhsa_accum_offset 8
		.amdhsa_reserve_vcc 1
		.amdhsa_reserve_flat_scratch 0
		.amdhsa_float_round_mode_32 0
		.amdhsa_float_round_mode_16_64 0
		.amdhsa_float_denorm_mode_32 3
		.amdhsa_float_denorm_mode_16_64 3
		.amdhsa_dx10_clamp 1
		.amdhsa_ieee_mode 1
		.amdhsa_fp16_overflow 0
		.amdhsa_tg_split 0
		.amdhsa_exception_fp_ieee_invalid_op 0
		.amdhsa_exception_fp_denorm_src 0
		.amdhsa_exception_fp_ieee_div_zero 0
		.amdhsa_exception_fp_ieee_overflow 0
		.amdhsa_exception_fp_ieee_underflow 0
		.amdhsa_exception_fp_ieee_inexact 0
		.amdhsa_exception_int_div_zero 0
	.end_amdhsa_kernel
	.section	.text._ZN9rocsolver6v33100L12restore_diagI19rocblas_complex_numIdEidPS3_EEvPT1_llT2_lT0_lS8_,"axG",@progbits,_ZN9rocsolver6v33100L12restore_diagI19rocblas_complex_numIdEidPS3_EEvPT1_llT2_lT0_lS8_,comdat
.Lfunc_end141:
	.size	_ZN9rocsolver6v33100L12restore_diagI19rocblas_complex_numIdEidPS3_EEvPT1_llT2_lT0_lS8_, .Lfunc_end141-_ZN9rocsolver6v33100L12restore_diagI19rocblas_complex_numIdEidPS3_EEvPT1_llT2_lT0_lS8_
                                        ; -- End function
	.section	.AMDGPU.csdata,"",@progbits
; Kernel info:
; codeLenInByte = 276
; NumSgprs: 20
; NumVgprs: 6
; NumAgprs: 0
; TotalNumVgprs: 6
; ScratchSize: 0
; MemoryBound: 0
; FloatMode: 240
; IeeeMode: 1
; LDSByteSize: 0 bytes/workgroup (compile time only)
; SGPRBlocks: 2
; VGPRBlocks: 0
; NumSGPRsForWavesPerEU: 20
; NumVGPRsForWavesPerEU: 6
; AccumOffset: 8
; Occupancy: 8
; WaveLimiterHint : 0
; COMPUTE_PGM_RSRC2:SCRATCH_EN: 0
; COMPUTE_PGM_RSRC2:USER_SGPR: 6
; COMPUTE_PGM_RSRC2:TRAP_HANDLER: 0
; COMPUTE_PGM_RSRC2:TGID_X_EN: 1
; COMPUTE_PGM_RSRC2:TGID_Y_EN: 1
; COMPUTE_PGM_RSRC2:TGID_Z_EN: 0
; COMPUTE_PGM_RSRC2:TIDIG_COMP_CNT: 1
; COMPUTE_PGM_RSRC3_GFX90A:ACCUM_OFFSET: 1
; COMPUTE_PGM_RSRC3_GFX90A:TG_SPLIT: 0
	.section	.text._ZN9rocsolver6v33100L14set_triangularI19rocblas_complex_numIdEPS3_TnNSt9enable_ifIX18rocblas_is_complexIT_EEiE4typeELi0EEEviiT0_iilPS6_lSA_il15rocblas_direct_15rocblas_storev_b,"axG",@progbits,_ZN9rocsolver6v33100L14set_triangularI19rocblas_complex_numIdEPS3_TnNSt9enable_ifIX18rocblas_is_complexIT_EEiE4typeELi0EEEviiT0_iilPS6_lSA_il15rocblas_direct_15rocblas_storev_b,comdat
	.globl	_ZN9rocsolver6v33100L14set_triangularI19rocblas_complex_numIdEPS3_TnNSt9enable_ifIX18rocblas_is_complexIT_EEiE4typeELi0EEEviiT0_iilPS6_lSA_il15rocblas_direct_15rocblas_storev_b ; -- Begin function _ZN9rocsolver6v33100L14set_triangularI19rocblas_complex_numIdEPS3_TnNSt9enable_ifIX18rocblas_is_complexIT_EEiE4typeELi0EEEviiT0_iilPS6_lSA_il15rocblas_direct_15rocblas_storev_b
	.p2align	8
	.type	_ZN9rocsolver6v33100L14set_triangularI19rocblas_complex_numIdEPS3_TnNSt9enable_ifIX18rocblas_is_complexIT_EEiE4typeELi0EEEviiT0_iilPS6_lSA_il15rocblas_direct_15rocblas_storev_b,@function
_ZN9rocsolver6v33100L14set_triangularI19rocblas_complex_numIdEPS3_TnNSt9enable_ifIX18rocblas_is_complexIT_EEiE4typeELi0EEEviiT0_iilPS6_lSA_il15rocblas_direct_15rocblas_storev_b: ; @_ZN9rocsolver6v33100L14set_triangularI19rocblas_complex_numIdEPS3_TnNSt9enable_ifIX18rocblas_is_complexIT_EEiE4typeELi0EEEviiT0_iilPS6_lSA_il15rocblas_direct_15rocblas_storev_b
; %bb.0:
	s_load_dword s0, s[4:5], 0x64
	s_load_dwordx2 s[20:21], s[4:5], 0x0
	v_and_b32_e32 v1, 0x3ff, v0
	v_bfe_u32 v0, v0, 10, 10
	s_waitcnt lgkmcnt(0)
	s_lshr_b32 s1, s0, 16
	s_and_b32 s0, s0, 0xffff
	s_mul_i32 s6, s6, s0
	s_mul_i32 s7, s7, s1
	v_add_u32_e32 v6, s6, v1
	v_add_u32_e32 v0, s7, v0
	v_max_u32_e32 v1, v6, v0
	v_cmp_gt_u32_e32 vcc, s21, v1
	s_and_saveexec_b64 s[0:1], vcc
	s_cbranch_execz .LBB142_36
; %bb.1:
	s_load_dwordx8 s[12:19], s[4:5], 0x18
	s_load_dword s22, s[4:5], 0x38
	s_load_dwordx2 s[0:1], s[4:5], 0x40
	v_cmp_ne_u32_e32 vcc, v0, v6
	s_waitcnt lgkmcnt(0)
	s_mul_i32 s3, s8, s17
	s_mul_hi_u32 s6, s8, s16
	s_mul_i32 s2, s8, s16
	s_add_i32 s3, s6, s3
	s_lshl_b64 s[2:3], s[2:3], 4
	s_add_u32 s16, s14, s2
	s_mul_i32 s1, s8, s1
	s_mul_hi_u32 s2, s8, s0
	s_addc_u32 s17, s15, s3
	s_add_i32 s1, s2, s1
	s_mul_i32 s0, s8, s0
	s_lshl_b64 s[0:1], s[0:1], 4
	s_add_u32 s14, s18, s0
	s_addc_u32 s15, s19, s1
	s_and_saveexec_b64 s[0:1], vcc
	s_xor_b64 s[10:11], exec, s[0:1]
	s_cbranch_execz .LBB142_34
; %bb.2:
	s_load_dwordx4 s[0:3], s[4:5], 0x8
	s_mul_i32 s9, s8, s13
	s_mul_hi_u32 s13, s8, s12
	s_add_i32 s9, s13, s9
	s_mul_i32 s8, s8, s12
	s_load_dwordx4 s[4:7], s[4:5], 0x48
	s_waitcnt lgkmcnt(0)
	s_ashr_i32 s19, s2, 31
	s_lshl_b64 s[8:9], s[8:9], 4
	s_mov_b32 s18, s2
	s_add_u32 s2, s0, s8
	s_addc_u32 s7, s1, s9
	s_lshl_b64 s[0:1], s[18:19], 4
	s_add_u32 s2, s2, s0
	s_addc_u32 s12, s7, s1
	s_bitcmp1_b32 s6, 0
	s_cselect_b64 s[0:1], -1, 0
	s_xor_b64 s[0:1], s[0:1], -1
	s_mov_b64 s[6:7], -1
	s_cmpk_lg_i32 s4, 0xab
	v_mov_b32_e32 v7, 0
	s_cbranch_scc0 .LBB142_18
; %bb.3:
	v_cmp_le_u32_e32 vcc, v0, v6
	s_and_saveexec_b64 s[6:7], vcc
	s_xor_b64 s[6:7], exec, s[6:7]
	s_cbranch_execz .LBB142_5
; %bb.4:
	v_mad_u64_u32 v[2:3], s[8:9], v6, s22, 0
	s_ashr_i32 s4, s22, 31
	v_mov_b32_e32 v4, v3
	v_mad_u64_u32 v[4:5], s[8:9], v6, s4, v[4:5]
	v_mov_b32_e32 v3, v4
	v_lshlrev_b64 v[2:3], 4, v[2:3]
	v_mov_b32_e32 v1, 0
	v_mov_b32_e32 v4, s15
	v_add_co_u32_e32 v5, vcc, s14, v2
	v_addc_co_u32_e32 v4, vcc, v4, v3, vcc
	v_lshlrev_b64 v[2:3], 4, v[0:1]
	v_add_co_u32_e32 v8, vcc, v5, v2
	v_addc_co_u32_e32 v9, vcc, v4, v3, vcc
	v_mov_b32_e32 v2, v1
	v_mov_b32_e32 v3, v1
	;; [unrolled: 1-line block ×4, first 2 shown]
	global_store_dwordx4 v[8:9], v[2:5], off
.LBB142_5:
	s_andn2_saveexec_b64 s[6:7], s[6:7]
	s_cbranch_execz .LBB142_17
; %bb.6:
	v_lshlrev_b64 v[2:3], 4, v[6:7]
	v_mov_b32_e32 v1, s17
	v_add_co_u32_e32 v2, vcc, s16, v2
	v_addc_co_u32_e32 v3, vcc, v1, v3, vcc
	global_load_dwordx4 v[2:5], v[2:3], off
	s_cmpk_lg_i32 s5, 0xb5
	s_mov_b64 s[8:9], -1
	s_cbranch_scc0 .LBB142_12
; %bb.7:
	v_mov_b32_e32 v1, 0
	s_andn2_b64 vcc, exec, s[0:1]
	v_lshlrev_b64 v[8:9], 4, v[0:1]
	s_cbranch_vccnz .LBB142_9
; %bb.8:
	s_sub_i32 s4, s20, s21
	v_add_u32_e32 v1, s4, v6
	v_mad_u64_u32 v[10:11], s[8:9], v1, s3, 0
	s_ashr_i32 s4, s3, 31
	v_mov_b32_e32 v12, v11
	v_mad_u64_u32 v[12:13], s[8:9], v1, s4, v[12:13]
	v_mov_b32_e32 v11, v12
	v_lshlrev_b64 v[10:11], 4, v[10:11]
	v_mov_b32_e32 v1, s12
	v_add_co_u32_e32 v10, vcc, s2, v10
	v_addc_co_u32_e32 v1, vcc, v1, v11, vcc
	v_add_co_u32_e32 v10, vcc, v10, v8
	v_addc_co_u32_e32 v11, vcc, v1, v9, vcc
	global_load_dwordx4 v[10:13], v[10:11], off
	v_mad_u64_u32 v[14:15], s[8:9], v6, s22, 0
	s_ashr_i32 s4, s22, 31
	v_mov_b32_e32 v16, v15
	v_mad_u64_u32 v[16:17], s[8:9], v6, s4, v[16:17]
	v_mov_b32_e32 v15, v16
	v_lshlrev_b64 v[14:15], 4, v[14:15]
	v_mov_b32_e32 v1, s15
	v_add_co_u32_e32 v14, vcc, s14, v14
	v_addc_co_u32_e32 v1, vcc, v1, v15, vcc
	v_add_co_u32_e32 v16, vcc, v14, v8
	v_addc_co_u32_e32 v17, vcc, v1, v9, vcc
	s_mov_b64 s[8:9], 0
	s_waitcnt vmcnt(0)
	v_mul_f64 v[14:15], v[2:3], v[10:11]
	v_mul_f64 v[18:19], v[2:3], v[12:13]
	v_fma_f64 v[12:13], v[4:5], v[12:13], -v[14:15]
	v_fma_f64 v[14:15], v[10:11], -v[4:5], -v[18:19]
	global_store_dwordx4 v[16:17], v[12:15], off
.LBB142_9:
	s_andn2_b64 vcc, exec, s[8:9]
	s_cbranch_vccnz .LBB142_11
; %bb.10:
	v_mad_u64_u32 v[10:11], s[8:9], v6, s22, 0
	s_ashr_i32 s4, s22, 31
	v_mov_b32_e32 v12, v11
	v_mad_u64_u32 v[12:13], s[8:9], v6, s4, v[12:13]
	v_mov_b32_e32 v11, v12
	v_lshlrev_b64 v[10:11], 4, v[10:11]
	v_mov_b32_e32 v1, s15
	v_add_co_u32_e32 v10, vcc, s14, v10
	v_addc_co_u32_e32 v1, vcc, v1, v11, vcc
	v_add_co_u32_e32 v16, vcc, v10, v8
	s_sub_i32 s4, s20, s21
	v_addc_co_u32_e32 v17, vcc, v1, v9, vcc
	v_add_u32_e32 v1, s4, v6
	v_mad_u64_u32 v[10:11], s[8:9], v1, s3, 0
	s_ashr_i32 s4, s3, 31
	v_mov_b32_e32 v12, v11
	v_mad_u64_u32 v[12:13], s[8:9], v1, s4, v[12:13]
	v_mov_b32_e32 v11, v12
	v_lshlrev_b64 v[10:11], 4, v[10:11]
	v_mov_b32_e32 v1, s12
	v_add_co_u32_e32 v10, vcc, s2, v10
	v_addc_co_u32_e32 v1, vcc, v1, v11, vcc
	v_add_co_u32_e32 v18, vcc, v10, v8
	v_addc_co_u32_e32 v19, vcc, v1, v9, vcc
	global_load_dwordx4 v[8:11], v[16:17], off
	global_load_dwordx4 v[12:15], v[18:19], off
	s_waitcnt vmcnt(0)
	v_add_f64 v[12:13], v[12:13], v[8:9]
	v_add_f64 v[8:9], v[14:15], v[10:11]
	v_mul_f64 v[10:11], v[2:3], v[12:13]
	v_mul_f64 v[14:15], v[2:3], v[8:9]
	v_fma_f64 v[8:9], v[4:5], v[8:9], -v[10:11]
	v_fma_f64 v[10:11], v[12:13], -v[4:5], -v[14:15]
	global_store_dwordx4 v[16:17], v[8:11], off
.LBB142_11:
	s_mov_b64 s[8:9], 0
.LBB142_12:
	s_andn2_b64 vcc, exec, s[8:9]
	s_cbranch_vccnz .LBB142_17
; %bb.13:
	s_andn2_b64 vcc, exec, s[0:1]
	s_mov_b64 s[8:9], -1
	s_cbranch_vccnz .LBB142_15
; %bb.14:
	s_sub_i32 s4, s20, s21
	v_mad_u64_u32 v[8:9], s[8:9], v0, s3, 0
	v_add_u32_e32 v12, s4, v6
	s_ashr_i32 s4, s3, 31
	v_mov_b32_e32 v10, v9
	v_mad_u64_u32 v[10:11], s[8:9], v0, s4, v[10:11]
	v_mov_b32_e32 v9, v10
	v_lshlrev_b64 v[8:9], 4, v[8:9]
	v_mov_b32_e32 v13, 0
	v_mov_b32_e32 v1, s12
	v_add_co_u32_e32 v10, vcc, s2, v8
	v_addc_co_u32_e32 v1, vcc, v1, v9, vcc
	v_lshlrev_b64 v[8:9], 4, v[12:13]
	v_add_co_u32_e32 v8, vcc, v10, v8
	v_addc_co_u32_e32 v9, vcc, v1, v9, vcc
	global_load_dwordx4 v[8:11], v[8:9], off
	v_mad_u64_u32 v[14:15], s[8:9], v6, s22, 0
	s_ashr_i32 s4, s22, 31
	v_mov_b32_e32 v12, v15
	v_mov_b32_e32 v1, v13
	v_mad_u64_u32 v[12:13], s[8:9], v6, s4, v[12:13]
	v_mov_b32_e32 v15, v12
	v_lshlrev_b64 v[12:13], 4, v[14:15]
	v_mov_b32_e32 v18, s15
	v_lshlrev_b64 v[16:17], 4, v[0:1]
	v_add_co_u32_e32 v1, vcc, s14, v12
	v_addc_co_u32_e32 v13, vcc, v18, v13, vcc
	v_add_co_u32_e32 v12, vcc, v1, v16
	v_addc_co_u32_e32 v13, vcc, v13, v17, vcc
	s_mov_b64 s[8:9], 0
	s_waitcnt vmcnt(0)
	v_mul_f64 v[14:15], v[4:5], v[10:11]
	v_mul_f64 v[16:17], v[4:5], v[8:9]
	v_fma_f64 v[8:9], v[8:9], -v[2:3], -v[14:15]
	v_fma_f64 v[10:11], v[2:3], v[10:11], -v[16:17]
	global_store_dwordx4 v[12:13], v[8:11], off
.LBB142_15:
	s_andn2_b64 vcc, exec, s[8:9]
	s_cbranch_vccnz .LBB142_17
; %bb.16:
	v_mad_u64_u32 v[8:9], s[8:9], v6, s22, 0
	s_ashr_i32 s4, s22, 31
	v_mov_b32_e32 v10, v9
	v_mad_u64_u32 v[10:11], s[8:9], v6, s4, v[10:11]
	v_mov_b32_e32 v9, v10
	v_lshlrev_b64 v[8:9], 4, v[8:9]
	v_mov_b32_e32 v1, 0
	v_mov_b32_e32 v10, s15
	v_add_co_u32_e32 v11, vcc, s14, v8
	v_addc_co_u32_e32 v10, vcc, v10, v9, vcc
	v_lshlrev_b64 v[8:9], 4, v[0:1]
	v_add_co_u32_e32 v16, vcc, v11, v8
	v_addc_co_u32_e32 v17, vcc, v10, v9, vcc
	s_sub_i32 s4, s20, s21
	v_mad_u64_u32 v[10:11], s[8:9], v0, s3, 0
	v_add_u32_e32 v8, s4, v6
	s_ashr_i32 s4, s3, 31
	v_mov_b32_e32 v12, v11
	v_mad_u64_u32 v[12:13], s[8:9], v0, s4, v[12:13]
	v_mov_b32_e32 v11, v12
	v_lshlrev_b64 v[10:11], 4, v[10:11]
	v_mov_b32_e32 v9, v1
	v_mov_b32_e32 v1, s12
	v_add_co_u32_e32 v10, vcc, s2, v10
	v_addc_co_u32_e32 v1, vcc, v1, v11, vcc
	v_lshlrev_b64 v[8:9], 4, v[8:9]
	v_add_co_u32_e32 v18, vcc, v10, v8
	v_addc_co_u32_e32 v19, vcc, v1, v9, vcc
	global_load_dwordx4 v[8:11], v[18:19], off
	global_load_dwordx4 v[12:15], v[16:17], off
	s_waitcnt vmcnt(0)
	v_add_f64 v[8:9], v[8:9], v[12:13]
	v_add_f64 v[10:11], v[14:15], -v[10:11]
	v_mul_f64 v[12:13], v[2:3], v[8:9]
	v_mul_f64 v[14:15], v[2:3], v[10:11]
	v_fma_f64 v[2:3], v[4:5], v[10:11], -v[12:13]
	v_fma_f64 v[4:5], v[8:9], -v[4:5], -v[14:15]
	global_store_dwordx4 v[16:17], v[2:5], off
.LBB142_17:
	s_or_b64 exec, exec, s[6:7]
	s_mov_b64 s[6:7], 0
.LBB142_18:
	s_andn2_b64 vcc, exec, s[6:7]
	s_cbranch_vccnz .LBB142_34
; %bb.19:
	v_cmp_ge_u32_e32 vcc, v0, v6
	s_and_saveexec_b64 s[6:7], vcc
	s_xor_b64 s[6:7], exec, s[6:7]
	s_cbranch_execz .LBB142_21
; %bb.20:
	s_waitcnt vmcnt(0)
	v_mad_u64_u32 v[2:3], s[8:9], v6, s22, 0
	s_ashr_i32 s4, s22, 31
	v_mov_b32_e32 v4, v3
	v_mad_u64_u32 v[4:5], s[8:9], v6, s4, v[4:5]
	v_mov_b32_e32 v3, v4
	v_lshlrev_b64 v[2:3], 4, v[2:3]
	v_mov_b32_e32 v1, 0
	v_mov_b32_e32 v4, s15
	v_add_co_u32_e32 v5, vcc, s14, v2
	v_addc_co_u32_e32 v6, vcc, v4, v3, vcc
	v_lshlrev_b64 v[2:3], 4, v[0:1]
	v_add_co_u32_e32 v4, vcc, v5, v2
	v_addc_co_u32_e32 v5, vcc, v6, v3, vcc
	v_mov_b32_e32 v0, v1
	v_mov_b32_e32 v2, v1
	;; [unrolled: 1-line block ×3, first 2 shown]
	global_store_dwordx4 v[4:5], v[0:3], off
                                        ; implicit-def: $vgpr6_vgpr7
                                        ; implicit-def: $vgpr0
.LBB142_21:
	s_andn2_saveexec_b64 s[6:7], s[6:7]
	s_cbranch_execz .LBB142_33
; %bb.22:
	v_lshlrev_b64 v[8:9], 4, v[6:7]
	v_mov_b32_e32 v1, s17
	s_waitcnt vmcnt(0)
	v_add_co_u32_e32 v2, vcc, s16, v8
	v_addc_co_u32_e32 v3, vcc, v1, v9, vcc
	global_load_dwordx4 v[2:5], v[2:3], off
	v_cndmask_b32_e64 v1, 0, 1, s[0:1]
	s_cmpk_lg_i32 s5, 0xb5
	s_mov_b64 s[4:5], -1
	v_cmp_ne_u32_e64 s[0:1], 1, v1
	s_cbranch_scc0 .LBB142_28
; %bb.23:
	v_mov_b32_e32 v1, 0
	s_and_b64 vcc, exec, s[0:1]
	v_lshlrev_b64 v[10:11], 4, v[0:1]
	s_cbranch_vccnz .LBB142_25
; %bb.24:
	v_mad_u64_u32 v[12:13], s[4:5], v6, s3, 0
	s_ashr_i32 s8, s3, 31
	v_mov_b32_e32 v14, v13
	v_mad_u64_u32 v[14:15], s[4:5], v6, s8, v[14:15]
	v_mov_b32_e32 v13, v14
	v_lshlrev_b64 v[12:13], 4, v[12:13]
	v_mov_b32_e32 v1, s12
	v_add_co_u32_e32 v7, vcc, s2, v12
	v_addc_co_u32_e32 v1, vcc, v1, v13, vcc
	v_add_co_u32_e32 v12, vcc, v7, v10
	v_addc_co_u32_e32 v13, vcc, v1, v11, vcc
	global_load_dwordx4 v[12:15], v[12:13], off
	v_mad_u64_u32 v[16:17], s[4:5], v6, s22, 0
	s_ashr_i32 s8, s22, 31
	v_mov_b32_e32 v18, v17
	v_mad_u64_u32 v[18:19], s[4:5], v6, s8, v[18:19]
	v_mov_b32_e32 v17, v18
	v_lshlrev_b64 v[16:17], 4, v[16:17]
	v_mov_b32_e32 v1, s15
	v_add_co_u32_e32 v7, vcc, s14, v16
	v_addc_co_u32_e32 v1, vcc, v1, v17, vcc
	v_add_co_u32_e32 v18, vcc, v7, v10
	v_addc_co_u32_e32 v19, vcc, v1, v11, vcc
	s_mov_b64 s[4:5], 0
	s_waitcnt vmcnt(0)
	v_mul_f64 v[16:17], v[2:3], v[12:13]
	v_mul_f64 v[20:21], v[2:3], v[14:15]
	v_fma_f64 v[14:15], v[4:5], v[14:15], -v[16:17]
	v_fma_f64 v[16:17], v[12:13], -v[4:5], -v[20:21]
	global_store_dwordx4 v[18:19], v[14:17], off
.LBB142_25:
	s_andn2_b64 vcc, exec, s[4:5]
	s_cbranch_vccnz .LBB142_27
; %bb.26:
	v_mad_u64_u32 v[12:13], s[4:5], v6, s22, 0
	s_ashr_i32 s8, s22, 31
	v_mov_b32_e32 v14, v13
	v_mad_u64_u32 v[14:15], s[4:5], v6, s8, v[14:15]
	v_mov_b32_e32 v13, v14
	v_lshlrev_b64 v[12:13], 4, v[12:13]
	v_mov_b32_e32 v1, s15
	v_add_co_u32_e32 v7, vcc, s14, v12
	v_addc_co_u32_e32 v1, vcc, v1, v13, vcc
	v_mad_u64_u32 v[12:13], s[4:5], v6, s3, 0
	s_ashr_i32 s8, s3, 31
	v_mov_b32_e32 v14, v13
	v_mad_u64_u32 v[14:15], s[4:5], v6, s8, v[14:15]
	v_add_co_u32_e32 v18, vcc, v7, v10
	v_mov_b32_e32 v13, v14
	v_addc_co_u32_e32 v19, vcc, v1, v11, vcc
	v_lshlrev_b64 v[12:13], 4, v[12:13]
	v_mov_b32_e32 v1, s12
	v_add_co_u32_e32 v7, vcc, s2, v12
	v_addc_co_u32_e32 v1, vcc, v1, v13, vcc
	v_add_co_u32_e32 v20, vcc, v7, v10
	v_addc_co_u32_e32 v21, vcc, v1, v11, vcc
	global_load_dwordx4 v[10:13], v[20:21], off
	global_load_dwordx4 v[14:17], v[18:19], off
	s_waitcnt vmcnt(0)
	v_add_f64 v[14:15], v[10:11], v[14:15]
	v_add_f64 v[10:11], v[12:13], v[16:17]
	v_mul_f64 v[12:13], v[2:3], v[14:15]
	v_mul_f64 v[16:17], v[2:3], v[10:11]
	v_fma_f64 v[10:11], v[4:5], v[10:11], -v[12:13]
	v_fma_f64 v[12:13], v[14:15], -v[4:5], -v[16:17]
	global_store_dwordx4 v[18:19], v[10:13], off
.LBB142_27:
	s_mov_b64 s[4:5], 0
.LBB142_28:
	s_andn2_b64 vcc, exec, s[4:5]
	s_cbranch_vccnz .LBB142_33
; %bb.29:
	v_mov_b32_e32 v1, 0
	s_mov_b64 s[4:5], -1
	s_and_b64 vcc, exec, s[0:1]
	v_lshlrev_b64 v[10:11], 4, v[0:1]
	s_cbranch_vccnz .LBB142_31
; %bb.30:
	v_mad_u64_u32 v[12:13], s[0:1], v0, s3, 0
	s_ashr_i32 s4, s3, 31
	v_mov_b32_e32 v14, v13
	v_mad_u64_u32 v[14:15], s[0:1], v0, s4, v[14:15]
	v_mov_b32_e32 v13, v14
	v_lshlrev_b64 v[12:13], 4, v[12:13]
	v_mov_b32_e32 v1, s12
	v_add_co_u32_e32 v7, vcc, s2, v12
	v_addc_co_u32_e32 v1, vcc, v1, v13, vcc
	v_add_co_u32_e32 v12, vcc, v7, v8
	v_addc_co_u32_e32 v13, vcc, v1, v9, vcc
	global_load_dwordx4 v[12:15], v[12:13], off
	v_mad_u64_u32 v[16:17], s[0:1], v6, s22, 0
	s_ashr_i32 s4, s22, 31
	v_mov_b32_e32 v18, v17
	v_mad_u64_u32 v[18:19], s[0:1], v6, s4, v[18:19]
	v_mov_b32_e32 v17, v18
	v_lshlrev_b64 v[16:17], 4, v[16:17]
	v_mov_b32_e32 v1, s15
	v_add_co_u32_e32 v7, vcc, s14, v16
	v_addc_co_u32_e32 v1, vcc, v1, v17, vcc
	v_add_co_u32_e32 v16, vcc, v7, v10
	v_addc_co_u32_e32 v17, vcc, v1, v11, vcc
	s_mov_b64 s[4:5], 0
	s_waitcnt vmcnt(0)
	v_mul_f64 v[18:19], v[4:5], v[14:15]
	v_mul_f64 v[20:21], v[4:5], v[12:13]
	v_fma_f64 v[12:13], v[12:13], -v[2:3], -v[18:19]
	v_fma_f64 v[14:15], v[2:3], v[14:15], -v[20:21]
	global_store_dwordx4 v[16:17], v[12:15], off
.LBB142_31:
	s_andn2_b64 vcc, exec, s[4:5]
	s_cbranch_vccnz .LBB142_33
; %bb.32:
	v_mad_u64_u32 v[12:13], s[0:1], v6, s22, 0
	s_ashr_i32 s4, s22, 31
	v_mov_b32_e32 v14, v13
	v_mad_u64_u32 v[6:7], s[0:1], v6, s4, v[14:15]
	v_mov_b32_e32 v13, v6
	v_lshlrev_b64 v[6:7], 4, v[12:13]
	v_mov_b32_e32 v1, s15
	v_add_co_u32_e32 v6, vcc, s14, v6
	v_addc_co_u32_e32 v1, vcc, v1, v7, vcc
	v_add_co_u32_e32 v14, vcc, v6, v10
	v_mad_u64_u32 v[6:7], s[0:1], v0, s3, 0
	s_ashr_i32 s4, s3, 31
	v_mov_b32_e32 v10, v7
	v_addc_co_u32_e32 v15, vcc, v1, v11, vcc
	v_mad_u64_u32 v[0:1], s[0:1], v0, s4, v[10:11]
	v_mov_b32_e32 v7, v0
	v_lshlrev_b64 v[0:1], 4, v[6:7]
	v_mov_b32_e32 v6, s12
	v_add_co_u32_e32 v0, vcc, s2, v0
	v_addc_co_u32_e32 v1, vcc, v6, v1, vcc
	v_add_co_u32_e32 v0, vcc, v0, v8
	v_addc_co_u32_e32 v1, vcc, v1, v9, vcc
	global_load_dwordx4 v[6:9], v[0:1], off
	global_load_dwordx4 v[10:13], v[14:15], off
	s_waitcnt vmcnt(0)
	v_add_f64 v[6:7], v[6:7], v[10:11]
	v_add_f64 v[0:1], v[12:13], -v[8:9]
	v_mul_f64 v[8:9], v[2:3], v[6:7]
	v_mul_f64 v[2:3], v[2:3], v[0:1]
	v_fma_f64 v[0:1], v[4:5], v[0:1], -v[8:9]
	v_fma_f64 v[2:3], v[6:7], -v[4:5], -v[2:3]
	global_store_dwordx4 v[14:15], v[0:3], off
.LBB142_33:
	s_or_b64 exec, exec, s[6:7]
                                        ; implicit-def: $vgpr6
.LBB142_34:
	s_andn2_saveexec_b64 s[0:1], s[10:11]
	s_cbranch_execz .LBB142_36
; %bb.35:
	v_mov_b32_e32 v7, 0
	s_waitcnt vmcnt(0)
	v_lshlrev_b64 v[4:5], 4, v[6:7]
	v_mov_b32_e32 v1, s17
	v_add_co_u32_e32 v0, vcc, s16, v4
	v_addc_co_u32_e32 v1, vcc, v1, v5, vcc
	global_load_dwordx4 v[0:3], v[0:1], off
	v_mad_u64_u32 v[8:9], s[0:1], v6, s22, 0
	s_ashr_i32 s2, s22, 31
	v_mov_b32_e32 v10, v9
	v_mad_u64_u32 v[6:7], s[0:1], v6, s2, v[10:11]
	v_mov_b32_e32 v9, v6
	v_lshlrev_b64 v[6:7], 4, v[8:9]
	v_mov_b32_e32 v8, s15
	v_add_co_u32_e32 v6, vcc, s14, v6
	v_addc_co_u32_e32 v7, vcc, v8, v7, vcc
	v_add_co_u32_e32 v4, vcc, v6, v4
	v_addc_co_u32_e32 v5, vcc, v7, v5, vcc
	s_waitcnt vmcnt(0)
	global_store_dwordx4 v[4:5], v[0:3], off
.LBB142_36:
	s_endpgm
	.section	.rodata,"a",@progbits
	.p2align	6, 0x0
	.amdhsa_kernel _ZN9rocsolver6v33100L14set_triangularI19rocblas_complex_numIdEPS3_TnNSt9enable_ifIX18rocblas_is_complexIT_EEiE4typeELi0EEEviiT0_iilPS6_lSA_il15rocblas_direct_15rocblas_storev_b
		.amdhsa_group_segment_fixed_size 0
		.amdhsa_private_segment_fixed_size 0
		.amdhsa_kernarg_size 344
		.amdhsa_user_sgpr_count 6
		.amdhsa_user_sgpr_private_segment_buffer 1
		.amdhsa_user_sgpr_dispatch_ptr 0
		.amdhsa_user_sgpr_queue_ptr 0
		.amdhsa_user_sgpr_kernarg_segment_ptr 1
		.amdhsa_user_sgpr_dispatch_id 0
		.amdhsa_user_sgpr_flat_scratch_init 0
		.amdhsa_user_sgpr_kernarg_preload_length 0
		.amdhsa_user_sgpr_kernarg_preload_offset 0
		.amdhsa_user_sgpr_private_segment_size 0
		.amdhsa_uses_dynamic_stack 0
		.amdhsa_system_sgpr_private_segment_wavefront_offset 0
		.amdhsa_system_sgpr_workgroup_id_x 1
		.amdhsa_system_sgpr_workgroup_id_y 1
		.amdhsa_system_sgpr_workgroup_id_z 1
		.amdhsa_system_sgpr_workgroup_info 0
		.amdhsa_system_vgpr_workitem_id 1
		.amdhsa_next_free_vgpr 22
		.amdhsa_next_free_sgpr 23
		.amdhsa_accum_offset 24
		.amdhsa_reserve_vcc 1
		.amdhsa_reserve_flat_scratch 0
		.amdhsa_float_round_mode_32 0
		.amdhsa_float_round_mode_16_64 0
		.amdhsa_float_denorm_mode_32 3
		.amdhsa_float_denorm_mode_16_64 3
		.amdhsa_dx10_clamp 1
		.amdhsa_ieee_mode 1
		.amdhsa_fp16_overflow 0
		.amdhsa_tg_split 0
		.amdhsa_exception_fp_ieee_invalid_op 0
		.amdhsa_exception_fp_denorm_src 0
		.amdhsa_exception_fp_ieee_div_zero 0
		.amdhsa_exception_fp_ieee_overflow 0
		.amdhsa_exception_fp_ieee_underflow 0
		.amdhsa_exception_fp_ieee_inexact 0
		.amdhsa_exception_int_div_zero 0
	.end_amdhsa_kernel
	.section	.text._ZN9rocsolver6v33100L14set_triangularI19rocblas_complex_numIdEPS3_TnNSt9enable_ifIX18rocblas_is_complexIT_EEiE4typeELi0EEEviiT0_iilPS6_lSA_il15rocblas_direct_15rocblas_storev_b,"axG",@progbits,_ZN9rocsolver6v33100L14set_triangularI19rocblas_complex_numIdEPS3_TnNSt9enable_ifIX18rocblas_is_complexIT_EEiE4typeELi0EEEviiT0_iilPS6_lSA_il15rocblas_direct_15rocblas_storev_b,comdat
.Lfunc_end142:
	.size	_ZN9rocsolver6v33100L14set_triangularI19rocblas_complex_numIdEPS3_TnNSt9enable_ifIX18rocblas_is_complexIT_EEiE4typeELi0EEEviiT0_iilPS6_lSA_il15rocblas_direct_15rocblas_storev_b, .Lfunc_end142-_ZN9rocsolver6v33100L14set_triangularI19rocblas_complex_numIdEPS3_TnNSt9enable_ifIX18rocblas_is_complexIT_EEiE4typeELi0EEEviiT0_iilPS6_lSA_il15rocblas_direct_15rocblas_storev_b
                                        ; -- End function
	.section	.AMDGPU.csdata,"",@progbits
; Kernel info:
; codeLenInByte = 2380
; NumSgprs: 27
; NumVgprs: 22
; NumAgprs: 0
; TotalNumVgprs: 22
; ScratchSize: 0
; MemoryBound: 1
; FloatMode: 240
; IeeeMode: 1
; LDSByteSize: 0 bytes/workgroup (compile time only)
; SGPRBlocks: 3
; VGPRBlocks: 2
; NumSGPRsForWavesPerEU: 27
; NumVGPRsForWavesPerEU: 22
; AccumOffset: 24
; Occupancy: 8
; WaveLimiterHint : 0
; COMPUTE_PGM_RSRC2:SCRATCH_EN: 0
; COMPUTE_PGM_RSRC2:USER_SGPR: 6
; COMPUTE_PGM_RSRC2:TRAP_HANDLER: 0
; COMPUTE_PGM_RSRC2:TGID_X_EN: 1
; COMPUTE_PGM_RSRC2:TGID_Y_EN: 1
; COMPUTE_PGM_RSRC2:TGID_Z_EN: 1
; COMPUTE_PGM_RSRC2:TIDIG_COMP_CNT: 1
; COMPUTE_PGM_RSRC3_GFX90A:ACCUM_OFFSET: 5
; COMPUTE_PGM_RSRC3_GFX90A:TG_SPLIT: 0
	.section	.text._ZN9rocsolver6v33100L7set_tauI19rocblas_complex_numIdEEEviPT_l,"axG",@progbits,_ZN9rocsolver6v33100L7set_tauI19rocblas_complex_numIdEEEviPT_l,comdat
	.globl	_ZN9rocsolver6v33100L7set_tauI19rocblas_complex_numIdEEEviPT_l ; -- Begin function _ZN9rocsolver6v33100L7set_tauI19rocblas_complex_numIdEEEviPT_l
	.p2align	8
	.type	_ZN9rocsolver6v33100L7set_tauI19rocblas_complex_numIdEEEviPT_l,@function
_ZN9rocsolver6v33100L7set_tauI19rocblas_complex_numIdEEEviPT_l: ; @_ZN9rocsolver6v33100L7set_tauI19rocblas_complex_numIdEEEviPT_l
; %bb.0:
	s_load_dword s0, s[4:5], 0x24
	s_load_dword s1, s[4:5], 0x0
	s_waitcnt lgkmcnt(0)
	s_and_b32 s0, s0, 0xffff
	s_mul_i32 s6, s6, s0
	v_add_u32_e32 v0, s6, v0
	v_cmp_gt_u32_e32 vcc, s1, v0
	s_and_saveexec_b64 s[0:1], vcc
	s_cbranch_execz .LBB143_2
; %bb.1:
	s_load_dwordx4 s[0:3], s[4:5], 0x8
	v_mov_b32_e32 v1, 0
	v_lshlrev_b64 v[0:1], 4, v[0:1]
	s_waitcnt lgkmcnt(0)
	s_mul_i32 s3, s7, s3
	s_mul_hi_u32 s4, s7, s2
	s_mul_i32 s2, s7, s2
	s_add_i32 s3, s4, s3
	s_lshl_b64 s[2:3], s[2:3], 4
	s_add_u32 s0, s0, s2
	s_addc_u32 s1, s1, s3
	v_mov_b32_e32 v2, s1
	v_add_co_u32_e32 v4, vcc, s0, v0
	v_addc_co_u32_e32 v5, vcc, v2, v1, vcc
	global_load_dwordx4 v[0:3], v[4:5], off
	s_waitcnt vmcnt(0)
	v_xor_b32_e32 v1, 0x80000000, v1
	v_xor_b32_e32 v3, 0x80000000, v3
	global_store_dwordx4 v[4:5], v[0:3], off
.LBB143_2:
	s_endpgm
	.section	.rodata,"a",@progbits
	.p2align	6, 0x0
	.amdhsa_kernel _ZN9rocsolver6v33100L7set_tauI19rocblas_complex_numIdEEEviPT_l
		.amdhsa_group_segment_fixed_size 0
		.amdhsa_private_segment_fixed_size 0
		.amdhsa_kernarg_size 280
		.amdhsa_user_sgpr_count 6
		.amdhsa_user_sgpr_private_segment_buffer 1
		.amdhsa_user_sgpr_dispatch_ptr 0
		.amdhsa_user_sgpr_queue_ptr 0
		.amdhsa_user_sgpr_kernarg_segment_ptr 1
		.amdhsa_user_sgpr_dispatch_id 0
		.amdhsa_user_sgpr_flat_scratch_init 0
		.amdhsa_user_sgpr_kernarg_preload_length 0
		.amdhsa_user_sgpr_kernarg_preload_offset 0
		.amdhsa_user_sgpr_private_segment_size 0
		.amdhsa_uses_dynamic_stack 0
		.amdhsa_system_sgpr_private_segment_wavefront_offset 0
		.amdhsa_system_sgpr_workgroup_id_x 1
		.amdhsa_system_sgpr_workgroup_id_y 1
		.amdhsa_system_sgpr_workgroup_id_z 0
		.amdhsa_system_sgpr_workgroup_info 0
		.amdhsa_system_vgpr_workitem_id 0
		.amdhsa_next_free_vgpr 6
		.amdhsa_next_free_sgpr 8
		.amdhsa_accum_offset 8
		.amdhsa_reserve_vcc 1
		.amdhsa_reserve_flat_scratch 0
		.amdhsa_float_round_mode_32 0
		.amdhsa_float_round_mode_16_64 0
		.amdhsa_float_denorm_mode_32 3
		.amdhsa_float_denorm_mode_16_64 3
		.amdhsa_dx10_clamp 1
		.amdhsa_ieee_mode 1
		.amdhsa_fp16_overflow 0
		.amdhsa_tg_split 0
		.amdhsa_exception_fp_ieee_invalid_op 0
		.amdhsa_exception_fp_denorm_src 0
		.amdhsa_exception_fp_ieee_div_zero 0
		.amdhsa_exception_fp_ieee_overflow 0
		.amdhsa_exception_fp_ieee_underflow 0
		.amdhsa_exception_fp_ieee_inexact 0
		.amdhsa_exception_int_div_zero 0
	.end_amdhsa_kernel
	.section	.text._ZN9rocsolver6v33100L7set_tauI19rocblas_complex_numIdEEEviPT_l,"axG",@progbits,_ZN9rocsolver6v33100L7set_tauI19rocblas_complex_numIdEEEviPT_l,comdat
.Lfunc_end143:
	.size	_ZN9rocsolver6v33100L7set_tauI19rocblas_complex_numIdEEEviPT_l, .Lfunc_end143-_ZN9rocsolver6v33100L7set_tauI19rocblas_complex_numIdEEEviPT_l
                                        ; -- End function
	.section	.AMDGPU.csdata,"",@progbits
; Kernel info:
; codeLenInByte = 152
; NumSgprs: 12
; NumVgprs: 6
; NumAgprs: 0
; TotalNumVgprs: 6
; ScratchSize: 0
; MemoryBound: 0
; FloatMode: 240
; IeeeMode: 1
; LDSByteSize: 0 bytes/workgroup (compile time only)
; SGPRBlocks: 1
; VGPRBlocks: 0
; NumSGPRsForWavesPerEU: 12
; NumVGPRsForWavesPerEU: 6
; AccumOffset: 8
; Occupancy: 8
; WaveLimiterHint : 0
; COMPUTE_PGM_RSRC2:SCRATCH_EN: 0
; COMPUTE_PGM_RSRC2:USER_SGPR: 6
; COMPUTE_PGM_RSRC2:TRAP_HANDLER: 0
; COMPUTE_PGM_RSRC2:TGID_X_EN: 1
; COMPUTE_PGM_RSRC2:TGID_Y_EN: 1
; COMPUTE_PGM_RSRC2:TGID_Z_EN: 0
; COMPUTE_PGM_RSRC2:TIDIG_COMP_CNT: 0
; COMPUTE_PGM_RSRC3_GFX90A:ACCUM_OFFSET: 1
; COMPUTE_PGM_RSRC3_GFX90A:TG_SPLIT: 0
	.section	.text._ZN9rocsolver6v33100L20larft_kernel_forwardI19rocblas_complex_numIdEPS3_EEv15rocblas_storev_iiT0_iilPT_lS8_il,"axG",@progbits,_ZN9rocsolver6v33100L20larft_kernel_forwardI19rocblas_complex_numIdEPS3_EEv15rocblas_storev_iiT0_iilPT_lS8_il,comdat
	.globl	_ZN9rocsolver6v33100L20larft_kernel_forwardI19rocblas_complex_numIdEPS3_EEv15rocblas_storev_iiT0_iilPT_lS8_il ; -- Begin function _ZN9rocsolver6v33100L20larft_kernel_forwardI19rocblas_complex_numIdEPS3_EEv15rocblas_storev_iiT0_iilPT_lS8_il
	.p2align	8
	.type	_ZN9rocsolver6v33100L20larft_kernel_forwardI19rocblas_complex_numIdEPS3_EEv15rocblas_storev_iiT0_iilPT_lS8_il,@function
_ZN9rocsolver6v33100L20larft_kernel_forwardI19rocblas_complex_numIdEPS3_EEv15rocblas_storev_iiT0_iilPT_lS8_il: ; @_ZN9rocsolver6v33100L20larft_kernel_forwardI19rocblas_complex_numIdEPS3_EEv15rocblas_storev_iiT0_iilPT_lS8_il
; %bb.0:
	s_load_dword s2, s[4:5], 0x5c
	s_load_dword s33, s[4:5], 0x40
	s_load_dwordx2 s[0:1], s[4:5], 0x48
	s_load_dwordx4 s[16:19], s[4:5], 0x0
	s_load_dwordx8 s[8:15], s[4:5], 0x20
	s_waitcnt lgkmcnt(0)
	s_and_b32 s19, s2, 0xffff
	s_ashr_i32 s6, s7, 31
	s_mul_i32 s1, s7, s1
	s_mul_hi_u32 s2, s7, s0
	s_add_i32 s1, s2, s1
	s_mul_i32 s2, s6, s0
	s_add_i32 s1, s1, s2
	s_mul_i32 s0, s7, s0
	s_lshl_b64 s[0:1], s[0:1], 4
	s_add_u32 s38, s14, s0
	s_addc_u32 s39, s15, s1
	v_cmp_gt_i32_e64 s[0:1], s18, v0
	v_lshlrev_b32_e32 v1, 4, v0
	s_and_saveexec_b64 s[2:3], s[0:1]
	s_cbranch_execz .LBB144_5
; %bb.1:
	v_add_u32_e32 v2, 16, v1
	v_mul_lo_u32 v2, s18, v2
	s_lshl_b32 s22, s18, 4
	v_add3_u32 v6, v2, v1, 0
	s_add_i32 s23, s22, 16
	s_add_i32 s24, s33, 1
	v_mad_u64_u32 v[2:3], s[14:15], v0, s33, v[0:1]
	s_mul_i32 s23, s23, s19
	s_mul_i32 s24, s24, s19
	s_mov_b64 s[14:15], 0
	v_mov_b32_e32 v3, s39
	v_mov_b32_e32 v7, v0
.LBB144_2:                              ; =>This Loop Header: Depth=1
                                        ;     Child Loop BB144_3 Depth 2
	s_mov_b64 s[20:21], 0
	v_mov_b32_e32 v4, v2
	v_mov_b32_e32 v8, v6
	;; [unrolled: 1-line block ×3, first 2 shown]
.LBB144_3:                              ;   Parent Loop BB144_2 Depth=1
                                        ; =>  This Inner Loop Header: Depth=2
	v_ashrrev_i32_e32 v5, 31, v4
	v_lshlrev_b64 v[10:11], 4, v[4:5]
	v_add_co_u32_e32 v10, vcc, s38, v10
	v_addc_co_u32_e32 v11, vcc, v3, v11, vcc
	global_load_dwordx4 v[10:13], v[10:11], off
	v_add_u32_e32 v9, 1, v9
	v_cmp_le_i32_e32 vcc, s18, v9
	v_add_u32_e32 v4, s33, v4
	s_or_b64 s[20:21], vcc, s[20:21]
	s_waitcnt vmcnt(0)
	ds_write2_b64 v8, v[10:11], v[12:13] offset1:1
	v_add_u32_e32 v8, s22, v8
	s_andn2_b64 exec, exec, s[20:21]
	s_cbranch_execnz .LBB144_3
; %bb.4:                                ;   in Loop: Header=BB144_2 Depth=1
	s_or_b64 exec, exec, s[20:21]
	v_add_u32_e32 v7, s19, v7
	v_cmp_le_i32_e32 vcc, s18, v7
	v_add_u32_e32 v6, s23, v6
	s_or_b64 s[14:15], vcc, s[14:15]
	v_add_u32_e32 v2, s24, v2
	s_andn2_b64 exec, exec, s[14:15]
	s_cbranch_execnz .LBB144_2
.LBB144_5:
	s_or_b64 exec, exec, s[2:3]
	s_cmp_lt_i32 s18, 2
	s_waitcnt lgkmcnt(0)
	s_barrier
	s_cbranch_scc1 .LBB144_29
; %bb.6:
	s_load_dwordx4 s[20:23], s[4:5], 0x10
	s_mul_i32 s2, s7, s13
	s_mul_hi_u32 s3, s7, s12
	s_add_i32 s4, s3, s2
	s_mul_i32 s5, s6, s12
	s_add_i32 s5, s4, s5
	s_mul_i32 s4, s7, s12
	s_waitcnt lgkmcnt(0)
	s_ashr_i32 s3, s22, 31
	s_lshl_b64 s[4:5], s[4:5], 4
	s_mov_b32 s2, s22
	s_add_u32 s22, s10, s4
	s_addc_u32 s40, s11, s5
	s_lshl_b32 s41, s18, 4
	s_add_i32 s42, s41, 0
	s_cmpk_lg_i32 s16, 0xb5
	s_mul_i32 s4, s8, s6
	s_mul_hi_u32 s5, s8, s7
	s_cselect_b64 s[12:13], -1, 0
	s_add_i32 s4, s5, s4
	s_mul_i32 s5, s9, s7
	s_add_i32 s5, s4, s5
	s_mul_i32 s4, s8, s7
	s_lshl_b64 s[4:5], s[4:5], 4
	s_lshl_b64 s[2:3], s[2:3], 4
	s_add_u32 s2, s4, s2
	s_addc_u32 s3, s5, s3
	s_add_u32 s16, s20, s2
	s_addc_u32 s43, s21, s3
	s_ashr_i32 s3, s23, 31
	s_mov_b32 s2, s23
	s_lshl_b32 s8, s23, 1
	s_lshl_b64 s[14:15], s[2:3], 4
	s_lshl_b32 s44, s19, 4
	s_add_u32 s20, s16, 32
	v_add_u32_e32 v4, 16, v1
	s_mov_b32 s11, 0
	s_addc_u32 s21, s43, 0
	v_mul_lo_u32 v4, s18, v4
	s_add_i32 s47, s41, 16
	s_mov_b32 s10, 1
	v_or_b32_e32 v2, 8, v1
	v_mov_b32_e32 v3, 0
	s_mov_b32 s45, s11
	v_mul_lo_u32 v12, v0, s23
	s_mul_i32 s46, s23, s19
	v_add3_u32 v13, v4, v1, 0
	s_mul_i32 s47, s47, s19
	v_add_u32_e32 v14, 0, v1
	s_mov_b64 s[24:25], 0
	s_mov_b32 s26, s23
	s_branch .LBB144_8
.LBB144_7:                              ;   in Loop: Header=BB144_8 Depth=1
	s_or_b64 exec, exec, s[2:3]
	s_add_i32 s10, s10, 1
	s_add_u32 s24, s24, 16
	s_addc_u32 s25, s25, 0
	s_add_i32 s8, s8, s23
	s_add_u32 s20, s20, 16
	s_addc_u32 s21, s21, 0
	s_add_i32 s26, s26, s23
	s_cmp_eq_u32 s10, s18
	s_waitcnt lgkmcnt(0)
	s_barrier
	s_cbranch_scc1 .LBB144_29
.LBB144_8:                              ; =>This Loop Header: Depth=1
                                        ;     Child Loop BB144_12 Depth 2
                                        ;       Child Loop BB144_14 Depth 3
                                        ;     Child Loop BB144_20 Depth 2
                                        ;       Child Loop BB144_22 Depth 3
	;; [unrolled: 2-line block ×3, first 2 shown]
	s_mul_i32 s2, s10, s18
	s_not_b32 s49, s10
	s_lshl_b32 s2, s2, 4
	s_add_i32 s49, s49, s17
	s_add_i32 s48, s42, s2
	s_mov_b64 s[4:5], -1
	s_and_b64 vcc, exec, s[12:13]
	v_cmp_gt_u32_e64 s[2:3], s10, v0
	s_cbranch_vccz .LBB144_16
; %bb.9:                                ;   in Loop: Header=BB144_8 Depth=1
	s_and_saveexec_b64 s[28:29], s[2:3]
	s_cbranch_execz .LBB144_15
; %bb.10:                               ;   in Loop: Header=BB144_8 Depth=1
	s_ashr_i32 s9, s8, 31
	s_lshl_b64 s[2:3], s[8:9], 4
	s_add_u32 s2, s16, s2
	s_addc_u32 s3, s43, s3
	s_cmp_gt_i32 s49, 0
	s_cselect_b64 s[30:31], -1, 0
	s_lshl_b64 s[4:5], s[10:11], 4
	s_add_u32 s4, s22, s4
	s_addc_u32 s5, s40, s5
	s_load_dwordx4 s[4:7], s[4:5], 0x0
	s_mov_b64 s[34:35], 0
	v_pk_mov_b32 v[4:5], v[2:3], v[2:3] op_sel:[0,1]
	v_mov_b32_e32 v10, v0
	s_branch .LBB144_12
.LBB144_11:                             ;   in Loop: Header=BB144_12 Depth=2
	v_lshlrev_b32_e32 v11, 4, v10
	v_add_u32_e32 v15, s48, v11
	ds_read2_b64 v[16:19], v15 offset1:1
	s_waitcnt lgkmcnt(0)
	v_mul_f64 v[20:21], v[6:7], s[6:7]
	v_mul_f64 v[22:23], v[8:9], s[6:7]
	v_fma_f64 v[8:9], v[8:9], s[4:5], -v[20:21]
	v_fmac_f64_e32 v[22:23], s[4:5], v[6:7]
	v_add_u32_e32 v10, s19, v10
	v_add_f64 v[6:7], v[16:17], v[8:9]
	v_add_f64 v[8:9], v[22:23], v[18:19]
	v_add_u32_e32 v11, 0, v11
	v_cmp_le_u32_e32 vcc, s10, v10
	ds_write2_b64 v11, v[6:7], v[8:9] offset1:1
	v_mov_b32_e32 v6, s45
	s_or_b64 s[34:35], vcc, s[34:35]
	v_add_co_u32_e32 v4, vcc, s44, v4
	v_addc_co_u32_e32 v5, vcc, v5, v6, vcc
	s_andn2_b64 exec, exec, s[34:35]
	s_cbranch_execz .LBB144_15
.LBB144_12:                             ;   Parent Loop BB144_8 Depth=1
                                        ; =>  This Loop Header: Depth=2
                                        ;       Child Loop BB144_14 Depth 3
	v_pk_mov_b32 v[6:7], 0, 0
	s_andn2_b64 vcc, exec, s[30:31]
	v_pk_mov_b32 v[8:9], v[6:7], v[6:7] op_sel:[0,1]
	s_cbranch_vccnz .LBB144_11
; %bb.13:                               ;   in Loop: Header=BB144_12 Depth=2
	v_pk_mov_b32 v[6:7], 0, 0
	s_mov_b32 s9, 0
	s_mov_b64 s[36:37], s[2:3]
	v_pk_mov_b32 v[8:9], v[6:7], v[6:7] op_sel:[0,1]
.LBB144_14:                             ;   Parent Loop BB144_8 Depth=1
                                        ;     Parent Loop BB144_12 Depth=2
                                        ; =>    This Inner Loop Header: Depth=3
	v_mov_b32_e32 v11, s37
	v_add_co_u32_e32 v16, vcc, s36, v4
	v_addc_co_u32_e32 v17, vcc, v11, v5, vcc
	global_load_dwordx4 v[16:19], v[16:17], off offset:-8
	s_add_u32 s50, s36, s24
	s_addc_u32 s51, s37, s25
	s_load_dwordx4 s[52:55], s[50:51], 0x10
	s_add_i32 s9, s9, 1
	s_add_u32 s36, s36, s14
	s_addc_u32 s37, s37, s15
	s_cmp_ge_i32 s9, s49
	s_waitcnt vmcnt(0) lgkmcnt(0)
	v_mul_f64 v[20:21], s[54:55], v[18:19]
	v_mul_f64 v[22:23], s[54:55], v[16:17]
	v_fmac_f64_e32 v[20:21], s[52:53], v[16:17]
	v_fma_f64 v[16:17], s[52:53], v[18:19], -v[22:23]
	v_add_f64 v[8:9], v[8:9], v[20:21]
	v_add_f64 v[6:7], v[6:7], v[16:17]
	s_cbranch_scc0 .LBB144_14
	s_branch .LBB144_11
.LBB144_15:                             ;   in Loop: Header=BB144_8 Depth=1
	s_or_b64 exec, exec, s[28:29]
	s_mov_b64 s[4:5], 0
.LBB144_16:                             ;   in Loop: Header=BB144_8 Depth=1
	s_andn2_b64 vcc, exec, s[4:5]
	s_cbranch_vccnz .LBB144_24
; %bb.17:                               ;   in Loop: Header=BB144_8 Depth=1
	v_cmp_gt_u32_e32 vcc, s10, v0
	s_and_saveexec_b64 s[2:3], vcc
	s_cbranch_execz .LBB144_23
; %bb.18:                               ;   in Loop: Header=BB144_8 Depth=1
	s_ashr_i32 s27, s26, 31
	s_lshl_b64 s[28:29], s[26:27], 4
	s_cmp_gt_i32 s49, 0
	s_cselect_b64 s[30:31], -1, 0
	s_lshl_b64 s[4:5], s[10:11], 4
	s_add_u32 s4, s22, s4
	s_addc_u32 s5, s40, s5
	s_load_dwordx4 s[4:7], s[4:5], 0x0
	s_mov_b64 s[34:35], 0
	v_mov_b32_e32 v4, v12
	v_mov_b32_e32 v15, v0
	s_branch .LBB144_20
.LBB144_19:                             ;   in Loop: Header=BB144_20 Depth=2
	v_lshlrev_b32_e32 v5, 4, v15
	v_add_u32_e32 v10, s48, v5
	ds_read2_b64 v[16:19], v10 offset1:1
	s_waitcnt lgkmcnt(0)
	v_mul_f64 v[10:11], v[6:7], s[6:7]
	v_mul_f64 v[20:21], v[8:9], s[6:7]
	v_add_u32_e32 v15, s19, v15
	v_fma_f64 v[8:9], v[8:9], s[4:5], -v[10:11]
	v_fmac_f64_e32 v[20:21], s[4:5], v[6:7]
	v_cmp_le_u32_e32 vcc, s10, v15
	v_add_f64 v[6:7], v[16:17], v[8:9]
	v_add_f64 v[8:9], v[20:21], v[18:19]
	v_add_u32_e32 v5, 0, v5
	s_or_b64 s[34:35], vcc, s[34:35]
	v_add_u32_e32 v4, s46, v4
	ds_write2_b64 v5, v[6:7], v[8:9] offset1:1
	s_andn2_b64 exec, exec, s[34:35]
	s_cbranch_execz .LBB144_23
.LBB144_20:                             ;   Parent Loop BB144_8 Depth=1
                                        ; =>  This Loop Header: Depth=2
                                        ;       Child Loop BB144_22 Depth 3
	v_pk_mov_b32 v[6:7], 0, 0
	s_andn2_b64 vcc, exec, s[30:31]
	v_pk_mov_b32 v[8:9], v[6:7], v[6:7] op_sel:[0,1]
	s_cbranch_vccnz .LBB144_19
; %bb.21:                               ;   in Loop: Header=BB144_20 Depth=2
	v_ashrrev_i32_e32 v5, 31, v4
	v_pk_mov_b32 v[6:7], 0, 0
	v_lshlrev_b64 v[10:11], 4, v[4:5]
	s_mov_b32 s9, 0
	s_mov_b64 s[36:37], s[20:21]
	v_pk_mov_b32 v[8:9], v[6:7], v[6:7] op_sel:[0,1]
.LBB144_22:                             ;   Parent Loop BB144_8 Depth=1
                                        ;     Parent Loop BB144_20 Depth=2
                                        ; =>    This Inner Loop Header: Depth=3
	v_mov_b32_e32 v5, s37
	v_add_co_u32_e32 v16, vcc, s36, v10
	v_addc_co_u32_e32 v17, vcc, v5, v11, vcc
	global_load_dwordx4 v[16:19], v[16:17], off
	s_add_u32 s50, s36, s28
	s_addc_u32 s51, s37, s29
	s_load_dwordx4 s[52:55], s[50:51], 0x0
	s_add_i32 s9, s9, 1
	s_add_u32 s36, s36, 16
	s_addc_u32 s37, s37, 0
	s_cmp_ge_i32 s9, s49
	s_waitcnt vmcnt(0) lgkmcnt(0)
	v_mul_f64 v[20:21], v[18:19], s[54:55]
	v_mul_f64 v[18:19], v[18:19], s[52:53]
	v_fmac_f64_e32 v[20:21], s[52:53], v[16:17]
	v_fma_f64 v[16:17], v[16:17], s[54:55], -v[18:19]
	v_add_f64 v[8:9], v[8:9], v[20:21]
	v_add_f64 v[6:7], v[6:7], v[16:17]
	s_cbranch_scc0 .LBB144_22
	s_branch .LBB144_19
.LBB144_23:                             ;   in Loop: Header=BB144_8 Depth=1
	s_or_b64 exec, exec, s[2:3]
.LBB144_24:                             ;   in Loop: Header=BB144_8 Depth=1
	v_cmp_gt_u32_e32 vcc, s10, v0
	s_waitcnt lgkmcnt(0)
	s_barrier
	s_and_saveexec_b64 s[2:3], vcc
	s_cbranch_execz .LBB144_7
; %bb.25:                               ;   in Loop: Header=BB144_8 Depth=1
	s_mov_b64 s[4:5], 0
	v_mov_b32_e32 v8, v14
	v_mov_b32_e32 v9, v13
	v_mov_b32_e32 v10, v0
.LBB144_26:                             ;   Parent Loop BB144_8 Depth=1
                                        ; =>  This Loop Header: Depth=2
                                        ;       Child Loop BB144_27 Depth 3
	v_pk_mov_b32 v[4:5], 0, 0
	s_mov_b64 s[6:7], 0
	v_mov_b32_e32 v11, v8
	v_mov_b32_e32 v15, v9
	;; [unrolled: 1-line block ×3, first 2 shown]
	v_pk_mov_b32 v[6:7], v[4:5], v[4:5] op_sel:[0,1]
.LBB144_27:                             ;   Parent Loop BB144_8 Depth=1
                                        ;     Parent Loop BB144_26 Depth=2
                                        ; =>    This Inner Loop Header: Depth=3
	ds_read2_b64 v[18:21], v11 offset1:1
	ds_read2_b64 v[22:25], v15 offset1:1
	v_add_u32_e32 v16, 1, v16
	v_cmp_le_u32_e32 vcc, s10, v16
	v_add_u32_e32 v15, s41, v15
	v_add_u32_e32 v11, 16, v11
	s_waitcnt lgkmcnt(0)
	v_mul_f64 v[26:27], v[20:21], v[24:25]
	v_mul_f64 v[24:25], v[18:19], v[24:25]
	v_fma_f64 v[18:19], v[18:19], v[22:23], -v[26:27]
	v_fmac_f64_e32 v[24:25], v[20:21], v[22:23]
	s_or_b64 s[6:7], vcc, s[6:7]
	v_add_f64 v[4:5], v[4:5], v[18:19]
	v_add_f64 v[6:7], v[6:7], v[24:25]
	s_andn2_b64 exec, exec, s[6:7]
	s_cbranch_execnz .LBB144_27
; %bb.28:                               ;   in Loop: Header=BB144_26 Depth=2
	s_or_b64 exec, exec, s[6:7]
	v_lshl_add_u32 v11, v10, 4, s48
	v_add_u32_e32 v10, s19, v10
	v_cmp_le_u32_e32 vcc, s10, v10
	v_add_u32_e32 v9, s47, v9
	s_or_b64 s[4:5], vcc, s[4:5]
	v_add_u32_e32 v8, s44, v8
	ds_write2_b64 v11, v[4:5], v[6:7] offset1:1
	s_andn2_b64 exec, exec, s[4:5]
	s_cbranch_execnz .LBB144_26
	s_branch .LBB144_7
.LBB144_29:
	s_and_saveexec_b64 s[2:3], s[0:1]
	s_cbranch_execz .LBB144_34
; %bb.30:
	v_mad_u64_u32 v[2:3], s[0:1], v0, s33, v[0:1]
	v_add_u32_e32 v3, 16, v1
	s_lshl_b32 s7, s18, 4
	s_add_i32 s6, s33, 1
	v_mul_lo_u32 v3, s18, v3
	s_add_i32 s8, s7, 16
	s_mul_i32 s6, s6, s19
	v_add3_u32 v1, v3, v1, 0
	s_mul_i32 s8, s8, s19
	s_mov_b64 s[2:3], 0
	v_mov_b32_e32 v3, s39
.LBB144_31:                             ; =>This Loop Header: Depth=1
                                        ;     Child Loop BB144_32 Depth 2
	s_mov_b64 s[4:5], 0
	v_mov_b32_e32 v6, v1
	v_mov_b32_e32 v4, v2
	v_mov_b32_e32 v7, v0
.LBB144_32:                             ;   Parent Loop BB144_31 Depth=1
                                        ; =>  This Inner Loop Header: Depth=2
	ds_read2_b64 v[8:11], v6 offset1:1
	v_ashrrev_i32_e32 v5, 31, v4
	v_add_u32_e32 v7, 1, v7
	v_lshlrev_b64 v[12:13], 4, v[4:5]
	v_cmp_le_i32_e32 vcc, s18, v7
	v_add_co_u32_e64 v12, s[0:1], s38, v12
	v_add_u32_e32 v6, s7, v6
	v_add_u32_e32 v4, s33, v4
	v_addc_co_u32_e64 v13, s[0:1], v3, v13, s[0:1]
	s_or_b64 s[4:5], vcc, s[4:5]
	s_waitcnt lgkmcnt(0)
	global_store_dwordx4 v[12:13], v[8:11], off
	s_andn2_b64 exec, exec, s[4:5]
	s_cbranch_execnz .LBB144_32
; %bb.33:                               ;   in Loop: Header=BB144_31 Depth=1
	s_or_b64 exec, exec, s[4:5]
	v_add_u32_e32 v0, s19, v0
	v_cmp_le_i32_e32 vcc, s18, v0
	v_add_u32_e32 v2, s6, v2
	s_or_b64 s[2:3], vcc, s[2:3]
	v_add_u32_e32 v1, s8, v1
	s_andn2_b64 exec, exec, s[2:3]
	s_cbranch_execnz .LBB144_31
.LBB144_34:
	s_endpgm
	.section	.rodata,"a",@progbits
	.p2align	6, 0x0
	.amdhsa_kernel _ZN9rocsolver6v33100L20larft_kernel_forwardI19rocblas_complex_numIdEPS3_EEv15rocblas_storev_iiT0_iilPT_lS8_il
		.amdhsa_group_segment_fixed_size 0
		.amdhsa_private_segment_fixed_size 0
		.amdhsa_kernarg_size 336
		.amdhsa_user_sgpr_count 6
		.amdhsa_user_sgpr_private_segment_buffer 1
		.amdhsa_user_sgpr_dispatch_ptr 0
		.amdhsa_user_sgpr_queue_ptr 0
		.amdhsa_user_sgpr_kernarg_segment_ptr 1
		.amdhsa_user_sgpr_dispatch_id 0
		.amdhsa_user_sgpr_flat_scratch_init 0
		.amdhsa_user_sgpr_kernarg_preload_length 0
		.amdhsa_user_sgpr_kernarg_preload_offset 0
		.amdhsa_user_sgpr_private_segment_size 0
		.amdhsa_uses_dynamic_stack 0
		.amdhsa_system_sgpr_private_segment_wavefront_offset 0
		.amdhsa_system_sgpr_workgroup_id_x 1
		.amdhsa_system_sgpr_workgroup_id_y 1
		.amdhsa_system_sgpr_workgroup_id_z 0
		.amdhsa_system_sgpr_workgroup_info 0
		.amdhsa_system_vgpr_workitem_id 0
		.amdhsa_next_free_vgpr 28
		.amdhsa_next_free_sgpr 56
		.amdhsa_accum_offset 28
		.amdhsa_reserve_vcc 1
		.amdhsa_reserve_flat_scratch 0
		.amdhsa_float_round_mode_32 0
		.amdhsa_float_round_mode_16_64 0
		.amdhsa_float_denorm_mode_32 3
		.amdhsa_float_denorm_mode_16_64 3
		.amdhsa_dx10_clamp 1
		.amdhsa_ieee_mode 1
		.amdhsa_fp16_overflow 0
		.amdhsa_tg_split 0
		.amdhsa_exception_fp_ieee_invalid_op 0
		.amdhsa_exception_fp_denorm_src 0
		.amdhsa_exception_fp_ieee_div_zero 0
		.amdhsa_exception_fp_ieee_overflow 0
		.amdhsa_exception_fp_ieee_underflow 0
		.amdhsa_exception_fp_ieee_inexact 0
		.amdhsa_exception_int_div_zero 0
	.end_amdhsa_kernel
	.section	.text._ZN9rocsolver6v33100L20larft_kernel_forwardI19rocblas_complex_numIdEPS3_EEv15rocblas_storev_iiT0_iilPT_lS8_il,"axG",@progbits,_ZN9rocsolver6v33100L20larft_kernel_forwardI19rocblas_complex_numIdEPS3_EEv15rocblas_storev_iiT0_iilPT_lS8_il,comdat
.Lfunc_end144:
	.size	_ZN9rocsolver6v33100L20larft_kernel_forwardI19rocblas_complex_numIdEPS3_EEv15rocblas_storev_iiT0_iilPT_lS8_il, .Lfunc_end144-_ZN9rocsolver6v33100L20larft_kernel_forwardI19rocblas_complex_numIdEPS3_EEv15rocblas_storev_iiT0_iilPT_lS8_il
                                        ; -- End function
	.section	.AMDGPU.csdata,"",@progbits
; Kernel info:
; codeLenInByte = 1712
; NumSgprs: 60
; NumVgprs: 28
; NumAgprs: 0
; TotalNumVgprs: 28
; ScratchSize: 0
; MemoryBound: 0
; FloatMode: 240
; IeeeMode: 1
; LDSByteSize: 0 bytes/workgroup (compile time only)
; SGPRBlocks: 7
; VGPRBlocks: 3
; NumSGPRsForWavesPerEU: 60
; NumVGPRsForWavesPerEU: 28
; AccumOffset: 28
; Occupancy: 8
; WaveLimiterHint : 0
; COMPUTE_PGM_RSRC2:SCRATCH_EN: 0
; COMPUTE_PGM_RSRC2:USER_SGPR: 6
; COMPUTE_PGM_RSRC2:TRAP_HANDLER: 0
; COMPUTE_PGM_RSRC2:TGID_X_EN: 1
; COMPUTE_PGM_RSRC2:TGID_Y_EN: 1
; COMPUTE_PGM_RSRC2:TGID_Z_EN: 0
; COMPUTE_PGM_RSRC2:TIDIG_COMP_CNT: 0
; COMPUTE_PGM_RSRC3_GFX90A:ACCUM_OFFSET: 6
; COMPUTE_PGM_RSRC3_GFX90A:TG_SPLIT: 0
	.section	.text._ZN9rocsolver6v33100L21larft_kernel_backwardI19rocblas_complex_numIdEPS3_EEv15rocblas_storev_iiT0_iilPT_lS8_il,"axG",@progbits,_ZN9rocsolver6v33100L21larft_kernel_backwardI19rocblas_complex_numIdEPS3_EEv15rocblas_storev_iiT0_iilPT_lS8_il,comdat
	.globl	_ZN9rocsolver6v33100L21larft_kernel_backwardI19rocblas_complex_numIdEPS3_EEv15rocblas_storev_iiT0_iilPT_lS8_il ; -- Begin function _ZN9rocsolver6v33100L21larft_kernel_backwardI19rocblas_complex_numIdEPS3_EEv15rocblas_storev_iiT0_iilPT_lS8_il
	.p2align	8
	.type	_ZN9rocsolver6v33100L21larft_kernel_backwardI19rocblas_complex_numIdEPS3_EEv15rocblas_storev_iiT0_iilPT_lS8_il,@function
_ZN9rocsolver6v33100L21larft_kernel_backwardI19rocblas_complex_numIdEPS3_EEv15rocblas_storev_iiT0_iilPT_lS8_il: ; @_ZN9rocsolver6v33100L21larft_kernel_backwardI19rocblas_complex_numIdEPS3_EEv15rocblas_storev_iiT0_iilPT_lS8_il
; %bb.0:
	s_load_dword s2, s[4:5], 0x5c
	s_load_dword s30, s[4:5], 0x40
	s_load_dwordx2 s[0:1], s[4:5], 0x48
	s_load_dwordx4 s[16:19], s[4:5], 0x0
	s_load_dwordx8 s[8:15], s[4:5], 0x20
	s_waitcnt lgkmcnt(0)
	s_and_b32 s19, s2, 0xffff
	s_ashr_i32 s6, s7, 31
	s_mul_i32 s1, s7, s1
	s_mul_hi_u32 s2, s7, s0
	s_add_i32 s1, s2, s1
	s_mul_i32 s2, s6, s0
	s_add_i32 s1, s1, s2
	s_mul_i32 s0, s7, s0
	s_lshl_b64 s[0:1], s[0:1], 4
	s_add_u32 s31, s14, s0
	s_addc_u32 s33, s15, s1
	v_cmp_gt_i32_e64 s[0:1], s18, v0
	v_add_u32_e32 v1, 1, v0
	s_and_saveexec_b64 s[2:3], s[0:1]
	s_cbranch_execz .LBB145_5
; %bb.1:
	s_lshl_b32 s22, s18, 4
	s_add_i32 s14, s22, 0
	v_add_u32_e32 v4, 1, v0
	v_lshl_add_u32 v5, v0, 4, s14
	s_lshl_b32 s23, s19, 4
	s_mov_b64 s[14:15], 0
	v_mov_b32_e32 v6, s33
	v_mov_b32_e32 v7, v0
.LBB145_2:                              ; =>This Loop Header: Depth=1
                                        ;     Child Loop BB145_3 Depth 2
	s_mov_b64 s[20:21], 0
	v_mov_b32_e32 v2, v7
	v_mov_b32_e32 v8, v5
	s_mov_b32 s24, 0
.LBB145_3:                              ;   Parent Loop BB145_2 Depth=1
                                        ; =>  This Inner Loop Header: Depth=2
	v_ashrrev_i32_e32 v3, 31, v2
	v_lshlrev_b64 v[10:11], 4, v[2:3]
	v_add_co_u32_e32 v10, vcc, s31, v10
	v_addc_co_u32_e32 v11, vcc, v6, v11, vcc
	global_load_dwordx4 v[10:13], v[10:11], off
	s_add_i32 s24, s24, 1
	v_cmp_eq_u32_e32 vcc, s24, v4
	v_add_u32_e32 v2, s30, v2
	s_or_b64 s[20:21], vcc, s[20:21]
	s_waitcnt vmcnt(0)
	ds_write2_b64 v8, v[10:11], v[12:13] offset1:1
	v_add_u32_e32 v8, s22, v8
	s_andn2_b64 exec, exec, s[20:21]
	s_cbranch_execnz .LBB145_3
; %bb.4:                                ;   in Loop: Header=BB145_2 Depth=1
	s_or_b64 exec, exec, s[20:21]
	v_add_u32_e32 v7, s19, v7
	v_cmp_le_i32_e32 vcc, s18, v7
	v_add_u32_e32 v4, s19, v4
	s_or_b64 s[14:15], vcc, s[14:15]
	v_add_u32_e32 v5, s23, v5
	s_andn2_b64 exec, exec, s[14:15]
	s_cbranch_execnz .LBB145_2
.LBB145_5:
	s_or_b64 exec, exec, s[2:3]
	s_cmp_lt_i32 s18, 2
	s_waitcnt lgkmcnt(0)
	s_barrier
	s_cbranch_scc1 .LBB145_29
; %bb.6:
	s_load_dwordx4 s[20:23], s[4:5], 0x10
	s_mul_i32 s2, s7, s13
	s_mul_hi_u32 s3, s7, s12
	s_add_i32 s4, s3, s2
	s_mul_i32 s5, s6, s12
	s_add_i32 s5, s4, s5
	s_mul_i32 s4, s7, s12
	s_waitcnt lgkmcnt(0)
	s_ashr_i32 s3, s22, 31
	s_lshl_b64 s[4:5], s[4:5], 4
	s_mov_b32 s2, s22
	s_add_u32 s22, s10, s4
	s_addc_u32 s34, s11, s5
	s_lshl_b32 s35, s18, 4
	s_add_i32 s36, s35, 0
	s_add_i32 s10, s18, -2
	s_sub_i32 s37, s17, s18
	s_cmpk_lg_i32 s16, 0xb5
	s_mul_i32 s4, s8, s6
	s_mul_hi_u32 s5, s8, s7
	s_cselect_b64 s[12:13], -1, 0
	s_add_i32 s4, s5, s4
	s_mul_i32 s5, s9, s7
	s_add_i32 s5, s4, s5
	s_mul_i32 s4, s8, s7
	s_lshl_b64 s[4:5], s[4:5], 4
	s_lshl_b64 s[2:3], s[2:3], 4
	s_mov_b32 s11, 0
	s_add_u32 s6, s4, s2
	s_addc_u32 s7, s5, s3
	s_lshl_b64 s[2:3], s[10:11], 4
	s_add_u32 s4, s20, s2
	s_addc_u32 s5, s21, s3
	s_add_u32 s4, s4, s6
	v_lshlrev_b32_e32 v4, 4, v0
	s_addc_u32 s5, s5, s7
	v_mov_b32_e32 v2, s5
	v_add_co_u32_e32 v3, vcc, s4, v4
	s_ashr_i32 s5, s23, 31
	s_mov_b32 s4, s23
	s_lshl_b32 s38, s19, 4
	s_lshl_b64 s[8:9], s[4:5], 4
	s_add_u32 s4, s6, s20
	s_addc_u32 s5, s7, s21
	s_add_u32 s40, s4, 8
	s_addc_u32 s41, s5, 0
	;; [unrolled: 2-line block ×3, first 2 shown]
	s_add_i32 s2, s18, -1
	s_mul_i32 s16, s23, s2
	s_add_i32 s2, s35, 16
	v_addc_co_u32_e32 v5, vcc, 0, v2, vcc
	s_mul_i32 s2, s18, s2
	v_add_co_u32_e32 v2, vcc, 16, v3
	s_add_i32 s2, s2, 0
	v_addc_co_u32_e32 v3, vcc, 0, v5, vcc
	s_mov_b32 s39, s11
	s_mul_i32 s14, s23, s10
	v_mul_lo_u32 v12, v0, s23
	s_mul_i32 s44, s23, s19
	v_add3_u32 v13, s2, v4, -16
	s_xor_b32 s45, s35, -16
	s_branch .LBB145_8
.LBB145_7:                              ;   in Loop: Header=BB145_8 Depth=1
	s_or_b64 exec, exec, s[2:3]
	s_add_i32 s2, s10, -1
	s_add_u32 s42, s42, -16
	v_add_co_u32_e32 v2, vcc, -16, v2
	s_addc_u32 s43, s43, -1
	s_sub_i32 s14, s14, s23
	s_sub_i32 s16, s16, s23
	v_addc_co_u32_e32 v3, vcc, -1, v3, vcc
	v_add_u32_e32 v13, s45, v13
	s_cmp_lt_i32 s10, 1
	s_mov_b32 s10, s2
	s_waitcnt lgkmcnt(0)
	s_barrier
	s_cbranch_scc1 .LBB145_29
.LBB145_8:                              ; =>This Loop Header: Depth=1
                                        ;     Child Loop BB145_12 Depth 2
                                        ;       Child Loop BB145_14 Depth 3
                                        ;     Child Loop BB145_20 Depth 2
                                        ;       Child Loop BB145_22 Depth 3
	;; [unrolled: 2-line block ×3, first 2 shown]
	s_lshl_b32 s2, s10, 4
	s_not_b32 s46, s10
	s_add_i32 s47, s36, s2
	s_mul_i32 s2, s10, s18
	s_add_i32 s46, s46, s18
	s_lshl_b32 s2, s2, 4
	s_add_i32 s48, s10, s37
	s_add_i32 s47, s47, s2
	s_mov_b64 s[4:5], -1
	s_and_b64 vcc, exec, s[12:13]
	v_cmp_gt_i32_e64 s[2:3], s46, v0
	s_cbranch_vccz .LBB145_16
; %bb.9:                                ;   in Loop: Header=BB145_8 Depth=1
	s_and_saveexec_b64 s[20:21], s[2:3]
	s_cbranch_execz .LBB145_15
; %bb.10:                               ;   in Loop: Header=BB145_8 Depth=1
	s_cmp_gt_i32 s48, 0
	s_cselect_b64 s[2:3], -1, 0
	s_lshl_b64 s[4:5], s[10:11], 4
	s_add_u32 s4, s22, s4
	s_addc_u32 s5, s34, s5
	s_load_dwordx4 s[4:7], s[4:5], 0x0
	s_add_i32 s15, s47, 16
	s_mov_b64 s[24:25], 0
	v_pk_mov_b32 v[4:5], v[2:3], v[2:3] op_sel:[0,1]
	v_mov_b32_e32 v10, v0
	s_branch .LBB145_12
.LBB145_11:                             ;   in Loop: Header=BB145_12 Depth=2
	v_lshlrev_b32_e32 v11, 4, v10
	v_add_u32_e32 v14, s15, v11
	ds_read2_b64 v[14:17], v14 offset1:1
	s_waitcnt lgkmcnt(0)
	v_mul_f64 v[18:19], v[6:7], s[6:7]
	v_mul_f64 v[20:21], v[8:9], s[6:7]
	v_fma_f64 v[8:9], v[8:9], s[4:5], -v[18:19]
	v_fmac_f64_e32 v[20:21], s[4:5], v[6:7]
	v_add_u32_e32 v10, s19, v10
	v_add_f64 v[6:7], v[14:15], v[8:9]
	v_add_f64 v[8:9], v[20:21], v[16:17]
	v_add_u32_e32 v11, 0, v11
	v_cmp_le_i32_e32 vcc, s46, v10
	ds_write2_b64 v11, v[6:7], v[8:9] offset1:1
	v_mov_b32_e32 v6, s39
	s_or_b64 s[24:25], vcc, s[24:25]
	v_add_co_u32_e32 v4, vcc, s38, v4
	v_addc_co_u32_e32 v5, vcc, v5, v6, vcc
	s_andn2_b64 exec, exec, s[24:25]
	s_cbranch_execz .LBB145_15
.LBB145_12:                             ;   Parent Loop BB145_8 Depth=1
                                        ; =>  This Loop Header: Depth=2
                                        ;       Child Loop BB145_14 Depth 3
	v_pk_mov_b32 v[6:7], 0, 0
	s_andn2_b64 vcc, exec, s[2:3]
	v_pk_mov_b32 v[8:9], v[6:7], v[6:7] op_sel:[0,1]
	s_cbranch_vccnz .LBB145_11
; %bb.13:                               ;   in Loop: Header=BB145_12 Depth=2
	v_pk_mov_b32 v[6:7], 0, 0
	s_mov_b64 s[26:27], 0
	s_mov_b32 s17, 0
	v_pk_mov_b32 v[8:9], v[6:7], v[6:7] op_sel:[0,1]
.LBB145_14:                             ;   Parent Loop BB145_8 Depth=1
                                        ;     Parent Loop BB145_12 Depth=2
                                        ; =>    This Inner Loop Header: Depth=3
	v_mov_b32_e32 v11, s27
	v_add_co_u32_e32 v14, vcc, s26, v4
	v_addc_co_u32_e32 v15, vcc, v5, v11, vcc
	global_load_dwordx4 v[14:17], v[14:15], off
	s_add_u32 s28, s42, s26
	s_addc_u32 s29, s43, s27
	s_add_u32 s28, s28, -8
	s_addc_u32 s29, s29, -1
	s_load_dwordx4 s[52:55], s[28:29], 0x0
	s_add_i32 s17, s17, 1
	s_add_u32 s26, s26, s8
	s_addc_u32 s27, s27, s9
	s_cmp_ge_i32 s17, s48
	s_waitcnt vmcnt(0) lgkmcnt(0)
	v_mul_f64 v[18:19], s[54:55], v[16:17]
	v_mul_f64 v[20:21], s[54:55], v[14:15]
	v_fmac_f64_e32 v[18:19], s[52:53], v[14:15]
	v_fma_f64 v[14:15], s[52:53], v[16:17], -v[20:21]
	v_add_f64 v[8:9], v[8:9], v[18:19]
	v_add_f64 v[6:7], v[6:7], v[14:15]
	s_cbranch_scc0 .LBB145_14
	s_branch .LBB145_11
.LBB145_15:                             ;   in Loop: Header=BB145_8 Depth=1
	s_or_b64 exec, exec, s[20:21]
	s_mov_b64 s[4:5], 0
.LBB145_16:                             ;   in Loop: Header=BB145_8 Depth=1
	s_andn2_b64 vcc, exec, s[4:5]
	s_cbranch_vccnz .LBB145_24
; %bb.17:                               ;   in Loop: Header=BB145_8 Depth=1
	v_cmp_gt_i32_e32 vcc, s46, v0
	s_and_saveexec_b64 s[2:3], vcc
	s_cbranch_execz .LBB145_23
; %bb.18:                               ;   in Loop: Header=BB145_8 Depth=1
	s_ashr_i32 s15, s14, 31
	s_lshl_b64 s[4:5], s[14:15], 4
	s_add_u32 s20, s40, s4
	s_addc_u32 s21, s41, s5
	s_ashr_i32 s17, s16, 31
	s_lshl_b64 s[26:27], s[16:17], 4
	s_cmp_gt_i32 s48, 0
	s_cselect_b64 s[24:25], -1, 0
	s_lshl_b64 s[4:5], s[10:11], 4
	s_add_u32 s4, s22, s4
	s_addc_u32 s5, s34, s5
	s_load_dwordx4 s[4:7], s[4:5], 0x0
	s_add_i32 s15, s47, 16
	s_add_u32 s17, s40, s26
	s_addc_u32 s49, s41, s27
	s_mov_b64 s[26:27], 0
	v_mov_b32_e32 v4, v12
	v_mov_b32_e32 v14, v0
	s_branch .LBB145_20
.LBB145_19:                             ;   in Loop: Header=BB145_20 Depth=2
	v_lshlrev_b32_e32 v5, 4, v14
	v_add_u32_e32 v10, s15, v5
	ds_read2_b64 v[16:19], v10 offset1:1
	s_waitcnt lgkmcnt(0)
	v_mul_f64 v[10:11], v[6:7], s[6:7]
	v_mul_f64 v[20:21], v[8:9], s[6:7]
	v_add_u32_e32 v14, s19, v14
	v_fma_f64 v[8:9], v[8:9], s[4:5], -v[10:11]
	v_fmac_f64_e32 v[20:21], s[4:5], v[6:7]
	v_cmp_le_i32_e32 vcc, s46, v14
	v_add_f64 v[6:7], v[16:17], v[8:9]
	v_add_f64 v[8:9], v[20:21], v[18:19]
	v_add_u32_e32 v5, 0, v5
	s_or_b64 s[26:27], vcc, s[26:27]
	v_add_u32_e32 v4, s44, v4
	ds_write2_b64 v5, v[6:7], v[8:9] offset1:1
	s_andn2_b64 exec, exec, s[26:27]
	s_cbranch_execz .LBB145_23
.LBB145_20:                             ;   Parent Loop BB145_8 Depth=1
                                        ; =>  This Loop Header: Depth=2
                                        ;       Child Loop BB145_22 Depth 3
	v_pk_mov_b32 v[6:7], 0, 0
	s_andn2_b64 vcc, exec, s[24:25]
	v_pk_mov_b32 v[8:9], v[6:7], v[6:7] op_sel:[0,1]
	s_cbranch_vccnz .LBB145_19
; %bb.21:                               ;   in Loop: Header=BB145_20 Depth=2
	v_ashrrev_i32_e32 v5, 31, v4
	v_lshlrev_b64 v[6:7], 4, v[4:5]
	v_mov_b32_e32 v5, s49
	v_add_co_u32_e32 v10, vcc, s17, v6
	v_addc_co_u32_e32 v11, vcc, v5, v7, vcc
	v_pk_mov_b32 v[6:7], 0, 0
	s_mov_b32 s50, 0
	s_mov_b64 s[28:29], s[20:21]
	v_pk_mov_b32 v[8:9], v[6:7], v[6:7] op_sel:[0,1]
.LBB145_22:                             ;   Parent Loop BB145_8 Depth=1
                                        ;     Parent Loop BB145_20 Depth=2
                                        ; =>    This Inner Loop Header: Depth=3
	global_load_dwordx4 v[16:19], v[10:11], off offset:-8
	s_add_u32 s52, s28, -8
	s_addc_u32 s53, s29, -1
	s_load_dwordx4 s[52:55], s[52:53], 0x0
	s_add_i32 s50, s50, 1
	s_add_u32 s28, s28, 16
	v_add_co_u32_e32 v10, vcc, 16, v10
	s_addc_u32 s29, s29, 0
	v_addc_co_u32_e32 v11, vcc, 0, v11, vcc
	s_cmp_ge_i32 s50, s48
	s_waitcnt vmcnt(0) lgkmcnt(0)
	v_mul_f64 v[20:21], v[18:19], s[54:55]
	v_mul_f64 v[18:19], v[18:19], s[52:53]
	v_fmac_f64_e32 v[20:21], s[52:53], v[16:17]
	v_fma_f64 v[16:17], v[16:17], s[54:55], -v[18:19]
	v_add_f64 v[8:9], v[8:9], v[20:21]
	v_add_f64 v[6:7], v[6:7], v[16:17]
	s_cbranch_scc0 .LBB145_22
	s_branch .LBB145_19
.LBB145_23:                             ;   in Loop: Header=BB145_8 Depth=1
	s_or_b64 exec, exec, s[2:3]
.LBB145_24:                             ;   in Loop: Header=BB145_8 Depth=1
	v_cmp_gt_i32_e32 vcc, s46, v0
	s_waitcnt lgkmcnt(0)
	s_barrier
	s_and_saveexec_b64 s[2:3], vcc
	s_cbranch_execz .LBB145_7
; %bb.25:                               ;   in Loop: Header=BB145_8 Depth=1
	s_add_i32 s47, s47, 16
	s_mov_b64 s[4:5], 0
	v_mov_b32_e32 v8, v13
	v_mov_b32_e32 v9, v0
.LBB145_26:                             ;   Parent Loop BB145_8 Depth=1
                                        ; =>  This Loop Header: Depth=2
                                        ;       Child Loop BB145_27 Depth 3
	v_pk_mov_b32 v[4:5], 0, 0
	s_mov_b32 s15, -1
	s_mov_b32 s17, 0
	s_mov_b64 s[6:7], 0
	v_mov_b32_e32 v10, v8
	v_pk_mov_b32 v[6:7], v[4:5], v[4:5] op_sel:[0,1]
.LBB145_27:                             ;   Parent Loop BB145_8 Depth=1
                                        ;     Parent Loop BB145_26 Depth=2
                                        ; =>    This Inner Loop Header: Depth=3
	v_mov_b32_e32 v11, s17
	ds_read2_b64 v[14:17], v10 offset1:1
	ds_read2_b64 v[18:21], v11 offset1:1
	s_add_i32 s15, s15, 1
	s_add_i32 s17, s17, 16
	v_cmp_eq_u32_e32 vcc, s15, v9
	v_add_u32_e32 v10, s35, v10
	s_waitcnt lgkmcnt(0)
	v_mul_f64 v[22:23], v[20:21], v[16:17]
	v_mul_f64 v[16:17], v[18:19], v[16:17]
	v_fma_f64 v[18:19], v[18:19], v[14:15], -v[22:23]
	v_fmac_f64_e32 v[16:17], v[20:21], v[14:15]
	s_or_b64 s[6:7], vcc, s[6:7]
	v_add_f64 v[4:5], v[4:5], v[18:19]
	v_add_f64 v[6:7], v[6:7], v[16:17]
	s_andn2_b64 exec, exec, s[6:7]
	s_cbranch_execnz .LBB145_27
; %bb.28:                               ;   in Loop: Header=BB145_26 Depth=2
	s_or_b64 exec, exec, s[6:7]
	v_lshl_add_u32 v10, v9, 4, s47
	v_add_u32_e32 v9, s19, v9
	v_cmp_le_i32_e32 vcc, s46, v9
	s_or_b64 s[4:5], vcc, s[4:5]
	v_add_u32_e32 v8, s38, v8
	ds_write2_b64 v10, v[4:5], v[6:7] offset1:1
	s_andn2_b64 exec, exec, s[4:5]
	s_cbranch_execnz .LBB145_26
	s_branch .LBB145_7
.LBB145_29:
	s_and_saveexec_b64 s[2:3], s[0:1]
	s_cbranch_execz .LBB145_34
; %bb.30:
	s_lshl_b32 s6, s18, 4
	s_add_i32 s0, s6, 0
	v_lshl_add_u32 v4, v0, 4, s0
	s_lshl_b32 s7, s19, 4
	s_mov_b64 s[2:3], 0
	v_mov_b32_e32 v5, s33
.LBB145_31:                             ; =>This Loop Header: Depth=1
                                        ;     Child Loop BB145_32 Depth 2
	s_mov_b64 s[4:5], 0
	v_mov_b32_e32 v6, v4
	v_mov_b32_e32 v2, v0
	s_mov_b32 s8, 0
.LBB145_32:                             ;   Parent Loop BB145_31 Depth=1
                                        ; =>  This Inner Loop Header: Depth=2
	ds_read2_b64 v[8:11], v6 offset1:1
	v_ashrrev_i32_e32 v3, 31, v2
	s_add_i32 s8, s8, 1
	v_lshlrev_b64 v[12:13], 4, v[2:3]
	v_cmp_eq_u32_e32 vcc, s8, v1
	v_add_co_u32_e64 v12, s[0:1], s31, v12
	v_add_u32_e32 v6, s6, v6
	v_add_u32_e32 v2, s30, v2
	v_addc_co_u32_e64 v13, s[0:1], v5, v13, s[0:1]
	s_or_b64 s[4:5], vcc, s[4:5]
	s_waitcnt lgkmcnt(0)
	global_store_dwordx4 v[12:13], v[8:11], off
	s_andn2_b64 exec, exec, s[4:5]
	s_cbranch_execnz .LBB145_32
; %bb.33:                               ;   in Loop: Header=BB145_31 Depth=1
	s_or_b64 exec, exec, s[4:5]
	v_add_u32_e32 v0, s19, v0
	v_cmp_le_i32_e32 vcc, s18, v0
	v_add_u32_e32 v1, s19, v1
	s_or_b64 s[2:3], vcc, s[2:3]
	v_add_u32_e32 v4, s7, v4
	s_andn2_b64 exec, exec, s[2:3]
	s_cbranch_execnz .LBB145_31
.LBB145_34:
	s_endpgm
	.section	.rodata,"a",@progbits
	.p2align	6, 0x0
	.amdhsa_kernel _ZN9rocsolver6v33100L21larft_kernel_backwardI19rocblas_complex_numIdEPS3_EEv15rocblas_storev_iiT0_iilPT_lS8_il
		.amdhsa_group_segment_fixed_size 0
		.amdhsa_private_segment_fixed_size 0
		.amdhsa_kernarg_size 336
		.amdhsa_user_sgpr_count 6
		.amdhsa_user_sgpr_private_segment_buffer 1
		.amdhsa_user_sgpr_dispatch_ptr 0
		.amdhsa_user_sgpr_queue_ptr 0
		.amdhsa_user_sgpr_kernarg_segment_ptr 1
		.amdhsa_user_sgpr_dispatch_id 0
		.amdhsa_user_sgpr_flat_scratch_init 0
		.amdhsa_user_sgpr_kernarg_preload_length 0
		.amdhsa_user_sgpr_kernarg_preload_offset 0
		.amdhsa_user_sgpr_private_segment_size 0
		.amdhsa_uses_dynamic_stack 0
		.amdhsa_system_sgpr_private_segment_wavefront_offset 0
		.amdhsa_system_sgpr_workgroup_id_x 1
		.amdhsa_system_sgpr_workgroup_id_y 1
		.amdhsa_system_sgpr_workgroup_id_z 0
		.amdhsa_system_sgpr_workgroup_info 0
		.amdhsa_system_vgpr_workitem_id 0
		.amdhsa_next_free_vgpr 24
		.amdhsa_next_free_sgpr 56
		.amdhsa_accum_offset 24
		.amdhsa_reserve_vcc 1
		.amdhsa_reserve_flat_scratch 0
		.amdhsa_float_round_mode_32 0
		.amdhsa_float_round_mode_16_64 0
		.amdhsa_float_denorm_mode_32 3
		.amdhsa_float_denorm_mode_16_64 3
		.amdhsa_dx10_clamp 1
		.amdhsa_ieee_mode 1
		.amdhsa_fp16_overflow 0
		.amdhsa_tg_split 0
		.amdhsa_exception_fp_ieee_invalid_op 0
		.amdhsa_exception_fp_denorm_src 0
		.amdhsa_exception_fp_ieee_div_zero 0
		.amdhsa_exception_fp_ieee_overflow 0
		.amdhsa_exception_fp_ieee_underflow 0
		.amdhsa_exception_fp_ieee_inexact 0
		.amdhsa_exception_int_div_zero 0
	.end_amdhsa_kernel
	.section	.text._ZN9rocsolver6v33100L21larft_kernel_backwardI19rocblas_complex_numIdEPS3_EEv15rocblas_storev_iiT0_iilPT_lS8_il,"axG",@progbits,_ZN9rocsolver6v33100L21larft_kernel_backwardI19rocblas_complex_numIdEPS3_EEv15rocblas_storev_iiT0_iilPT_lS8_il,comdat
.Lfunc_end145:
	.size	_ZN9rocsolver6v33100L21larft_kernel_backwardI19rocblas_complex_numIdEPS3_EEv15rocblas_storev_iiT0_iilPT_lS8_il, .Lfunc_end145-_ZN9rocsolver6v33100L21larft_kernel_backwardI19rocblas_complex_numIdEPS3_EEv15rocblas_storev_iiT0_iilPT_lS8_il
                                        ; -- End function
	.section	.AMDGPU.csdata,"",@progbits
; Kernel info:
; codeLenInByte = 1752
; NumSgprs: 60
; NumVgprs: 24
; NumAgprs: 0
; TotalNumVgprs: 24
; ScratchSize: 0
; MemoryBound: 0
; FloatMode: 240
; IeeeMode: 1
; LDSByteSize: 0 bytes/workgroup (compile time only)
; SGPRBlocks: 7
; VGPRBlocks: 2
; NumSGPRsForWavesPerEU: 60
; NumVGPRsForWavesPerEU: 24
; AccumOffset: 24
; Occupancy: 8
; WaveLimiterHint : 0
; COMPUTE_PGM_RSRC2:SCRATCH_EN: 0
; COMPUTE_PGM_RSRC2:USER_SGPR: 6
; COMPUTE_PGM_RSRC2:TRAP_HANDLER: 0
; COMPUTE_PGM_RSRC2:TGID_X_EN: 1
; COMPUTE_PGM_RSRC2:TGID_Y_EN: 1
; COMPUTE_PGM_RSRC2:TGID_Z_EN: 0
; COMPUTE_PGM_RSRC2:TIDIG_COMP_CNT: 0
; COMPUTE_PGM_RSRC3_GFX90A:ACCUM_OFFSET: 5
; COMPUTE_PGM_RSRC3_GFX90A:TG_SPLIT: 0
	.section	.text._ZN9rocsolver6v33100L9copymatA1I19rocblas_complex_numIdEPS3_EEviiT0_iilPT_,"axG",@progbits,_ZN9rocsolver6v33100L9copymatA1I19rocblas_complex_numIdEPS3_EEviiT0_iilPT_,comdat
	.globl	_ZN9rocsolver6v33100L9copymatA1I19rocblas_complex_numIdEPS3_EEviiT0_iilPT_ ; -- Begin function _ZN9rocsolver6v33100L9copymatA1I19rocblas_complex_numIdEPS3_EEviiT0_iilPT_
	.p2align	8
	.type	_ZN9rocsolver6v33100L9copymatA1I19rocblas_complex_numIdEPS3_EEviiT0_iilPT_,@function
_ZN9rocsolver6v33100L9copymatA1I19rocblas_complex_numIdEPS3_EEviiT0_iilPT_: ; @_ZN9rocsolver6v33100L9copymatA1I19rocblas_complex_numIdEPS3_EEviiT0_iilPT_
; %bb.0:
	s_load_dword s0, s[4:5], 0x34
	s_load_dwordx2 s[2:3], s[4:5], 0x0
	v_and_b32_e32 v1, 0x3ff, v0
	v_bfe_u32 v0, v0, 10, 10
	s_waitcnt lgkmcnt(0)
	s_lshr_b32 s1, s0, 16
	s_and_b32 s0, s0, 0xffff
	s_mul_i32 s6, s6, s0
	s_mul_i32 s7, s7, s1
	v_add_u32_e32 v1, s6, v1
	v_add_u32_e32 v0, s7, v0
	v_cmp_gt_u32_e32 vcc, s2, v0
	v_cmp_gt_u32_e64 s[0:1], s3, v1
	s_and_b64 s[0:1], s[0:1], vcc
	s_and_saveexec_b64 s[6:7], s[0:1]
	s_cbranch_execz .LBB146_2
; %bb.1:
	s_ashr_i32 s0, s2, 31
	s_load_dwordx8 s[12:19], s[4:5], 0x8
	s_mul_hi_u32 s4, s2, s8
	s_mul_i32 s0, s0, s8
	s_ashr_i32 s1, s3, 31
	s_add_i32 s0, s4, s0
	s_mul_i32 s4, s2, s8
	s_mul_i32 s1, s4, s1
	s_mul_hi_u32 s5, s4, s3
	s_add_i32 s1, s5, s1
	s_mul_i32 s0, s0, s3
	s_add_i32 s1, s1, s0
	s_mul_i32 s0, s4, s3
	s_lshl_b64 s[0:1], s[0:1], 4
	s_waitcnt lgkmcnt(0)
	s_add_u32 s3, s18, s0
	s_mul_i32 s4, s8, s17
	s_mul_hi_u32 s5, s8, s16
	s_addc_u32 s6, s19, s1
	s_add_i32 s5, s5, s4
	s_mul_i32 s4, s8, s16
	s_ashr_i32 s1, s14, 31
	s_lshl_b64 s[4:5], s[4:5], 4
	s_mov_b32 s0, s14
	s_add_u32 s4, s12, s4
	s_addc_u32 s5, s13, s5
	s_lshl_b64 s[0:1], s[0:1], 4
	s_add_u32 s4, s4, s0
	s_addc_u32 s5, s5, s1
	v_mad_u64_u32 v[6:7], s[0:1], v1, s15, v[0:1]
	v_mov_b32_e32 v7, 0
	v_lshlrev_b64 v[2:3], 4, v[6:7]
	v_mov_b32_e32 v4, s5
	v_add_co_u32_e32 v2, vcc, s4, v2
	v_addc_co_u32_e32 v3, vcc, v4, v3, vcc
	global_load_dwordx4 v[2:5], v[2:3], off
	v_mad_u64_u32 v[0:1], s[0:1], v1, s2, v[0:1]
	v_mov_b32_e32 v1, v7
	v_lshlrev_b64 v[0:1], 4, v[0:1]
	v_mov_b32_e32 v6, s6
	v_add_co_u32_e32 v0, vcc, s3, v0
	v_addc_co_u32_e32 v1, vcc, v6, v1, vcc
	s_waitcnt vmcnt(0)
	global_store_dwordx4 v[0:1], v[2:5], off
.LBB146_2:
	s_endpgm
	.section	.rodata,"a",@progbits
	.p2align	6, 0x0
	.amdhsa_kernel _ZN9rocsolver6v33100L9copymatA1I19rocblas_complex_numIdEPS3_EEviiT0_iilPT_
		.amdhsa_group_segment_fixed_size 0
		.amdhsa_private_segment_fixed_size 0
		.amdhsa_kernarg_size 296
		.amdhsa_user_sgpr_count 6
		.amdhsa_user_sgpr_private_segment_buffer 1
		.amdhsa_user_sgpr_dispatch_ptr 0
		.amdhsa_user_sgpr_queue_ptr 0
		.amdhsa_user_sgpr_kernarg_segment_ptr 1
		.amdhsa_user_sgpr_dispatch_id 0
		.amdhsa_user_sgpr_flat_scratch_init 0
		.amdhsa_user_sgpr_kernarg_preload_length 0
		.amdhsa_user_sgpr_kernarg_preload_offset 0
		.amdhsa_user_sgpr_private_segment_size 0
		.amdhsa_uses_dynamic_stack 0
		.amdhsa_system_sgpr_private_segment_wavefront_offset 0
		.amdhsa_system_sgpr_workgroup_id_x 1
		.amdhsa_system_sgpr_workgroup_id_y 1
		.amdhsa_system_sgpr_workgroup_id_z 1
		.amdhsa_system_sgpr_workgroup_info 0
		.amdhsa_system_vgpr_workitem_id 1
		.amdhsa_next_free_vgpr 8
		.amdhsa_next_free_sgpr 20
		.amdhsa_accum_offset 8
		.amdhsa_reserve_vcc 1
		.amdhsa_reserve_flat_scratch 0
		.amdhsa_float_round_mode_32 0
		.amdhsa_float_round_mode_16_64 0
		.amdhsa_float_denorm_mode_32 3
		.amdhsa_float_denorm_mode_16_64 3
		.amdhsa_dx10_clamp 1
		.amdhsa_ieee_mode 1
		.amdhsa_fp16_overflow 0
		.amdhsa_tg_split 0
		.amdhsa_exception_fp_ieee_invalid_op 0
		.amdhsa_exception_fp_denorm_src 0
		.amdhsa_exception_fp_ieee_div_zero 0
		.amdhsa_exception_fp_ieee_overflow 0
		.amdhsa_exception_fp_ieee_underflow 0
		.amdhsa_exception_fp_ieee_inexact 0
		.amdhsa_exception_int_div_zero 0
	.end_amdhsa_kernel
	.section	.text._ZN9rocsolver6v33100L9copymatA1I19rocblas_complex_numIdEPS3_EEviiT0_iilPT_,"axG",@progbits,_ZN9rocsolver6v33100L9copymatA1I19rocblas_complex_numIdEPS3_EEviiT0_iilPT_,comdat
.Lfunc_end146:
	.size	_ZN9rocsolver6v33100L9copymatA1I19rocblas_complex_numIdEPS3_EEviiT0_iilPT_, .Lfunc_end146-_ZN9rocsolver6v33100L9copymatA1I19rocblas_complex_numIdEPS3_EEviiT0_iilPT_
                                        ; -- End function
	.section	.AMDGPU.csdata,"",@progbits
; Kernel info:
; codeLenInByte = 296
; NumSgprs: 24
; NumVgprs: 8
; NumAgprs: 0
; TotalNumVgprs: 8
; ScratchSize: 0
; MemoryBound: 0
; FloatMode: 240
; IeeeMode: 1
; LDSByteSize: 0 bytes/workgroup (compile time only)
; SGPRBlocks: 2
; VGPRBlocks: 0
; NumSGPRsForWavesPerEU: 24
; NumVGPRsForWavesPerEU: 8
; AccumOffset: 8
; Occupancy: 8
; WaveLimiterHint : 0
; COMPUTE_PGM_RSRC2:SCRATCH_EN: 0
; COMPUTE_PGM_RSRC2:USER_SGPR: 6
; COMPUTE_PGM_RSRC2:TRAP_HANDLER: 0
; COMPUTE_PGM_RSRC2:TGID_X_EN: 1
; COMPUTE_PGM_RSRC2:TGID_Y_EN: 1
; COMPUTE_PGM_RSRC2:TGID_Z_EN: 1
; COMPUTE_PGM_RSRC2:TIDIG_COMP_CNT: 1
; COMPUTE_PGM_RSRC3_GFX90A:ACCUM_OFFSET: 1
; COMPUTE_PGM_RSRC3_GFX90A:TG_SPLIT: 0
	.section	.text._ZN9rocsolver6v33100L8addmatA1I19rocblas_complex_numIdEPS3_EEviiT0_iilPT_,"axG",@progbits,_ZN9rocsolver6v33100L8addmatA1I19rocblas_complex_numIdEPS3_EEviiT0_iilPT_,comdat
	.globl	_ZN9rocsolver6v33100L8addmatA1I19rocblas_complex_numIdEPS3_EEviiT0_iilPT_ ; -- Begin function _ZN9rocsolver6v33100L8addmatA1I19rocblas_complex_numIdEPS3_EEviiT0_iilPT_
	.p2align	8
	.type	_ZN9rocsolver6v33100L8addmatA1I19rocblas_complex_numIdEPS3_EEviiT0_iilPT_,@function
_ZN9rocsolver6v33100L8addmatA1I19rocblas_complex_numIdEPS3_EEviiT0_iilPT_: ; @_ZN9rocsolver6v33100L8addmatA1I19rocblas_complex_numIdEPS3_EEviiT0_iilPT_
; %bb.0:
	s_load_dword s0, s[4:5], 0x34
	s_load_dwordx2 s[10:11], s[4:5], 0x0
	v_and_b32_e32 v1, 0x3ff, v0
	v_bfe_u32 v0, v0, 10, 10
	s_waitcnt lgkmcnt(0)
	s_lshr_b32 s1, s0, 16
	s_and_b32 s0, s0, 0xffff
	s_mul_i32 s6, s6, s0
	s_mul_i32 s7, s7, s1
	v_add_u32_e32 v1, s6, v1
	v_add_u32_e32 v0, s7, v0
	v_cmp_gt_u32_e32 vcc, s10, v0
	v_cmp_gt_u32_e64 s[0:1], s11, v1
	s_and_b64 s[0:1], s[0:1], vcc
	s_and_saveexec_b64 s[2:3], s[0:1]
	s_cbranch_execz .LBB147_2
; %bb.1:
	s_ashr_i32 s9, s10, 31
	s_load_dwordx8 s[0:7], s[4:5], 0x8
	s_ashr_i32 s12, s11, 31
	s_mul_hi_u32 s13, s10, s8
	s_mul_i32 s9, s9, s8
	s_mul_i32 s14, s10, s8
	s_add_i32 s9, s13, s9
	s_mul_i32 s12, s14, s12
	s_mul_hi_u32 s13, s14, s11
	s_add_i32 s12, s13, s12
	s_mul_i32 s9, s9, s11
	s_add_i32 s13, s12, s9
	s_mul_i32 s12, s14, s11
	s_lshl_b64 s[12:13], s[12:13], 4
	s_waitcnt lgkmcnt(0)
	s_add_u32 s9, s6, s12
	s_addc_u32 s11, s7, s13
	s_ashr_i32 s7, s2, 31
	s_mov_b32 s6, s2
	s_mul_i32 s2, s8, s5
	s_mul_hi_u32 s5, s8, s4
	s_add_i32 s5, s5, s2
	s_mul_i32 s4, s8, s4
	s_lshl_b64 s[4:5], s[4:5], 4
	s_add_u32 s2, s0, s4
	s_addc_u32 s4, s1, s5
	s_lshl_b64 s[0:1], s[6:7], 4
	s_add_u32 s2, s2, s0
	s_addc_u32 s4, s4, s1
	v_mad_u64_u32 v[2:3], s[0:1], v1, s10, v[0:1]
	v_mov_b32_e32 v3, 0
	v_lshlrev_b64 v[4:5], 4, v[2:3]
	v_mad_u64_u32 v[0:1], s[0:1], v1, s3, v[0:1]
	v_mov_b32_e32 v2, s11
	v_add_co_u32_e32 v8, vcc, s9, v4
	v_mov_b32_e32 v1, v3
	v_addc_co_u32_e32 v9, vcc, v2, v5, vcc
	v_lshlrev_b64 v[0:1], 4, v[0:1]
	v_mov_b32_e32 v2, s4
	v_add_co_u32_e32 v10, vcc, s2, v0
	v_addc_co_u32_e32 v11, vcc, v2, v1, vcc
	global_load_dwordx4 v[0:3], v[8:9], off
	global_load_dwordx4 v[4:7], v[10:11], off
	s_waitcnt vmcnt(0)
	v_add_f64 v[0:1], v[4:5], -v[0:1]
	v_add_f64 v[2:3], v[6:7], -v[2:3]
	global_store_dwordx4 v[10:11], v[0:3], off
.LBB147_2:
	s_endpgm
	.section	.rodata,"a",@progbits
	.p2align	6, 0x0
	.amdhsa_kernel _ZN9rocsolver6v33100L8addmatA1I19rocblas_complex_numIdEPS3_EEviiT0_iilPT_
		.amdhsa_group_segment_fixed_size 0
		.amdhsa_private_segment_fixed_size 0
		.amdhsa_kernarg_size 296
		.amdhsa_user_sgpr_count 6
		.amdhsa_user_sgpr_private_segment_buffer 1
		.amdhsa_user_sgpr_dispatch_ptr 0
		.amdhsa_user_sgpr_queue_ptr 0
		.amdhsa_user_sgpr_kernarg_segment_ptr 1
		.amdhsa_user_sgpr_dispatch_id 0
		.amdhsa_user_sgpr_flat_scratch_init 0
		.amdhsa_user_sgpr_kernarg_preload_length 0
		.amdhsa_user_sgpr_kernarg_preload_offset 0
		.amdhsa_user_sgpr_private_segment_size 0
		.amdhsa_uses_dynamic_stack 0
		.amdhsa_system_sgpr_private_segment_wavefront_offset 0
		.amdhsa_system_sgpr_workgroup_id_x 1
		.amdhsa_system_sgpr_workgroup_id_y 1
		.amdhsa_system_sgpr_workgroup_id_z 1
		.amdhsa_system_sgpr_workgroup_info 0
		.amdhsa_system_vgpr_workitem_id 1
		.amdhsa_next_free_vgpr 12
		.amdhsa_next_free_sgpr 15
		.amdhsa_accum_offset 12
		.amdhsa_reserve_vcc 1
		.amdhsa_reserve_flat_scratch 0
		.amdhsa_float_round_mode_32 0
		.amdhsa_float_round_mode_16_64 0
		.amdhsa_float_denorm_mode_32 3
		.amdhsa_float_denorm_mode_16_64 3
		.amdhsa_dx10_clamp 1
		.amdhsa_ieee_mode 1
		.amdhsa_fp16_overflow 0
		.amdhsa_tg_split 0
		.amdhsa_exception_fp_ieee_invalid_op 0
		.amdhsa_exception_fp_denorm_src 0
		.amdhsa_exception_fp_ieee_div_zero 0
		.amdhsa_exception_fp_ieee_overflow 0
		.amdhsa_exception_fp_ieee_underflow 0
		.amdhsa_exception_fp_ieee_inexact 0
		.amdhsa_exception_int_div_zero 0
	.end_amdhsa_kernel
	.section	.text._ZN9rocsolver6v33100L8addmatA1I19rocblas_complex_numIdEPS3_EEviiT0_iilPT_,"axG",@progbits,_ZN9rocsolver6v33100L8addmatA1I19rocblas_complex_numIdEPS3_EEviiT0_iilPT_,comdat
.Lfunc_end147:
	.size	_ZN9rocsolver6v33100L8addmatA1I19rocblas_complex_numIdEPS3_EEviiT0_iilPT_, .Lfunc_end147-_ZN9rocsolver6v33100L8addmatA1I19rocblas_complex_numIdEPS3_EEviiT0_iilPT_
                                        ; -- End function
	.section	.AMDGPU.csdata,"",@progbits
; Kernel info:
; codeLenInByte = 320
; NumSgprs: 19
; NumVgprs: 12
; NumAgprs: 0
; TotalNumVgprs: 12
; ScratchSize: 0
; MemoryBound: 0
; FloatMode: 240
; IeeeMode: 1
; LDSByteSize: 0 bytes/workgroup (compile time only)
; SGPRBlocks: 2
; VGPRBlocks: 1
; NumSGPRsForWavesPerEU: 19
; NumVGPRsForWavesPerEU: 12
; AccumOffset: 12
; Occupancy: 8
; WaveLimiterHint : 0
; COMPUTE_PGM_RSRC2:SCRATCH_EN: 0
; COMPUTE_PGM_RSRC2:USER_SGPR: 6
; COMPUTE_PGM_RSRC2:TRAP_HANDLER: 0
; COMPUTE_PGM_RSRC2:TGID_X_EN: 1
; COMPUTE_PGM_RSRC2:TGID_Y_EN: 1
; COMPUTE_PGM_RSRC2:TGID_Z_EN: 1
; COMPUTE_PGM_RSRC2:TIDIG_COMP_CNT: 1
; COMPUTE_PGM_RSRC3_GFX90A:ACCUM_OFFSET: 2
; COMPUTE_PGM_RSRC3_GFX90A:TG_SPLIT: 0
	.section	.text._ZN9rocsolver6v33100L15gesvdj_finalizeI19rocblas_complex_numIdEdEEviPT0_lPT_ilS7_il,"axG",@progbits,_ZN9rocsolver6v33100L15gesvdj_finalizeI19rocblas_complex_numIdEdEEviPT0_lPT_ilS7_il,comdat
	.globl	_ZN9rocsolver6v33100L15gesvdj_finalizeI19rocblas_complex_numIdEdEEviPT0_lPT_ilS7_il ; -- Begin function _ZN9rocsolver6v33100L15gesvdj_finalizeI19rocblas_complex_numIdEdEEviPT0_lPT_ilS7_il
	.p2align	8
	.type	_ZN9rocsolver6v33100L15gesvdj_finalizeI19rocblas_complex_numIdEdEEviPT0_lPT_ilS7_il,@function
_ZN9rocsolver6v33100L15gesvdj_finalizeI19rocblas_complex_numIdEdEEviPT0_lPT_ilS7_il: ; @_ZN9rocsolver6v33100L15gesvdj_finalizeI19rocblas_complex_numIdEdEEviPT0_lPT_ilS7_il
; %bb.0:
	s_load_dword s0, s[4:5], 0x54
	s_load_dword s8, s[4:5], 0x0
	s_mov_b32 s2, 0
	s_waitcnt lgkmcnt(0)
	s_and_b32 s0, s0, 0xffff
	s_mul_i32 s6, s6, s0
	v_add_u32_e32 v0, s6, v0
	v_max_i32_e32 v1, 0, v0
	v_cmp_gt_i32_e32 vcc, s8, v1
	s_and_saveexec_b64 s[0:1], vcc
	s_cbranch_execz .LBB148_7
; %bb.1:
	s_load_dwordx4 s[12:15], s[4:5], 0x8
	s_load_dwordx2 s[0:1], s[4:5], 0x18
	s_load_dword s3, s[4:5], 0x20
	s_load_dwordx4 s[16:19], s[4:5], 0x28
	s_load_dword s9, s[4:5], 0x38
	s_load_dwordx2 s[20:21], s[4:5], 0x40
	s_ashr_i32 s6, s7, 31
	s_waitcnt lgkmcnt(0)
	s_mul_i32 s4, s7, s15
	s_mul_hi_u32 s5, s7, s14
	s_add_i32 s4, s5, s4
	s_mul_i32 s5, s6, s14
	s_add_i32 s5, s4, s5
	s_mul_i32 s4, s7, s14
	s_lshl_b64 s[4:5], s[4:5], 3
	s_add_u32 s4, s12, s4
	s_mul_i32 s10, s7, s17
	s_mul_hi_u32 s11, s7, s16
	s_addc_u32 s5, s13, s5
	s_add_i32 s10, s11, s10
	s_mul_i32 s11, s6, s16
	s_add_i32 s11, s10, s11
	s_mul_i32 s10, s7, s16
	s_lshl_b64 s[10:11], s[10:11], 4
	s_add_u32 s10, s0, s10
	s_addc_u32 s11, s1, s11
	s_mul_i32 s0, s7, s21
	s_mul_hi_u32 s1, s7, s20
	s_add_i32 s0, s1, s0
	s_mul_i32 s6, s6, s20
	s_add_i32 s1, s0, s6
	s_mul_i32 s0, s7, s20
	s_lshl_b64 s[0:1], s[0:1], 4
	s_add_u32 s12, s18, s0
	s_addc_u32 s13, s19, s1
	s_add_i32 s14, s3, 1
	v_cmp_eq_u32_e64 s[0:1], 0, v0
	v_mov_b32_e32 v4, 0
	s_branch .LBB148_3
.LBB148_2:                              ;   in Loop: Header=BB148_3 Depth=1
	s_add_i32 s8, s8, -1
	s_add_i32 s2, s2, s14
	s_add_u32 s4, s4, 8
	s_addc_u32 s5, s5, 0
	s_cmp_lg_u32 s8, 0
	v_add_u32_e32 v0, s9, v0
	s_cbranch_scc0 .LBB148_7
.LBB148_3:                              ; =>This Inner Loop Header: Depth=1
	s_ashr_i32 s3, s2, 31
	s_lshl_b64 s[6:7], s[2:3], 4
	s_add_u32 s6, s10, s6
	s_addc_u32 s7, s11, s7
	global_load_dwordx2 v[2:3], v4, s[6:7]
	s_and_saveexec_b64 s[6:7], s[0:1]
	s_cbranch_execz .LBB148_5
; %bb.4:                                ;   in Loop: Header=BB148_3 Depth=1
	s_waitcnt vmcnt(0)
	v_and_b32_e32 v7, 0x7fffffff, v3
	v_mov_b32_e32 v6, v2
	global_store_dwordx2 v4, v[6:7], s[4:5]
.LBB148_5:                              ;   in Loop: Header=BB148_3 Depth=1
	s_or_b64 exec, exec, s[6:7]
	s_waitcnt vmcnt(0)
	v_cmp_ngt_f64_e32 vcc, 0, v[2:3]
	s_cbranch_vccnz .LBB148_2
; %bb.6:                                ;   in Loop: Header=BB148_3 Depth=1
	v_ashrrev_i32_e32 v1, 31, v0
	v_lshlrev_b64 v[2:3], 4, v[0:1]
	v_mov_b32_e32 v1, s13
	v_add_co_u32_e32 v2, vcc, s12, v2
	v_addc_co_u32_e32 v3, vcc, v1, v3, vcc
	global_load_dwordx4 v[6:9], v[2:3], off
	s_waitcnt vmcnt(0)
	v_xor_b32_e32 v7, 0x80000000, v7
	v_xor_b32_e32 v9, 0x80000000, v9
	global_store_dwordx4 v[2:3], v[6:9], off
	s_branch .LBB148_2
.LBB148_7:
	s_endpgm
	.section	.rodata,"a",@progbits
	.p2align	6, 0x0
	.amdhsa_kernel _ZN9rocsolver6v33100L15gesvdj_finalizeI19rocblas_complex_numIdEdEEviPT0_lPT_ilS7_il
		.amdhsa_group_segment_fixed_size 0
		.amdhsa_private_segment_fixed_size 0
		.amdhsa_kernarg_size 328
		.amdhsa_user_sgpr_count 6
		.amdhsa_user_sgpr_private_segment_buffer 1
		.amdhsa_user_sgpr_dispatch_ptr 0
		.amdhsa_user_sgpr_queue_ptr 0
		.amdhsa_user_sgpr_kernarg_segment_ptr 1
		.amdhsa_user_sgpr_dispatch_id 0
		.amdhsa_user_sgpr_flat_scratch_init 0
		.amdhsa_user_sgpr_kernarg_preload_length 0
		.amdhsa_user_sgpr_kernarg_preload_offset 0
		.amdhsa_user_sgpr_private_segment_size 0
		.amdhsa_uses_dynamic_stack 0
		.amdhsa_system_sgpr_private_segment_wavefront_offset 0
		.amdhsa_system_sgpr_workgroup_id_x 1
		.amdhsa_system_sgpr_workgroup_id_y 1
		.amdhsa_system_sgpr_workgroup_id_z 0
		.amdhsa_system_sgpr_workgroup_info 0
		.amdhsa_system_vgpr_workitem_id 0
		.amdhsa_next_free_vgpr 10
		.amdhsa_next_free_sgpr 22
		.amdhsa_accum_offset 12
		.amdhsa_reserve_vcc 1
		.amdhsa_reserve_flat_scratch 0
		.amdhsa_float_round_mode_32 0
		.amdhsa_float_round_mode_16_64 0
		.amdhsa_float_denorm_mode_32 3
		.amdhsa_float_denorm_mode_16_64 3
		.amdhsa_dx10_clamp 1
		.amdhsa_ieee_mode 1
		.amdhsa_fp16_overflow 0
		.amdhsa_tg_split 0
		.amdhsa_exception_fp_ieee_invalid_op 0
		.amdhsa_exception_fp_denorm_src 0
		.amdhsa_exception_fp_ieee_div_zero 0
		.amdhsa_exception_fp_ieee_overflow 0
		.amdhsa_exception_fp_ieee_underflow 0
		.amdhsa_exception_fp_ieee_inexact 0
		.amdhsa_exception_int_div_zero 0
	.end_amdhsa_kernel
	.section	.text._ZN9rocsolver6v33100L15gesvdj_finalizeI19rocblas_complex_numIdEdEEviPT0_lPT_ilS7_il,"axG",@progbits,_ZN9rocsolver6v33100L15gesvdj_finalizeI19rocblas_complex_numIdEdEEviPT0_lPT_ilS7_il,comdat
.Lfunc_end148:
	.size	_ZN9rocsolver6v33100L15gesvdj_finalizeI19rocblas_complex_numIdEdEEviPT0_lPT_ilS7_il, .Lfunc_end148-_ZN9rocsolver6v33100L15gesvdj_finalizeI19rocblas_complex_numIdEdEEviPT0_lPT_ilS7_il
                                        ; -- End function
	.section	.AMDGPU.csdata,"",@progbits
; Kernel info:
; codeLenInByte = 408
; NumSgprs: 26
; NumVgprs: 10
; NumAgprs: 0
; TotalNumVgprs: 10
; ScratchSize: 0
; MemoryBound: 0
; FloatMode: 240
; IeeeMode: 1
; LDSByteSize: 0 bytes/workgroup (compile time only)
; SGPRBlocks: 3
; VGPRBlocks: 1
; NumSGPRsForWavesPerEU: 26
; NumVGPRsForWavesPerEU: 10
; AccumOffset: 12
; Occupancy: 8
; WaveLimiterHint : 0
; COMPUTE_PGM_RSRC2:SCRATCH_EN: 0
; COMPUTE_PGM_RSRC2:USER_SGPR: 6
; COMPUTE_PGM_RSRC2:TRAP_HANDLER: 0
; COMPUTE_PGM_RSRC2:TGID_X_EN: 1
; COMPUTE_PGM_RSRC2:TGID_Y_EN: 1
; COMPUTE_PGM_RSRC2:TGID_Z_EN: 0
; COMPUTE_PGM_RSRC2:TIDIG_COMP_CNT: 0
; COMPUTE_PGM_RSRC3_GFX90A:ACCUM_OFFSET: 2
; COMPUTE_PGM_RSRC3_GFX90A:TG_SPLIT: 0
	.section	.text._ZN9rocsolver6v33100L16org2r_init_identI19rocblas_complex_numIdEPS3_EEviiiT0_iil,"axG",@progbits,_ZN9rocsolver6v33100L16org2r_init_identI19rocblas_complex_numIdEPS3_EEviiiT0_iil,comdat
	.globl	_ZN9rocsolver6v33100L16org2r_init_identI19rocblas_complex_numIdEPS3_EEviiiT0_iil ; -- Begin function _ZN9rocsolver6v33100L16org2r_init_identI19rocblas_complex_numIdEPS3_EEviiiT0_iil
	.p2align	8
	.type	_ZN9rocsolver6v33100L16org2r_init_identI19rocblas_complex_numIdEPS3_EEviiiT0_iil,@function
_ZN9rocsolver6v33100L16org2r_init_identI19rocblas_complex_numIdEPS3_EEviiiT0_iil: ; @_ZN9rocsolver6v33100L16org2r_init_identI19rocblas_complex_numIdEPS3_EEviiiT0_iil
; %bb.0:
	s_load_dword s0, s[4:5], 0x34
	s_load_dwordx4 s[12:15], s[4:5], 0x0
	v_bfe_u32 v1, v0, 10, 10
	v_and_b32_e32 v0, 0x3ff, v0
	s_waitcnt lgkmcnt(0)
	s_lshr_b32 s1, s0, 16
	s_and_b32 s0, s0, 0xffff
	s_mul_i32 s7, s7, s1
	s_mul_i32 s6, s6, s0
	v_add_u32_e32 v2, s7, v1
	v_add_u32_e32 v4, s6, v0
	v_cmp_gt_u32_e32 vcc, s12, v4
	v_cmp_gt_u32_e64 s[0:1], s13, v2
	s_and_b64 s[0:1], vcc, s[0:1]
	s_and_saveexec_b64 s[2:3], s[0:1]
	s_cbranch_execz .LBB149_5
; %bb.1:
	s_load_dwordx4 s[0:3], s[4:5], 0x10
	s_load_dwordx2 s[6:7], s[4:5], 0x20
	v_cmp_ne_u32_e32 vcc, v4, v2
                                        ; implicit-def: $vgpr0_vgpr1
	s_waitcnt lgkmcnt(0)
	s_ashr_i32 s5, s2, 31
	s_mov_b32 s4, s2
	s_mul_i32 s2, s8, s7
	s_mul_hi_u32 s7, s8, s6
	s_add_i32 s7, s7, s2
	s_mul_i32 s6, s8, s6
	s_lshl_b64 s[6:7], s[6:7], 4
	s_add_u32 s2, s0, s6
	s_addc_u32 s6, s1, s7
	s_lshl_b64 s[0:1], s[4:5], 4
	s_add_u32 s2, s2, s0
	s_addc_u32 s10, s6, s1
	s_mov_b64 s[4:5], 0
	s_and_saveexec_b64 s[0:1], vcc
	s_xor_b64 s[0:1], exec, s[0:1]
	s_cbranch_execnz .LBB149_6
; %bb.2:
	s_andn2_saveexec_b64 s[0:1], s[0:1]
	s_cbranch_execnz .LBB149_13
.LBB149_3:
	s_or_b64 exec, exec, s[0:1]
	s_and_b64 exec, exec, s[4:5]
	s_cbranch_execz .LBB149_5
.LBB149_4:
	v_mov_b32_e32 v2, 0
	v_mov_b32_e32 v3, v2
	global_store_dwordx2 v[0:1], v[2:3], off
.LBB149_5:
	s_endpgm
.LBB149_6:
	v_cmp_le_u32_e32 vcc, v2, v4
                                        ; implicit-def: $vgpr0_vgpr1
	s_and_saveexec_b64 s[6:7], vcc
	s_xor_b64 s[6:7], exec, s[6:7]
	s_cbranch_execz .LBB149_10
; %bb.7:
	v_cmp_le_u32_e32 vcc, s14, v2
                                        ; implicit-def: $vgpr0_vgpr1
	s_and_saveexec_b64 s[8:9], vcc
	s_xor_b64 s[8:9], exec, s[8:9]
	s_cbranch_execz .LBB149_9
; %bb.8:
	v_mad_u64_u32 v[2:3], s[12:13], v2, s3, v[4:5]
	v_mov_b32_e32 v3, 0
	v_lshlrev_b64 v[0:1], 4, v[2:3]
	v_mov_b32_e32 v2, s10
	v_add_co_u32_e32 v4, vcc, s2, v0
	v_addc_co_u32_e32 v5, vcc, v2, v1, vcc
	v_add_co_u32_e32 v0, vcc, 8, v4
	s_mov_b64 s[4:5], exec
	v_addc_co_u32_e32 v1, vcc, 0, v5, vcc
	v_mov_b32_e32 v2, v3
	global_store_dwordx2 v[4:5], v[2:3], off
.LBB149_9:
	s_or_b64 exec, exec, s[8:9]
	s_and_b64 s[4:5], s[4:5], exec
                                        ; implicit-def: $vgpr4
                                        ; implicit-def: $vgpr2
.LBB149_10:
	s_andn2_saveexec_b64 s[6:7], s[6:7]
	s_cbranch_execz .LBB149_12
; %bb.11:
	v_mad_u64_u32 v[0:1], s[8:9], v2, s3, v[4:5]
	v_mov_b32_e32 v1, 0
	v_lshlrev_b64 v[2:3], 4, v[0:1]
	v_mov_b32_e32 v0, s10
	v_add_co_u32_e32 v2, vcc, s2, v2
	v_addc_co_u32_e32 v3, vcc, v0, v3, vcc
	v_mov_b32_e32 v0, v1
	global_store_dwordx2 v[2:3], v[0:1], off
	v_add_co_u32_e32 v0, vcc, 8, v2
	v_addc_co_u32_e32 v1, vcc, 0, v3, vcc
	s_or_b64 s[4:5], s[4:5], exec
.LBB149_12:
	s_or_b64 exec, exec, s[6:7]
	s_and_b64 s[4:5], s[4:5], exec
                                        ; implicit-def: $vgpr2
	s_andn2_saveexec_b64 s[0:1], s[0:1]
	s_cbranch_execz .LBB149_3
.LBB149_13:
	v_mad_u64_u32 v[0:1], s[6:7], v2, s3, v[2:3]
	v_mov_b32_e32 v1, 0
	v_lshlrev_b64 v[2:3], 4, v[0:1]
	v_mov_b32_e32 v0, s10
	v_add_co_u32_e32 v2, vcc, s2, v2
	v_addc_co_u32_e32 v3, vcc, v0, v3, vcc
	v_add_co_u32_e32 v0, vcc, 8, v2
	v_mov_b32_e32 v5, 0x3ff00000
	v_mov_b32_e32 v4, v1
	v_addc_co_u32_e32 v1, vcc, 0, v3, vcc
	s_or_b64 s[4:5], s[4:5], exec
	global_store_dwordx2 v[2:3], v[4:5], off
	s_or_b64 exec, exec, s[0:1]
	s_and_b64 exec, exec, s[4:5]
	s_cbranch_execnz .LBB149_4
	s_branch .LBB149_5
	.section	.rodata,"a",@progbits
	.p2align	6, 0x0
	.amdhsa_kernel _ZN9rocsolver6v33100L16org2r_init_identI19rocblas_complex_numIdEPS3_EEviiiT0_iil
		.amdhsa_group_segment_fixed_size 0
		.amdhsa_private_segment_fixed_size 0
		.amdhsa_kernarg_size 296
		.amdhsa_user_sgpr_count 6
		.amdhsa_user_sgpr_private_segment_buffer 1
		.amdhsa_user_sgpr_dispatch_ptr 0
		.amdhsa_user_sgpr_queue_ptr 0
		.amdhsa_user_sgpr_kernarg_segment_ptr 1
		.amdhsa_user_sgpr_dispatch_id 0
		.amdhsa_user_sgpr_flat_scratch_init 0
		.amdhsa_user_sgpr_kernarg_preload_length 0
		.amdhsa_user_sgpr_kernarg_preload_offset 0
		.amdhsa_user_sgpr_private_segment_size 0
		.amdhsa_uses_dynamic_stack 0
		.amdhsa_system_sgpr_private_segment_wavefront_offset 0
		.amdhsa_system_sgpr_workgroup_id_x 1
		.amdhsa_system_sgpr_workgroup_id_y 1
		.amdhsa_system_sgpr_workgroup_id_z 1
		.amdhsa_system_sgpr_workgroup_info 0
		.amdhsa_system_vgpr_workitem_id 1
		.amdhsa_next_free_vgpr 6
		.amdhsa_next_free_sgpr 16
		.amdhsa_accum_offset 8
		.amdhsa_reserve_vcc 1
		.amdhsa_reserve_flat_scratch 0
		.amdhsa_float_round_mode_32 0
		.amdhsa_float_round_mode_16_64 0
		.amdhsa_float_denorm_mode_32 3
		.amdhsa_float_denorm_mode_16_64 3
		.amdhsa_dx10_clamp 1
		.amdhsa_ieee_mode 1
		.amdhsa_fp16_overflow 0
		.amdhsa_tg_split 0
		.amdhsa_exception_fp_ieee_invalid_op 0
		.amdhsa_exception_fp_denorm_src 0
		.amdhsa_exception_fp_ieee_div_zero 0
		.amdhsa_exception_fp_ieee_overflow 0
		.amdhsa_exception_fp_ieee_underflow 0
		.amdhsa_exception_fp_ieee_inexact 0
		.amdhsa_exception_int_div_zero 0
	.end_amdhsa_kernel
	.section	.text._ZN9rocsolver6v33100L16org2r_init_identI19rocblas_complex_numIdEPS3_EEviiiT0_iil,"axG",@progbits,_ZN9rocsolver6v33100L16org2r_init_identI19rocblas_complex_numIdEPS3_EEviiiT0_iil,comdat
.Lfunc_end149:
	.size	_ZN9rocsolver6v33100L16org2r_init_identI19rocblas_complex_numIdEPS3_EEviiiT0_iil, .Lfunc_end149-_ZN9rocsolver6v33100L16org2r_init_identI19rocblas_complex_numIdEPS3_EEviiiT0_iil
                                        ; -- End function
	.section	.AMDGPU.csdata,"",@progbits
; Kernel info:
; codeLenInByte = 472
; NumSgprs: 20
; NumVgprs: 6
; NumAgprs: 0
; TotalNumVgprs: 6
; ScratchSize: 0
; MemoryBound: 0
; FloatMode: 240
; IeeeMode: 1
; LDSByteSize: 0 bytes/workgroup (compile time only)
; SGPRBlocks: 2
; VGPRBlocks: 0
; NumSGPRsForWavesPerEU: 20
; NumVGPRsForWavesPerEU: 6
; AccumOffset: 8
; Occupancy: 8
; WaveLimiterHint : 0
; COMPUTE_PGM_RSRC2:SCRATCH_EN: 0
; COMPUTE_PGM_RSRC2:USER_SGPR: 6
; COMPUTE_PGM_RSRC2:TRAP_HANDLER: 0
; COMPUTE_PGM_RSRC2:TGID_X_EN: 1
; COMPUTE_PGM_RSRC2:TGID_Y_EN: 1
; COMPUTE_PGM_RSRC2:TGID_Z_EN: 1
; COMPUTE_PGM_RSRC2:TIDIG_COMP_CNT: 1
; COMPUTE_PGM_RSRC3_GFX90A:ACCUM_OFFSET: 1
; COMPUTE_PGM_RSRC3_GFX90A:TG_SPLIT: 0
	.section	.text._ZN9rocsolver6v33100L12subtract_tauI19rocblas_complex_numIdEPS3_EEviiT0_iilPT_l,"axG",@progbits,_ZN9rocsolver6v33100L12subtract_tauI19rocblas_complex_numIdEPS3_EEviiT0_iilPT_l,comdat
	.globl	_ZN9rocsolver6v33100L12subtract_tauI19rocblas_complex_numIdEPS3_EEviiT0_iilPT_l ; -- Begin function _ZN9rocsolver6v33100L12subtract_tauI19rocblas_complex_numIdEPS3_EEviiT0_iilPT_l
	.p2align	8
	.type	_ZN9rocsolver6v33100L12subtract_tauI19rocblas_complex_numIdEPS3_EEviiT0_iilPT_l,@function
_ZN9rocsolver6v33100L12subtract_tauI19rocblas_complex_numIdEPS3_EEviiT0_iilPT_l: ; @_ZN9rocsolver6v33100L12subtract_tauI19rocblas_complex_numIdEPS3_EEviiT0_iilPT_l
; %bb.0:
	s_load_dwordx2 s[12:13], s[4:5], 0x10
	s_load_dwordx4 s[8:11], s[4:5], 0x18
	s_load_dwordx4 s[0:3], s[4:5], 0x0
	s_load_dwordx2 s[14:15], s[4:5], 0x28
	v_mov_b32_e32 v4, 0
	s_waitcnt lgkmcnt(0)
	s_ashr_i32 s5, s12, 31
	s_mul_i32 s7, s6, s9
	s_mul_hi_u32 s9, s6, s8
	s_add_i32 s9, s9, s7
	s_mul_i32 s8, s6, s8
	s_lshl_b64 s[8:9], s[8:9], 4
	s_mov_b32 s4, s12
	s_add_u32 s7, s2, s8
	s_addc_u32 s8, s3, s9
	s_lshl_b64 s[2:3], s[4:5], 4
	s_add_u32 s9, s7, s2
	s_addc_u32 s8, s8, s3
	s_mul_i32 s2, s6, s15
	s_mul_hi_u32 s3, s6, s14
	s_add_i32 s3, s3, s2
	s_mul_i32 s2, s6, s14
	s_lshl_b64 s[2:3], s[2:3], 4
	s_add_u32 s2, s10, s2
	s_addc_u32 s3, s11, s3
	s_load_dwordx4 s[4:7], s[2:3], 0x0
	s_mul_i32 s1, s13, s1
	s_add_i32 s0, s1, s0
	s_ashr_i32 s1, s0, 31
	s_lshl_b64 s[0:1], s[0:1], 4
	s_waitcnt lgkmcnt(0)
	s_xor_b32 s10, s5, 0x80000000
	s_xor_b32 s7, s7, 0x80000000
	v_mov_b32_e32 v0, s4
	v_mov_b32_e32 v1, s10
	;; [unrolled: 1-line block ×4, first 2 shown]
	s_add_u32 s0, s9, s0
	global_store_dwordx4 v4, v[0:3], s[2:3]
	s_addc_u32 s1, s8, s1
	v_add_f64 v[0:1], -s[4:5], 1.0
	global_store_dwordx4 v4, v[0:3], s[0:1]
	s_endpgm
	.section	.rodata,"a",@progbits
	.p2align	6, 0x0
	.amdhsa_kernel _ZN9rocsolver6v33100L12subtract_tauI19rocblas_complex_numIdEPS3_EEviiT0_iilPT_l
		.amdhsa_group_segment_fixed_size 0
		.amdhsa_private_segment_fixed_size 0
		.amdhsa_kernarg_size 48
		.amdhsa_user_sgpr_count 6
		.amdhsa_user_sgpr_private_segment_buffer 1
		.amdhsa_user_sgpr_dispatch_ptr 0
		.amdhsa_user_sgpr_queue_ptr 0
		.amdhsa_user_sgpr_kernarg_segment_ptr 1
		.amdhsa_user_sgpr_dispatch_id 0
		.amdhsa_user_sgpr_flat_scratch_init 0
		.amdhsa_user_sgpr_kernarg_preload_length 0
		.amdhsa_user_sgpr_kernarg_preload_offset 0
		.amdhsa_user_sgpr_private_segment_size 0
		.amdhsa_uses_dynamic_stack 0
		.amdhsa_system_sgpr_private_segment_wavefront_offset 0
		.amdhsa_system_sgpr_workgroup_id_x 1
		.amdhsa_system_sgpr_workgroup_id_y 0
		.amdhsa_system_sgpr_workgroup_id_z 0
		.amdhsa_system_sgpr_workgroup_info 0
		.amdhsa_system_vgpr_workitem_id 0
		.amdhsa_next_free_vgpr 5
		.amdhsa_next_free_sgpr 16
		.amdhsa_accum_offset 8
		.amdhsa_reserve_vcc 0
		.amdhsa_reserve_flat_scratch 0
		.amdhsa_float_round_mode_32 0
		.amdhsa_float_round_mode_16_64 0
		.amdhsa_float_denorm_mode_32 3
		.amdhsa_float_denorm_mode_16_64 3
		.amdhsa_dx10_clamp 1
		.amdhsa_ieee_mode 1
		.amdhsa_fp16_overflow 0
		.amdhsa_tg_split 0
		.amdhsa_exception_fp_ieee_invalid_op 0
		.amdhsa_exception_fp_denorm_src 0
		.amdhsa_exception_fp_ieee_div_zero 0
		.amdhsa_exception_fp_ieee_overflow 0
		.amdhsa_exception_fp_ieee_underflow 0
		.amdhsa_exception_fp_ieee_inexact 0
		.amdhsa_exception_int_div_zero 0
	.end_amdhsa_kernel
	.section	.text._ZN9rocsolver6v33100L12subtract_tauI19rocblas_complex_numIdEPS3_EEviiT0_iilPT_l,"axG",@progbits,_ZN9rocsolver6v33100L12subtract_tauI19rocblas_complex_numIdEPS3_EEviiT0_iilPT_l,comdat
.Lfunc_end150:
	.size	_ZN9rocsolver6v33100L12subtract_tauI19rocblas_complex_numIdEPS3_EEviiT0_iilPT_l, .Lfunc_end150-_ZN9rocsolver6v33100L12subtract_tauI19rocblas_complex_numIdEPS3_EEviiT0_iilPT_l
                                        ; -- End function
	.section	.AMDGPU.csdata,"",@progbits
; Kernel info:
; codeLenInByte = 212
; NumSgprs: 20
; NumVgprs: 5
; NumAgprs: 0
; TotalNumVgprs: 5
; ScratchSize: 0
; MemoryBound: 0
; FloatMode: 240
; IeeeMode: 1
; LDSByteSize: 0 bytes/workgroup (compile time only)
; SGPRBlocks: 2
; VGPRBlocks: 0
; NumSGPRsForWavesPerEU: 20
; NumVGPRsForWavesPerEU: 5
; AccumOffset: 8
; Occupancy: 8
; WaveLimiterHint : 0
; COMPUTE_PGM_RSRC2:SCRATCH_EN: 0
; COMPUTE_PGM_RSRC2:USER_SGPR: 6
; COMPUTE_PGM_RSRC2:TRAP_HANDLER: 0
; COMPUTE_PGM_RSRC2:TGID_X_EN: 1
; COMPUTE_PGM_RSRC2:TGID_Y_EN: 0
; COMPUTE_PGM_RSRC2:TGID_Z_EN: 0
; COMPUTE_PGM_RSRC2:TIDIG_COMP_CNT: 0
; COMPUTE_PGM_RSRC3_GFX90A:ACCUM_OFFSET: 1
; COMPUTE_PGM_RSRC3_GFX90A:TG_SPLIT: 0
	.section	.text._ZN9rocsolver6v33100L6restauI19rocblas_complex_numIdEEEviPT_l,"axG",@progbits,_ZN9rocsolver6v33100L6restauI19rocblas_complex_numIdEEEviPT_l,comdat
	.globl	_ZN9rocsolver6v33100L6restauI19rocblas_complex_numIdEEEviPT_l ; -- Begin function _ZN9rocsolver6v33100L6restauI19rocblas_complex_numIdEEEviPT_l
	.p2align	8
	.type	_ZN9rocsolver6v33100L6restauI19rocblas_complex_numIdEEEviPT_l,@function
_ZN9rocsolver6v33100L6restauI19rocblas_complex_numIdEEEviPT_l: ; @_ZN9rocsolver6v33100L6restauI19rocblas_complex_numIdEEEviPT_l
; %bb.0:
	s_load_dword s0, s[4:5], 0x24
	s_load_dword s1, s[4:5], 0x0
	s_waitcnt lgkmcnt(0)
	s_and_b32 s0, s0, 0xffff
	s_mul_i32 s6, s6, s0
	v_add_u32_e32 v0, s6, v0
	v_cmp_gt_u32_e32 vcc, s1, v0
	s_and_saveexec_b64 s[0:1], vcc
	s_cbranch_execz .LBB151_2
; %bb.1:
	s_load_dwordx4 s[0:3], s[4:5], 0x8
	v_mov_b32_e32 v1, 0
	v_lshlrev_b64 v[0:1], 4, v[0:1]
	s_waitcnt lgkmcnt(0)
	s_mul_i32 s3, s7, s3
	s_mul_hi_u32 s4, s7, s2
	s_mul_i32 s2, s7, s2
	s_add_i32 s3, s4, s3
	s_lshl_b64 s[2:3], s[2:3], 4
	s_add_u32 s0, s0, s2
	s_addc_u32 s1, s1, s3
	v_mov_b32_e32 v2, s1
	v_add_co_u32_e32 v4, vcc, s0, v0
	v_addc_co_u32_e32 v5, vcc, v2, v1, vcc
	global_load_dwordx4 v[0:3], v[4:5], off
	s_waitcnt vmcnt(0)
	v_xor_b32_e32 v1, 0x80000000, v1
	v_xor_b32_e32 v3, 0x80000000, v3
	global_store_dwordx4 v[4:5], v[0:3], off
.LBB151_2:
	s_endpgm
	.section	.rodata,"a",@progbits
	.p2align	6, 0x0
	.amdhsa_kernel _ZN9rocsolver6v33100L6restauI19rocblas_complex_numIdEEEviPT_l
		.amdhsa_group_segment_fixed_size 0
		.amdhsa_private_segment_fixed_size 0
		.amdhsa_kernarg_size 280
		.amdhsa_user_sgpr_count 6
		.amdhsa_user_sgpr_private_segment_buffer 1
		.amdhsa_user_sgpr_dispatch_ptr 0
		.amdhsa_user_sgpr_queue_ptr 0
		.amdhsa_user_sgpr_kernarg_segment_ptr 1
		.amdhsa_user_sgpr_dispatch_id 0
		.amdhsa_user_sgpr_flat_scratch_init 0
		.amdhsa_user_sgpr_kernarg_preload_length 0
		.amdhsa_user_sgpr_kernarg_preload_offset 0
		.amdhsa_user_sgpr_private_segment_size 0
		.amdhsa_uses_dynamic_stack 0
		.amdhsa_system_sgpr_private_segment_wavefront_offset 0
		.amdhsa_system_sgpr_workgroup_id_x 1
		.amdhsa_system_sgpr_workgroup_id_y 1
		.amdhsa_system_sgpr_workgroup_id_z 0
		.amdhsa_system_sgpr_workgroup_info 0
		.amdhsa_system_vgpr_workitem_id 0
		.amdhsa_next_free_vgpr 6
		.amdhsa_next_free_sgpr 8
		.amdhsa_accum_offset 8
		.amdhsa_reserve_vcc 1
		.amdhsa_reserve_flat_scratch 0
		.amdhsa_float_round_mode_32 0
		.amdhsa_float_round_mode_16_64 0
		.amdhsa_float_denorm_mode_32 3
		.amdhsa_float_denorm_mode_16_64 3
		.amdhsa_dx10_clamp 1
		.amdhsa_ieee_mode 1
		.amdhsa_fp16_overflow 0
		.amdhsa_tg_split 0
		.amdhsa_exception_fp_ieee_invalid_op 0
		.amdhsa_exception_fp_denorm_src 0
		.amdhsa_exception_fp_ieee_div_zero 0
		.amdhsa_exception_fp_ieee_overflow 0
		.amdhsa_exception_fp_ieee_underflow 0
		.amdhsa_exception_fp_ieee_inexact 0
		.amdhsa_exception_int_div_zero 0
	.end_amdhsa_kernel
	.section	.text._ZN9rocsolver6v33100L6restauI19rocblas_complex_numIdEEEviPT_l,"axG",@progbits,_ZN9rocsolver6v33100L6restauI19rocblas_complex_numIdEEEviPT_l,comdat
.Lfunc_end151:
	.size	_ZN9rocsolver6v33100L6restauI19rocblas_complex_numIdEEEviPT_l, .Lfunc_end151-_ZN9rocsolver6v33100L6restauI19rocblas_complex_numIdEEEviPT_l
                                        ; -- End function
	.section	.AMDGPU.csdata,"",@progbits
; Kernel info:
; codeLenInByte = 152
; NumSgprs: 12
; NumVgprs: 6
; NumAgprs: 0
; TotalNumVgprs: 6
; ScratchSize: 0
; MemoryBound: 0
; FloatMode: 240
; IeeeMode: 1
; LDSByteSize: 0 bytes/workgroup (compile time only)
; SGPRBlocks: 1
; VGPRBlocks: 0
; NumSGPRsForWavesPerEU: 12
; NumVGPRsForWavesPerEU: 6
; AccumOffset: 8
; Occupancy: 8
; WaveLimiterHint : 0
; COMPUTE_PGM_RSRC2:SCRATCH_EN: 0
; COMPUTE_PGM_RSRC2:USER_SGPR: 6
; COMPUTE_PGM_RSRC2:TRAP_HANDLER: 0
; COMPUTE_PGM_RSRC2:TGID_X_EN: 1
; COMPUTE_PGM_RSRC2:TGID_Y_EN: 1
; COMPUTE_PGM_RSRC2:TGID_Z_EN: 0
; COMPUTE_PGM_RSRC2:TIDIG_COMP_CNT: 0
; COMPUTE_PGM_RSRC3_GFX90A:ACCUM_OFFSET: 1
; COMPUTE_PGM_RSRC3_GFX90A:TG_SPLIT: 0
	.section	.text._ZN9rocsolver6v33100L8set_zeroI19rocblas_complex_numIdEPS3_EEviiT0_iil13rocblas_fill_,"axG",@progbits,_ZN9rocsolver6v33100L8set_zeroI19rocblas_complex_numIdEPS3_EEviiT0_iil13rocblas_fill_,comdat
	.globl	_ZN9rocsolver6v33100L8set_zeroI19rocblas_complex_numIdEPS3_EEviiT0_iil13rocblas_fill_ ; -- Begin function _ZN9rocsolver6v33100L8set_zeroI19rocblas_complex_numIdEPS3_EEviiT0_iil13rocblas_fill_
	.p2align	8
	.type	_ZN9rocsolver6v33100L8set_zeroI19rocblas_complex_numIdEPS3_EEviiT0_iil13rocblas_fill_,@function
_ZN9rocsolver6v33100L8set_zeroI19rocblas_complex_numIdEPS3_EEviiT0_iil13rocblas_fill_: ; @_ZN9rocsolver6v33100L8set_zeroI19rocblas_complex_numIdEPS3_EEviiT0_iil13rocblas_fill_
; %bb.0:
	s_load_dword s2, s[4:5], 0x34
	s_load_dwordx2 s[0:1], s[4:5], 0x0
	v_and_b32_e32 v1, 0x3ff, v0
	v_bfe_u32 v0, v0, 10, 10
	s_waitcnt lgkmcnt(0)
	s_lshr_b32 s3, s2, 16
	s_and_b32 s2, s2, 0xffff
	s_mul_i32 s6, s6, s2
	s_mul_i32 s7, s7, s3
	v_add_u32_e32 v2, s6, v1
	v_add_u32_e32 v0, s7, v0
	v_cmp_gt_u32_e32 vcc, s0, v2
	v_cmp_gt_u32_e64 s[0:1], s1, v0
	s_and_b64 s[0:1], vcc, s[0:1]
	s_and_saveexec_b64 s[2:3], s[0:1]
	s_cbranch_execz .LBB152_12
; %bb.1:
	s_load_dword s6, s[4:5], 0x20
	s_waitcnt lgkmcnt(0)
	s_cmpk_lt_i32 s6, 0x7a
	s_cbranch_scc1 .LBB152_4
; %bb.2:
	s_cmpk_gt_i32 s6, 0x7a
	s_cbranch_scc0 .LBB152_5
; %bb.3:
	s_cmpk_eq_i32 s6, 0x7b
	s_cselect_b64 s[0:1], -1, 0
	s_cbranch_execz .LBB152_6
	s_branch .LBB152_7
.LBB152_4:
	s_mov_b64 s[0:1], 0
	s_cbranch_execnz .LBB152_8
	s_branch .LBB152_10
.LBB152_5:
	s_mov_b64 s[0:1], 0
.LBB152_6:
	v_cmp_gt_u32_e32 vcc, v0, v2
	s_andn2_b64 s[0:1], s[0:1], exec
	s_and_b64 s[2:3], vcc, exec
	s_or_b64 s[0:1], s[0:1], s[2:3]
.LBB152_7:
	s_branch .LBB152_10
.LBB152_8:
	s_cmpk_eq_i32 s6, 0x79
	s_cbranch_scc0 .LBB152_10
; %bb.9:
	v_cmp_gt_u32_e32 vcc, v2, v0
	s_andn2_b64 s[0:1], s[0:1], exec
	s_and_b64 s[2:3], vcc, exec
	s_or_b64 s[0:1], s[0:1], s[2:3]
.LBB152_10:
	s_and_b64 exec, exec, s[0:1]
	s_cbranch_execz .LBB152_12
; %bb.11:
	s_load_dwordx4 s[0:3], s[4:5], 0x8
	s_load_dwordx2 s[6:7], s[4:5], 0x18
	s_waitcnt lgkmcnt(0)
	s_ashr_i32 s5, s2, 31
	s_mov_b32 s4, s2
	s_mul_i32 s2, s8, s7
	s_mul_hi_u32 s7, s8, s6
	s_add_i32 s7, s7, s2
	s_mul_i32 s6, s8, s6
	s_lshl_b64 s[6:7], s[6:7], 4
	s_add_u32 s2, s0, s6
	s_addc_u32 s6, s1, s7
	s_lshl_b64 s[0:1], s[4:5], 4
	s_add_u32 s2, s2, s0
	s_addc_u32 s4, s6, s1
	v_mad_u64_u32 v[0:1], s[0:1], v0, s3, v[2:3]
	v_mov_b32_e32 v1, 0
	v_lshlrev_b64 v[2:3], 4, v[0:1]
	v_mov_b32_e32 v0, s4
	v_add_co_u32_e32 v4, vcc, s2, v2
	v_addc_co_u32_e32 v5, vcc, v0, v3, vcc
	v_mov_b32_e32 v0, v1
	v_mov_b32_e32 v2, v1
	;; [unrolled: 1-line block ×3, first 2 shown]
	global_store_dwordx4 v[4:5], v[0:3], off
.LBB152_12:
	s_endpgm
	.section	.rodata,"a",@progbits
	.p2align	6, 0x0
	.amdhsa_kernel _ZN9rocsolver6v33100L8set_zeroI19rocblas_complex_numIdEPS3_EEviiT0_iil13rocblas_fill_
		.amdhsa_group_segment_fixed_size 0
		.amdhsa_private_segment_fixed_size 0
		.amdhsa_kernarg_size 296
		.amdhsa_user_sgpr_count 6
		.amdhsa_user_sgpr_private_segment_buffer 1
		.amdhsa_user_sgpr_dispatch_ptr 0
		.amdhsa_user_sgpr_queue_ptr 0
		.amdhsa_user_sgpr_kernarg_segment_ptr 1
		.amdhsa_user_sgpr_dispatch_id 0
		.amdhsa_user_sgpr_flat_scratch_init 0
		.amdhsa_user_sgpr_kernarg_preload_length 0
		.amdhsa_user_sgpr_kernarg_preload_offset 0
		.amdhsa_user_sgpr_private_segment_size 0
		.amdhsa_uses_dynamic_stack 0
		.amdhsa_system_sgpr_private_segment_wavefront_offset 0
		.amdhsa_system_sgpr_workgroup_id_x 1
		.amdhsa_system_sgpr_workgroup_id_y 1
		.amdhsa_system_sgpr_workgroup_id_z 1
		.amdhsa_system_sgpr_workgroup_info 0
		.amdhsa_system_vgpr_workitem_id 1
		.amdhsa_next_free_vgpr 6
		.amdhsa_next_free_sgpr 9
		.amdhsa_accum_offset 8
		.amdhsa_reserve_vcc 1
		.amdhsa_reserve_flat_scratch 0
		.amdhsa_float_round_mode_32 0
		.amdhsa_float_round_mode_16_64 0
		.amdhsa_float_denorm_mode_32 3
		.amdhsa_float_denorm_mode_16_64 3
		.amdhsa_dx10_clamp 1
		.amdhsa_ieee_mode 1
		.amdhsa_fp16_overflow 0
		.amdhsa_tg_split 0
		.amdhsa_exception_fp_ieee_invalid_op 0
		.amdhsa_exception_fp_denorm_src 0
		.amdhsa_exception_fp_ieee_div_zero 0
		.amdhsa_exception_fp_ieee_overflow 0
		.amdhsa_exception_fp_ieee_underflow 0
		.amdhsa_exception_fp_ieee_inexact 0
		.amdhsa_exception_int_div_zero 0
	.end_amdhsa_kernel
	.section	.text._ZN9rocsolver6v33100L8set_zeroI19rocblas_complex_numIdEPS3_EEviiT0_iil13rocblas_fill_,"axG",@progbits,_ZN9rocsolver6v33100L8set_zeroI19rocblas_complex_numIdEPS3_EEviiT0_iil13rocblas_fill_,comdat
.Lfunc_end152:
	.size	_ZN9rocsolver6v33100L8set_zeroI19rocblas_complex_numIdEPS3_EEviiT0_iil13rocblas_fill_, .Lfunc_end152-_ZN9rocsolver6v33100L8set_zeroI19rocblas_complex_numIdEPS3_EEviiT0_iil13rocblas_fill_
                                        ; -- End function
	.section	.AMDGPU.csdata,"",@progbits
; Kernel info:
; codeLenInByte = 324
; NumSgprs: 13
; NumVgprs: 6
; NumAgprs: 0
; TotalNumVgprs: 6
; ScratchSize: 0
; MemoryBound: 0
; FloatMode: 240
; IeeeMode: 1
; LDSByteSize: 0 bytes/workgroup (compile time only)
; SGPRBlocks: 1
; VGPRBlocks: 0
; NumSGPRsForWavesPerEU: 13
; NumVGPRsForWavesPerEU: 6
; AccumOffset: 8
; Occupancy: 8
; WaveLimiterHint : 0
; COMPUTE_PGM_RSRC2:SCRATCH_EN: 0
; COMPUTE_PGM_RSRC2:USER_SGPR: 6
; COMPUTE_PGM_RSRC2:TRAP_HANDLER: 0
; COMPUTE_PGM_RSRC2:TGID_X_EN: 1
; COMPUTE_PGM_RSRC2:TGID_Y_EN: 1
; COMPUTE_PGM_RSRC2:TGID_Z_EN: 1
; COMPUTE_PGM_RSRC2:TIDIG_COMP_CNT: 1
; COMPUTE_PGM_RSRC3_GFX90A:ACCUM_OFFSET: 1
; COMPUTE_PGM_RSRC3_GFX90A:TG_SPLIT: 0
	.text
	.p2alignl 6, 3212836864
	.fill 256, 4, 3212836864
	.type	__const.__assert_fail.fmt,@object ; @__const.__assert_fail.fmt
	.section	.rodata.str1.16,"aMS",@progbits,1
	.p2align	4, 0x0
__const.__assert_fail.fmt:
	.asciz	"%s:%u: %s: Device-side assertion `%s' failed.\n"
	.size	__const.__assert_fail.fmt, 47

	.type	.str.1,@object                  ; @.str.1
	.section	.rodata.str1.1,"aMS",@progbits,1
.str.1:
	.asciz	"total_bytes <= max_lds"
	.size	.str.1, 23

	.type	.str.2,@object                  ; @.str.2
.str.2:
	.asciz	"/root/src/amdgpu-assembly/repos/ROCm__rocSOLVER/library/src/lapack/roclapack_syevj_heevj.hpp"
	.size	.str.2, 93

	.type	__PRETTY_FUNCTION__._ZN9rocsolver6v33100L17syevj_diag_rotateILb0EffPfEEvbiiT2_iilPT0_Pii,@object ; @__PRETTY_FUNCTION__._ZN9rocsolver6v33100L17syevj_diag_rotateILb0EffPfEEvbiiT2_iilPT0_Pii
__PRETTY_FUNCTION__._ZN9rocsolver6v33100L17syevj_diag_rotateILb0EffPfEEvbiiT2_iilPT0_Pii:
	.asciz	"void rocsolver::syevj_diag_rotate(const bool, const rocblas_int, const rocblas_int, U, const rocblas_int, const rocblas_int, const rocblas_stride, T *, rocblas_int *, rocblas_int) [APPLY_LEFT = false, T = float, S = float, U = float *]"
	.size	__PRETTY_FUNCTION__._ZN9rocsolver6v33100L17syevj_diag_rotateILb0EffPfEEvbiiT2_iilPT0_Pii, 236

	.type	__PRETTY_FUNCTION__._ZN9rocsolver6v33100L17syevj_diag_rotateILb1EffPfEEvbiiT2_iilPT0_Pii,@object ; @__PRETTY_FUNCTION__._ZN9rocsolver6v33100L17syevj_diag_rotateILb1EffPfEEvbiiT2_iilPT0_Pii
__PRETTY_FUNCTION__._ZN9rocsolver6v33100L17syevj_diag_rotateILb1EffPfEEvbiiT2_iilPT0_Pii:
	.asciz	"void rocsolver::syevj_diag_rotate(const bool, const rocblas_int, const rocblas_int, U, const rocblas_int, const rocblas_int, const rocblas_stride, T *, rocblas_int *, rocblas_int) [APPLY_LEFT = true, T = float, S = float, U = float *]"
	.size	__PRETTY_FUNCTION__._ZN9rocsolver6v33100L17syevj_diag_rotateILb1EffPfEEvbiiT2_iilPT0_Pii, 235

	.type	__PRETTY_FUNCTION__._ZN9rocsolver6v33100L17syevj_diag_rotateILb0EddPdEEvbiiT2_iilPT0_Pii,@object ; @__PRETTY_FUNCTION__._ZN9rocsolver6v33100L17syevj_diag_rotateILb0EddPdEEvbiiT2_iilPT0_Pii
__PRETTY_FUNCTION__._ZN9rocsolver6v33100L17syevj_diag_rotateILb0EddPdEEvbiiT2_iilPT0_Pii:
	.asciz	"void rocsolver::syevj_diag_rotate(const bool, const rocblas_int, const rocblas_int, U, const rocblas_int, const rocblas_int, const rocblas_stride, T *, rocblas_int *, rocblas_int) [APPLY_LEFT = false, T = double, S = double, U = double *]"
	.size	__PRETTY_FUNCTION__._ZN9rocsolver6v33100L17syevj_diag_rotateILb0EddPdEEvbiiT2_iilPT0_Pii, 239

	.type	__PRETTY_FUNCTION__._ZN9rocsolver6v33100L17syevj_diag_rotateILb1EddPdEEvbiiT2_iilPT0_Pii,@object ; @__PRETTY_FUNCTION__._ZN9rocsolver6v33100L17syevj_diag_rotateILb1EddPdEEvbiiT2_iilPT0_Pii
__PRETTY_FUNCTION__._ZN9rocsolver6v33100L17syevj_diag_rotateILb1EddPdEEvbiiT2_iilPT0_Pii:
	.asciz	"void rocsolver::syevj_diag_rotate(const bool, const rocblas_int, const rocblas_int, U, const rocblas_int, const rocblas_int, const rocblas_stride, T *, rocblas_int *, rocblas_int) [APPLY_LEFT = true, T = double, S = double, U = double *]"
	.size	__PRETTY_FUNCTION__._ZN9rocsolver6v33100L17syevj_diag_rotateILb1EddPdEEvbiiT2_iilPT0_Pii, 238

	.type	__PRETTY_FUNCTION__._ZN9rocsolver6v33100L17syevj_diag_rotateILb0E19rocblas_complex_numIfEfPS3_EEvbiiT2_iilPT0_Pii,@object ; @__PRETTY_FUNCTION__._ZN9rocsolver6v33100L17syevj_diag_rotateILb0E19rocblas_complex_numIfEfPS3_EEvbiiT2_iilPT0_Pii
__PRETTY_FUNCTION__._ZN9rocsolver6v33100L17syevj_diag_rotateILb0E19rocblas_complex_numIfEfPS3_EEvbiiT2_iilPT0_Pii:
	.asciz	"void rocsolver::syevj_diag_rotate(const bool, const rocblas_int, const rocblas_int, U, const rocblas_int, const rocblas_int, const rocblas_stride, T *, rocblas_int *, rocblas_int) [APPLY_LEFT = false, T = rocblas_complex_num<float>, S = float, U = rocblas_complex_num<float> *]"
	.size	__PRETTY_FUNCTION__._ZN9rocsolver6v33100L17syevj_diag_rotateILb0E19rocblas_complex_numIfEfPS3_EEvbiiT2_iilPT0_Pii, 278

	.type	__PRETTY_FUNCTION__._ZN9rocsolver6v33100L17syevj_diag_rotateILb1E19rocblas_complex_numIfEfPS3_EEvbiiT2_iilPT0_Pii,@object ; @__PRETTY_FUNCTION__._ZN9rocsolver6v33100L17syevj_diag_rotateILb1E19rocblas_complex_numIfEfPS3_EEvbiiT2_iilPT0_Pii
__PRETTY_FUNCTION__._ZN9rocsolver6v33100L17syevj_diag_rotateILb1E19rocblas_complex_numIfEfPS3_EEvbiiT2_iilPT0_Pii:
	.asciz	"void rocsolver::syevj_diag_rotate(const bool, const rocblas_int, const rocblas_int, U, const rocblas_int, const rocblas_int, const rocblas_stride, T *, rocblas_int *, rocblas_int) [APPLY_LEFT = true, T = rocblas_complex_num<float>, S = float, U = rocblas_complex_num<float> *]"
	.size	__PRETTY_FUNCTION__._ZN9rocsolver6v33100L17syevj_diag_rotateILb1E19rocblas_complex_numIfEfPS3_EEvbiiT2_iilPT0_Pii, 277

	.type	__PRETTY_FUNCTION__._ZN9rocsolver6v33100L17syevj_diag_rotateILb0E19rocblas_complex_numIdEdPS3_EEvbiiT2_iilPT0_Pii,@object ; @__PRETTY_FUNCTION__._ZN9rocsolver6v33100L17syevj_diag_rotateILb0E19rocblas_complex_numIdEdPS3_EEvbiiT2_iilPT0_Pii
__PRETTY_FUNCTION__._ZN9rocsolver6v33100L17syevj_diag_rotateILb0E19rocblas_complex_numIdEdPS3_EEvbiiT2_iilPT0_Pii:
	.asciz	"void rocsolver::syevj_diag_rotate(const bool, const rocblas_int, const rocblas_int, U, const rocblas_int, const rocblas_int, const rocblas_stride, T *, rocblas_int *, rocblas_int) [APPLY_LEFT = false, T = rocblas_complex_num<double>, S = double, U = rocblas_complex_num<double> *]"
	.size	__PRETTY_FUNCTION__._ZN9rocsolver6v33100L17syevj_diag_rotateILb0E19rocblas_complex_numIdEdPS3_EEvbiiT2_iilPT0_Pii, 281

	.type	__PRETTY_FUNCTION__._ZN9rocsolver6v33100L17syevj_diag_rotateILb1E19rocblas_complex_numIdEdPS3_EEvbiiT2_iilPT0_Pii,@object ; @__PRETTY_FUNCTION__._ZN9rocsolver6v33100L17syevj_diag_rotateILb1E19rocblas_complex_numIdEdPS3_EEvbiiT2_iilPT0_Pii
__PRETTY_FUNCTION__._ZN9rocsolver6v33100L17syevj_diag_rotateILb1E19rocblas_complex_numIdEdPS3_EEvbiiT2_iilPT0_Pii:
	.asciz	"void rocsolver::syevj_diag_rotate(const bool, const rocblas_int, const rocblas_int, U, const rocblas_int, const rocblas_int, const rocblas_stride, T *, rocblas_int *, rocblas_int) [APPLY_LEFT = true, T = rocblas_complex_num<double>, S = double, U = rocblas_complex_num<double> *]"
	.size	__PRETTY_FUNCTION__._ZN9rocsolver6v33100L17syevj_diag_rotateILb1E19rocblas_complex_numIdEdPS3_EEvbiiT2_iilPT0_Pii, 280

	.type	__hip_cuid_299e80da4f89d632,@object ; @__hip_cuid_299e80da4f89d632
	.section	.bss,"aw",@nobits
	.globl	__hip_cuid_299e80da4f89d632
__hip_cuid_299e80da4f89d632:
	.byte	0                               ; 0x0
	.size	__hip_cuid_299e80da4f89d632, 1

	.ident	"AMD clang version 19.0.0git (https://github.com/RadeonOpenCompute/llvm-project roc-6.4.0 25133 c7fe45cf4b819c5991fe208aaa96edf142730f1d)"
	.section	".note.GNU-stack","",@progbits
	.addrsig
	.addrsig_sym __hip_cuid_299e80da4f89d632
	.amdgpu_metadata
---
amdhsa.kernels:
  - .agpr_count:     0
    .args:
      - .address_space:  global
        .offset:         0
        .size:           8
        .value_kind:     global_buffer
      - .offset:         8
        .size:           4
        .value_kind:     by_value
      - .offset:         12
        .size:           4
        .value_kind:     by_value
    .group_segment_fixed_size: 0
    .kernarg_segment_align: 8
    .kernarg_segment_size: 16
    .language:       OpenCL C
    .language_version:
      - 2
      - 0
    .max_flat_workgroup_size: 32
    .name:           _ZN9rocsolver6v33100L6iota_nIfEEvPT_jS2_
    .private_segment_fixed_size: 0
    .sgpr_count:     10
    .sgpr_spill_count: 0
    .symbol:         _ZN9rocsolver6v33100L6iota_nIfEEvPT_jS2_.kd
    .uniform_work_group_size: 1
    .uses_dynamic_stack: false
    .vgpr_count:     2
    .vgpr_spill_count: 0
    .wavefront_size: 64
  - .agpr_count:     0
    .args:
      - .address_space:  global
        .offset:         0
        .size:           8
        .value_kind:     global_buffer
      - .offset:         8
        .size:           4
        .value_kind:     by_value
      - .offset:         12
        .size:           4
        .value_kind:     by_value
      - .offset:         16
        .size:           4
        .value_kind:     by_value
      - .offset:         24
        .size:           4
        .value_kind:     hidden_block_count_x
      - .offset:         28
        .size:           4
        .value_kind:     hidden_block_count_y
      - .offset:         32
        .size:           4
        .value_kind:     hidden_block_count_z
      - .offset:         36
        .size:           2
        .value_kind:     hidden_group_size_x
      - .offset:         38
        .size:           2
        .value_kind:     hidden_group_size_y
      - .offset:         40
        .size:           2
        .value_kind:     hidden_group_size_z
      - .offset:         42
        .size:           2
        .value_kind:     hidden_remainder_x
      - .offset:         44
        .size:           2
        .value_kind:     hidden_remainder_y
      - .offset:         46
        .size:           2
        .value_kind:     hidden_remainder_z
      - .offset:         64
        .size:           8
        .value_kind:     hidden_global_offset_x
      - .offset:         72
        .size:           8
        .value_kind:     hidden_global_offset_y
      - .offset:         80
        .size:           8
        .value_kind:     hidden_global_offset_z
      - .offset:         88
        .size:           2
        .value_kind:     hidden_grid_dims
    .group_segment_fixed_size: 0
    .kernarg_segment_align: 8
    .kernarg_segment_size: 280
    .language:       OpenCL C
    .language_version:
      - 2
      - 0
    .max_flat_workgroup_size: 1024
    .name:           _ZN9rocsolver6v33100L10reset_infoIfiiEEvPT_T0_T1_S4_
    .private_segment_fixed_size: 0
    .sgpr_count:     12
    .sgpr_spill_count: 0
    .symbol:         _ZN9rocsolver6v33100L10reset_infoIfiiEEvPT_T0_T1_S4_.kd
    .uniform_work_group_size: 1
    .uses_dynamic_stack: false
    .vgpr_count:     4
    .vgpr_spill_count: 0
    .wavefront_size: 64
  - .agpr_count:     0
    .args:
      - .address_space:  global
        .offset:         0
        .size:           8
        .value_kind:     global_buffer
      - .offset:         8
        .size:           4
        .value_kind:     by_value
      - .offset:         12
        .size:           4
        .value_kind:     by_value
      - .offset:         16
        .size:           4
        .value_kind:     by_value
      - .offset:         24
        .size:           4
        .value_kind:     hidden_block_count_x
      - .offset:         28
        .size:           4
        .value_kind:     hidden_block_count_y
      - .offset:         32
        .size:           4
        .value_kind:     hidden_block_count_z
      - .offset:         36
        .size:           2
        .value_kind:     hidden_group_size_x
      - .offset:         38
        .size:           2
        .value_kind:     hidden_group_size_y
      - .offset:         40
        .size:           2
        .value_kind:     hidden_group_size_z
      - .offset:         42
        .size:           2
        .value_kind:     hidden_remainder_x
      - .offset:         44
        .size:           2
        .value_kind:     hidden_remainder_y
      - .offset:         46
        .size:           2
        .value_kind:     hidden_remainder_z
      - .offset:         64
        .size:           8
        .value_kind:     hidden_global_offset_x
      - .offset:         72
        .size:           8
        .value_kind:     hidden_global_offset_y
      - .offset:         80
        .size:           8
        .value_kind:     hidden_global_offset_z
      - .offset:         88
        .size:           2
        .value_kind:     hidden_grid_dims
    .group_segment_fixed_size: 0
    .kernarg_segment_align: 8
    .kernarg_segment_size: 280
    .language:       OpenCL C
    .language_version:
      - 2
      - 0
    .max_flat_workgroup_size: 1024
    .name:           _ZN9rocsolver6v33100L10reset_infoIiiiEEvPT_T0_T1_S4_
    .private_segment_fixed_size: 0
    .sgpr_count:     12
    .sgpr_spill_count: 0
    .symbol:         _ZN9rocsolver6v33100L10reset_infoIiiiEEvPT_T0_T1_S4_.kd
    .uniform_work_group_size: 1
    .uses_dynamic_stack: false
    .vgpr_count:     4
    .vgpr_spill_count: 0
    .wavefront_size: 64
  - .agpr_count:     0
    .args:
      - .offset:         0
        .size:           4
        .value_kind:     by_value
      - .address_space:  global
        .offset:         8
        .size:           8
        .value_kind:     global_buffer
      - .offset:         16
        .size:           8
        .value_kind:     by_value
      - .address_space:  global
        .offset:         24
        .size:           8
        .value_kind:     global_buffer
      - .offset:         32
        .size:           8
        .value_kind:     by_value
      - .offset:         40
        .size:           4
        .value_kind:     by_value
      - .offset:         48
        .size:           4
        .value_kind:     hidden_block_count_x
      - .offset:         52
        .size:           4
        .value_kind:     hidden_block_count_y
      - .offset:         56
        .size:           4
        .value_kind:     hidden_block_count_z
      - .offset:         60
        .size:           2
        .value_kind:     hidden_group_size_x
      - .offset:         62
        .size:           2
        .value_kind:     hidden_group_size_y
      - .offset:         64
        .size:           2
        .value_kind:     hidden_group_size_z
      - .offset:         66
        .size:           2
        .value_kind:     hidden_remainder_x
      - .offset:         68
        .size:           2
        .value_kind:     hidden_remainder_y
      - .offset:         70
        .size:           2
        .value_kind:     hidden_remainder_z
      - .offset:         88
        .size:           8
        .value_kind:     hidden_global_offset_x
      - .offset:         96
        .size:           8
        .value_kind:     hidden_global_offset_y
      - .offset:         104
        .size:           8
        .value_kind:     hidden_global_offset_z
      - .offset:         112
        .size:           2
        .value_kind:     hidden_grid_dims
    .group_segment_fixed_size: 0
    .kernarg_segment_align: 8
    .kernarg_segment_size: 304
    .language:       OpenCL C
    .language_version:
      - 2
      - 0
    .max_flat_workgroup_size: 1024
    .name:           _ZN9rocsolver6v33100L16syev_scalar_caseIfPfTnNSt9enable_ifIXnt18rocblas_is_complexIT_EEiE4typeELi0EEEv14rocblas_evect_T0_lPS4_li
    .private_segment_fixed_size: 0
    .sgpr_count:     20
    .sgpr_spill_count: 0
    .symbol:         _ZN9rocsolver6v33100L16syev_scalar_caseIfPfTnNSt9enable_ifIXnt18rocblas_is_complexIT_EEiE4typeELi0EEEv14rocblas_evect_T0_lPS4_li.kd
    .uniform_work_group_size: 1
    .uses_dynamic_stack: false
    .vgpr_count:     7
    .vgpr_spill_count: 0
    .wavefront_size: 64
  - .agpr_count:     0
    .args:
      - .offset:         0
        .size:           4
        .value_kind:     by_value
      - .offset:         4
        .size:           4
        .value_kind:     by_value
      - .offset:         8
        .size:           4
        .value_kind:     by_value
      - .offset:         12
        .size:           4
        .value_kind:     by_value
      - .address_space:  global
        .offset:         16
        .size:           8
        .value_kind:     global_buffer
      - .offset:         24
        .size:           4
        .value_kind:     by_value
      - .offset:         28
        .size:           4
        .value_kind:     by_value
      - .offset:         32
        .size:           8
        .value_kind:     by_value
      - .offset:         40
        .size:           4
        .value_kind:     by_value
      - .offset:         44
        .size:           4
        .value_kind:     by_value
      - .address_space:  global
        .offset:         48
        .size:           8
        .value_kind:     global_buffer
      - .offset:         56
        .size:           4
        .value_kind:     by_value
      - .address_space:  global
        .offset:         64
        .size:           8
        .value_kind:     global_buffer
      - .address_space:  global
        .offset:         72
        .size:           8
        .value_kind:     global_buffer
      - .offset:         80
        .size:           8
        .value_kind:     by_value
      - .address_space:  global
        .offset:         88
        .size:           8
        .value_kind:     global_buffer
      - .address_space:  global
        .offset:         96
        .size:           8
        .value_kind:     global_buffer
    .group_segment_fixed_size: 0
    .kernarg_segment_align: 8
    .kernarg_segment_size: 104
    .language:       OpenCL C
    .language_version:
      - 2
      - 0
    .max_flat_workgroup_size: 1024
    .name:           _ZN9rocsolver6v33100L18syevj_small_kernelIffPfEEv14rocblas_esort_14rocblas_evect_13rocblas_fill_iT1_iilT0_S7_PS7_iPiS8_lS9_PT_
    .private_segment_fixed_size: 0
    .sgpr_count:     89
    .sgpr_spill_count: 0
    .symbol:         _ZN9rocsolver6v33100L18syevj_small_kernelIffPfEEv14rocblas_esort_14rocblas_evect_13rocblas_fill_iT1_iilT0_S7_PS7_iPiS8_lS9_PT_.kd
    .uniform_work_group_size: 1
    .uses_dynamic_stack: false
    .vgpr_count:     39
    .vgpr_spill_count: 0
    .wavefront_size: 64
  - .agpr_count:     0
    .args:
      - .offset:         0
        .size:           4
        .value_kind:     by_value
      - .offset:         4
        .size:           4
        .value_kind:     by_value
      - .offset:         8
        .size:           4
        .value_kind:     by_value
      - .offset:         12
        .size:           4
        .value_kind:     by_value
      - .address_space:  global
        .offset:         16
        .size:           8
        .value_kind:     global_buffer
      - .offset:         24
        .size:           4
        .value_kind:     by_value
      - .offset:         28
        .size:           4
        .value_kind:     by_value
      - .offset:         32
        .size:           8
        .value_kind:     by_value
      - .offset:         40
        .size:           4
        .value_kind:     by_value
      - .address_space:  global
        .offset:         48
        .size:           8
        .value_kind:     global_buffer
      - .address_space:  global
        .offset:         56
        .size:           8
        .value_kind:     global_buffer
      - .address_space:  global
        .offset:         64
        .size:           8
        .value_kind:     global_buffer
      - .address_space:  global
        .offset:         72
        .size:           8
        .value_kind:     global_buffer
      - .address_space:  global
        .offset:         80
        .size:           8
        .value_kind:     global_buffer
      - .address_space:  global
        .offset:         88
        .size:           8
        .value_kind:     global_buffer
      - .offset:         96
        .size:           4
        .value_kind:     hidden_block_count_x
      - .offset:         100
        .size:           4
        .value_kind:     hidden_block_count_y
      - .offset:         104
        .size:           4
        .value_kind:     hidden_block_count_z
      - .offset:         108
        .size:           2
        .value_kind:     hidden_group_size_x
      - .offset:         110
        .size:           2
        .value_kind:     hidden_group_size_y
      - .offset:         112
        .size:           2
        .value_kind:     hidden_group_size_z
      - .offset:         114
        .size:           2
        .value_kind:     hidden_remainder_x
      - .offset:         116
        .size:           2
        .value_kind:     hidden_remainder_y
      - .offset:         118
        .size:           2
        .value_kind:     hidden_remainder_z
      - .offset:         136
        .size:           8
        .value_kind:     hidden_global_offset_x
      - .offset:         144
        .size:           8
        .value_kind:     hidden_global_offset_y
      - .offset:         152
        .size:           8
        .value_kind:     hidden_global_offset_z
      - .offset:         160
        .size:           2
        .value_kind:     hidden_grid_dims
      - .offset:         216
        .size:           4
        .value_kind:     hidden_dynamic_lds_size
    .group_segment_fixed_size: 0
    .kernarg_segment_align: 8
    .kernarg_segment_size: 352
    .language:       OpenCL C
    .language_version:
      - 2
      - 0
    .max_flat_workgroup_size: 1024
    .name:           _ZN9rocsolver6v33100L10syevj_initIffPfEEv14rocblas_evect_13rocblas_fill_iiT1_iilT0_PS6_PT_S7_PiSA_SA_
    .private_segment_fixed_size: 0
    .sgpr_count:     55
    .sgpr_spill_count: 0
    .symbol:         _ZN9rocsolver6v33100L10syevj_initIffPfEEv14rocblas_evect_13rocblas_fill_iiT1_iilT0_PS6_PT_S7_PiSA_SA_.kd
    .uniform_work_group_size: 1
    .uses_dynamic_stack: false
    .vgpr_count:     30
    .vgpr_spill_count: 0
    .wavefront_size: 64
  - .agpr_count:     0
    .args:
      - .offset:         0
        .size:           4
        .value_kind:     by_value
      - .address_space:  global
        .offset:         8
        .size:           8
        .value_kind:     global_buffer
      - .offset:         16
        .size:           4
        .value_kind:     by_value
      - .offset:         20
        .size:           4
        .value_kind:     by_value
      - .offset:         24
        .size:           8
        .value_kind:     by_value
      - .offset:         32
        .size:           4
        .value_kind:     by_value
      - .address_space:  global
        .offset:         40
        .size:           8
        .value_kind:     global_buffer
      - .address_space:  global
        .offset:         48
        .size:           8
        .value_kind:     global_buffer
      - .offset:         56
        .size:           4
        .value_kind:     hidden_block_count_x
      - .offset:         60
        .size:           4
        .value_kind:     hidden_block_count_y
      - .offset:         64
        .size:           4
        .value_kind:     hidden_block_count_z
      - .offset:         68
        .size:           2
        .value_kind:     hidden_group_size_x
      - .offset:         70
        .size:           2
        .value_kind:     hidden_group_size_y
      - .offset:         72
        .size:           2
        .value_kind:     hidden_group_size_z
      - .offset:         74
        .size:           2
        .value_kind:     hidden_remainder_x
      - .offset:         76
        .size:           2
        .value_kind:     hidden_remainder_y
      - .offset:         78
        .size:           2
        .value_kind:     hidden_remainder_z
      - .offset:         96
        .size:           8
        .value_kind:     hidden_global_offset_x
      - .offset:         104
        .size:           8
        .value_kind:     hidden_global_offset_y
      - .offset:         112
        .size:           8
        .value_kind:     hidden_global_offset_z
      - .offset:         120
        .size:           2
        .value_kind:     hidden_grid_dims
      - .offset:         176
        .size:           4
        .value_kind:     hidden_dynamic_lds_size
    .group_segment_fixed_size: 0
    .kernarg_segment_align: 8
    .kernarg_segment_size: 312
    .language:       OpenCL C
    .language_version:
      - 2
      - 0
    .max_flat_workgroup_size: 1024
    .name:           _ZN9rocsolver6v33100L17syevj_diag_kernelIffPfEEviT1_iilT0_PT_Pi
    .private_segment_fixed_size: 0
    .sgpr_count:     41
    .sgpr_spill_count: 0
    .symbol:         _ZN9rocsolver6v33100L17syevj_diag_kernelIffPfEEviT1_iilT0_PT_Pi.kd
    .uniform_work_group_size: 1
    .uses_dynamic_stack: false
    .vgpr_count:     31
    .vgpr_spill_count: 0
    .wavefront_size: 64
  - .agpr_count:     0
    .args:
      - .offset:         0
        .size:           1
        .value_kind:     by_value
      - .offset:         4
        .size:           4
        .value_kind:     by_value
      - .address_space:  global
        .offset:         8
        .size:           8
        .value_kind:     global_buffer
      - .offset:         16
        .size:           4
        .value_kind:     by_value
      - .offset:         20
        .size:           4
        .value_kind:     by_value
      - .offset:         24
        .size:           8
        .value_kind:     by_value
      - .address_space:  global
        .offset:         32
        .size:           8
        .value_kind:     global_buffer
      - .address_space:  global
        .offset:         40
        .size:           8
        .value_kind:     global_buffer
      - .offset:         48
        .size:           4
        .value_kind:     hidden_block_count_x
      - .offset:         52
        .size:           4
        .value_kind:     hidden_block_count_y
      - .offset:         56
        .size:           4
        .value_kind:     hidden_block_count_z
      - .offset:         60
        .size:           2
        .value_kind:     hidden_group_size_x
      - .offset:         62
        .size:           2
        .value_kind:     hidden_group_size_y
      - .offset:         64
        .size:           2
        .value_kind:     hidden_group_size_z
      - .offset:         66
        .size:           2
        .value_kind:     hidden_remainder_x
      - .offset:         68
        .size:           2
        .value_kind:     hidden_remainder_y
      - .offset:         70
        .size:           2
        .value_kind:     hidden_remainder_z
      - .offset:         88
        .size:           8
        .value_kind:     hidden_global_offset_x
      - .offset:         96
        .size:           8
        .value_kind:     hidden_global_offset_y
      - .offset:         104
        .size:           8
        .value_kind:     hidden_global_offset_z
      - .offset:         112
        .size:           2
        .value_kind:     hidden_grid_dims
    .group_segment_fixed_size: 0
    .kernarg_segment_align: 8
    .kernarg_segment_size: 304
    .language:       OpenCL C
    .language_version:
      - 2
      - 0
    .max_flat_workgroup_size: 1024
    .name:           _ZN9rocsolver6v33100L21syevj_diag_rotate_orgILb0EffPfEEvbiT2_iilPT0_Pi
    .private_segment_fixed_size: 0
    .sgpr_count:     24
    .sgpr_spill_count: 0
    .symbol:         _ZN9rocsolver6v33100L21syevj_diag_rotate_orgILb0EffPfEEvbiT2_iilPT0_Pi.kd
    .uniform_work_group_size: 1
    .uses_dynamic_stack: false
    .vgpr_count:     12
    .vgpr_spill_count: 0
    .wavefront_size: 64
  - .agpr_count:     0
    .args:
      - .offset:         0
        .size:           1
        .value_kind:     by_value
      - .offset:         4
        .size:           4
        .value_kind:     by_value
      - .address_space:  global
        .offset:         8
        .size:           8
        .value_kind:     global_buffer
      - .offset:         16
        .size:           4
        .value_kind:     by_value
      - .offset:         20
        .size:           4
        .value_kind:     by_value
      - .offset:         24
        .size:           8
        .value_kind:     by_value
      - .address_space:  global
        .offset:         32
        .size:           8
        .value_kind:     global_buffer
      - .address_space:  global
        .offset:         40
        .size:           8
        .value_kind:     global_buffer
      - .offset:         48
        .size:           4
        .value_kind:     hidden_block_count_x
      - .offset:         52
        .size:           4
        .value_kind:     hidden_block_count_y
      - .offset:         56
        .size:           4
        .value_kind:     hidden_block_count_z
      - .offset:         60
        .size:           2
        .value_kind:     hidden_group_size_x
      - .offset:         62
        .size:           2
        .value_kind:     hidden_group_size_y
      - .offset:         64
        .size:           2
        .value_kind:     hidden_group_size_z
      - .offset:         66
        .size:           2
        .value_kind:     hidden_remainder_x
      - .offset:         68
        .size:           2
        .value_kind:     hidden_remainder_y
      - .offset:         70
        .size:           2
        .value_kind:     hidden_remainder_z
      - .offset:         88
        .size:           8
        .value_kind:     hidden_global_offset_x
      - .offset:         96
        .size:           8
        .value_kind:     hidden_global_offset_y
      - .offset:         104
        .size:           8
        .value_kind:     hidden_global_offset_z
      - .offset:         112
        .size:           2
        .value_kind:     hidden_grid_dims
    .group_segment_fixed_size: 0
    .kernarg_segment_align: 8
    .kernarg_segment_size: 304
    .language:       OpenCL C
    .language_version:
      - 2
      - 0
    .max_flat_workgroup_size: 1024
    .name:           _ZN9rocsolver6v33100L21syevj_diag_rotate_orgILb1EffPfEEvbiT2_iilPT0_Pi
    .private_segment_fixed_size: 0
    .sgpr_count:     24
    .sgpr_spill_count: 0
    .symbol:         _ZN9rocsolver6v33100L21syevj_diag_rotate_orgILb1EffPfEEvbiT2_iilPT0_Pi.kd
    .uniform_work_group_size: 1
    .uses_dynamic_stack: false
    .vgpr_count:     12
    .vgpr_spill_count: 0
    .wavefront_size: 64
  - .agpr_count:     0
    .args:
      - .offset:         0
        .size:           1
        .value_kind:     by_value
      - .offset:         4
        .size:           4
        .value_kind:     by_value
      - .offset:         8
        .size:           4
        .value_kind:     by_value
      - .address_space:  global
        .offset:         16
        .size:           8
        .value_kind:     global_buffer
      - .offset:         24
        .size:           4
        .value_kind:     by_value
      - .offset:         28
        .size:           4
        .value_kind:     by_value
      - .offset:         32
        .size:           8
        .value_kind:     by_value
      - .address_space:  global
        .offset:         40
        .size:           8
        .value_kind:     global_buffer
      - .address_space:  global
        .offset:         48
        .size:           8
        .value_kind:     global_buffer
      - .offset:         56
        .size:           4
        .value_kind:     by_value
      - .offset:         64
        .size:           4
        .value_kind:     hidden_block_count_x
      - .offset:         68
        .size:           4
        .value_kind:     hidden_block_count_y
      - .offset:         72
        .size:           4
        .value_kind:     hidden_block_count_z
      - .offset:         76
        .size:           2
        .value_kind:     hidden_group_size_x
      - .offset:         78
        .size:           2
        .value_kind:     hidden_group_size_y
      - .offset:         80
        .size:           2
        .value_kind:     hidden_group_size_z
      - .offset:         82
        .size:           2
        .value_kind:     hidden_remainder_x
      - .offset:         84
        .size:           2
        .value_kind:     hidden_remainder_y
      - .offset:         86
        .size:           2
        .value_kind:     hidden_remainder_z
      - .offset:         104
        .size:           8
        .value_kind:     hidden_global_offset_x
      - .offset:         112
        .size:           8
        .value_kind:     hidden_global_offset_y
      - .offset:         120
        .size:           8
        .value_kind:     hidden_global_offset_z
      - .offset:         128
        .size:           2
        .value_kind:     hidden_grid_dims
      - .offset:         144
        .size:           8
        .value_kind:     hidden_hostcall_buffer
      - .offset:         184
        .size:           4
        .value_kind:     hidden_dynamic_lds_size
    .group_segment_fixed_size: 0
    .kernarg_segment_align: 8
    .kernarg_segment_size: 320
    .language:       OpenCL C
    .language_version:
      - 2
      - 0
    .max_flat_workgroup_size: 1024
    .name:           _ZN9rocsolver6v33100L17syevj_diag_rotateILb0EffPfEEvbiiT2_iilPT0_Pii
    .private_segment_fixed_size: 64
    .sgpr_count:     81
    .sgpr_spill_count: 0
    .symbol:         _ZN9rocsolver6v33100L17syevj_diag_rotateILb0EffPfEEvbiiT2_iilPT0_Pii.kd
    .uniform_work_group_size: 1
    .uses_dynamic_stack: false
    .vgpr_count:     42
    .vgpr_spill_count: 0
    .wavefront_size: 64
  - .agpr_count:     0
    .args:
      - .offset:         0
        .size:           1
        .value_kind:     by_value
      - .offset:         4
        .size:           4
        .value_kind:     by_value
      - .offset:         8
        .size:           4
        .value_kind:     by_value
      - .address_space:  global
        .offset:         16
        .size:           8
        .value_kind:     global_buffer
      - .offset:         24
        .size:           4
        .value_kind:     by_value
      - .offset:         28
        .size:           4
        .value_kind:     by_value
      - .offset:         32
        .size:           8
        .value_kind:     by_value
      - .address_space:  global
        .offset:         40
        .size:           8
        .value_kind:     global_buffer
      - .address_space:  global
        .offset:         48
        .size:           8
        .value_kind:     global_buffer
      - .offset:         56
        .size:           4
        .value_kind:     by_value
      - .offset:         64
        .size:           4
        .value_kind:     hidden_block_count_x
      - .offset:         68
        .size:           4
        .value_kind:     hidden_block_count_y
      - .offset:         72
        .size:           4
        .value_kind:     hidden_block_count_z
      - .offset:         76
        .size:           2
        .value_kind:     hidden_group_size_x
      - .offset:         78
        .size:           2
        .value_kind:     hidden_group_size_y
      - .offset:         80
        .size:           2
        .value_kind:     hidden_group_size_z
      - .offset:         82
        .size:           2
        .value_kind:     hidden_remainder_x
      - .offset:         84
        .size:           2
        .value_kind:     hidden_remainder_y
      - .offset:         86
        .size:           2
        .value_kind:     hidden_remainder_z
      - .offset:         104
        .size:           8
        .value_kind:     hidden_global_offset_x
      - .offset:         112
        .size:           8
        .value_kind:     hidden_global_offset_y
      - .offset:         120
        .size:           8
        .value_kind:     hidden_global_offset_z
      - .offset:         128
        .size:           2
        .value_kind:     hidden_grid_dims
      - .offset:         144
        .size:           8
        .value_kind:     hidden_hostcall_buffer
      - .offset:         184
        .size:           4
        .value_kind:     hidden_dynamic_lds_size
    .group_segment_fixed_size: 0
    .kernarg_segment_align: 8
    .kernarg_segment_size: 320
    .language:       OpenCL C
    .language_version:
      - 2
      - 0
    .max_flat_workgroup_size: 1024
    .name:           _ZN9rocsolver6v33100L17syevj_diag_rotateILb1EffPfEEvbiiT2_iilPT0_Pii
    .private_segment_fixed_size: 64
    .sgpr_count:     80
    .sgpr_spill_count: 0
    .symbol:         _ZN9rocsolver6v33100L17syevj_diag_rotateILb1EffPfEEvbiiT2_iilPT0_Pii.kd
    .uniform_work_group_size: 1
    .uses_dynamic_stack: false
    .vgpr_count:     42
    .vgpr_spill_count: 0
    .wavefront_size: 64
  - .agpr_count:     0
    .args:
      - .offset:         0
        .size:           4
        .value_kind:     by_value
      - .offset:         4
        .size:           4
        .value_kind:     by_value
      - .address_space:  global
        .offset:         8
        .size:           8
        .value_kind:     global_buffer
      - .offset:         16
        .size:           4
        .value_kind:     by_value
      - .offset:         20
        .size:           4
        .value_kind:     by_value
      - .offset:         24
        .size:           8
        .value_kind:     by_value
      - .offset:         32
        .size:           4
        .value_kind:     by_value
      - .address_space:  global
        .offset:         40
        .size:           8
        .value_kind:     global_buffer
      - .address_space:  global
        .offset:         48
        .size:           8
        .value_kind:     global_buffer
      - .address_space:  global
        .offset:         56
        .size:           8
        .value_kind:     global_buffer
      - .address_space:  global
        .offset:         64
        .size:           8
        .value_kind:     global_buffer
      - .offset:         72
        .size:           4
        .value_kind:     hidden_block_count_x
      - .offset:         76
        .size:           4
        .value_kind:     hidden_block_count_y
      - .offset:         80
        .size:           4
        .value_kind:     hidden_block_count_z
      - .offset:         84
        .size:           2
        .value_kind:     hidden_group_size_x
      - .offset:         86
        .size:           2
        .value_kind:     hidden_group_size_y
      - .offset:         88
        .size:           2
        .value_kind:     hidden_group_size_z
      - .offset:         90
        .size:           2
        .value_kind:     hidden_remainder_x
      - .offset:         92
        .size:           2
        .value_kind:     hidden_remainder_y
      - .offset:         94
        .size:           2
        .value_kind:     hidden_remainder_z
      - .offset:         112
        .size:           8
        .value_kind:     hidden_global_offset_x
      - .offset:         120
        .size:           8
        .value_kind:     hidden_global_offset_y
      - .offset:         128
        .size:           8
        .value_kind:     hidden_global_offset_z
      - .offset:         136
        .size:           2
        .value_kind:     hidden_grid_dims
      - .offset:         192
        .size:           4
        .value_kind:     hidden_dynamic_lds_size
    .group_segment_fixed_size: 0
    .kernarg_segment_align: 8
    .kernarg_segment_size: 328
    .language:       OpenCL C
    .language_version:
      - 2
      - 0
    .max_flat_workgroup_size: 1024
    .name:           _ZN9rocsolver6v33100L21syevj_offd_kernel_orgIffPfEEviiT1_iilT0_PT_PiS7_S7_
    .private_segment_fixed_size: 0
    .sgpr_count:     40
    .sgpr_spill_count: 0
    .symbol:         _ZN9rocsolver6v33100L21syevj_offd_kernel_orgIffPfEEviiT1_iilT0_PT_PiS7_S7_.kd
    .uniform_work_group_size: 1
    .uses_dynamic_stack: false
    .vgpr_count:     45
    .vgpr_spill_count: 0
    .wavefront_size: 64
  - .agpr_count:     0
    .args:
      - .offset:         0
        .size:           4
        .value_kind:     by_value
      - .offset:         4
        .size:           4
        .value_kind:     by_value
      - .address_space:  global
        .offset:         8
        .size:           8
        .value_kind:     global_buffer
      - .offset:         16
        .size:           4
        .value_kind:     by_value
      - .offset:         20
        .size:           4
        .value_kind:     by_value
      - .offset:         24
        .size:           8
        .value_kind:     by_value
      - .offset:         32
        .size:           4
        .value_kind:     by_value
      - .address_space:  global
        .offset:         40
        .size:           8
        .value_kind:     global_buffer
      - .address_space:  global
        .offset:         48
        .size:           8
        .value_kind:     global_buffer
      - .address_space:  global
        .offset:         56
        .size:           8
        .value_kind:     global_buffer
      - .address_space:  global
        .offset:         64
        .size:           8
        .value_kind:     global_buffer
      - .offset:         72
        .size:           4
        .value_kind:     by_value
      - .offset:         80
        .size:           4
        .value_kind:     hidden_block_count_x
      - .offset:         84
        .size:           4
        .value_kind:     hidden_block_count_y
      - .offset:         88
        .size:           4
        .value_kind:     hidden_block_count_z
      - .offset:         92
        .size:           2
        .value_kind:     hidden_group_size_x
      - .offset:         94
        .size:           2
        .value_kind:     hidden_group_size_y
      - .offset:         96
        .size:           2
        .value_kind:     hidden_group_size_z
      - .offset:         98
        .size:           2
        .value_kind:     hidden_remainder_x
      - .offset:         100
        .size:           2
        .value_kind:     hidden_remainder_y
      - .offset:         102
        .size:           2
        .value_kind:     hidden_remainder_z
      - .offset:         120
        .size:           8
        .value_kind:     hidden_global_offset_x
      - .offset:         128
        .size:           8
        .value_kind:     hidden_global_offset_y
      - .offset:         136
        .size:           8
        .value_kind:     hidden_global_offset_z
      - .offset:         144
        .size:           2
        .value_kind:     hidden_grid_dims
      - .offset:         200
        .size:           4
        .value_kind:     hidden_dynamic_lds_size
    .group_segment_fixed_size: 0
    .kernarg_segment_align: 8
    .kernarg_segment_size: 336
    .language:       OpenCL C
    .language_version:
      - 2
      - 0
    .max_flat_workgroup_size: 1024
    .name:           _ZN9rocsolver6v33100L17syevj_offd_kernelIffPfEEviiT1_iilT0_PT_PiS7_S7_i
    .private_segment_fixed_size: 0
    .sgpr_count:     91
    .sgpr_spill_count: 0
    .symbol:         _ZN9rocsolver6v33100L17syevj_offd_kernelIffPfEEviiT1_iilT0_PT_PiS7_S7_i.kd
    .uniform_work_group_size: 1
    .uses_dynamic_stack: false
    .vgpr_count:     41
    .vgpr_spill_count: 0
    .wavefront_size: 64
  - .agpr_count:     0
    .args:
      - .offset:         0
        .size:           1
        .value_kind:     by_value
      - .offset:         4
        .size:           4
        .value_kind:     by_value
      - .offset:         8
        .size:           4
        .value_kind:     by_value
      - .address_space:  global
        .offset:         16
        .size:           8
        .value_kind:     global_buffer
      - .offset:         24
        .size:           4
        .value_kind:     by_value
      - .offset:         28
        .size:           4
        .value_kind:     by_value
      - .offset:         32
        .size:           8
        .value_kind:     by_value
      - .address_space:  global
        .offset:         40
        .size:           8
        .value_kind:     global_buffer
      - .address_space:  global
        .offset:         48
        .size:           8
        .value_kind:     global_buffer
      - .address_space:  global
        .offset:         56
        .size:           8
        .value_kind:     global_buffer
      - .address_space:  global
        .offset:         64
        .size:           8
        .value_kind:     global_buffer
      - .offset:         72
        .size:           4
        .value_kind:     hidden_block_count_x
      - .offset:         76
        .size:           4
        .value_kind:     hidden_block_count_y
      - .offset:         80
        .size:           4
        .value_kind:     hidden_block_count_z
      - .offset:         84
        .size:           2
        .value_kind:     hidden_group_size_x
      - .offset:         86
        .size:           2
        .value_kind:     hidden_group_size_y
      - .offset:         88
        .size:           2
        .value_kind:     hidden_group_size_z
      - .offset:         90
        .size:           2
        .value_kind:     hidden_remainder_x
      - .offset:         92
        .size:           2
        .value_kind:     hidden_remainder_y
      - .offset:         94
        .size:           2
        .value_kind:     hidden_remainder_z
      - .offset:         112
        .size:           8
        .value_kind:     hidden_global_offset_x
      - .offset:         120
        .size:           8
        .value_kind:     hidden_global_offset_y
      - .offset:         128
        .size:           8
        .value_kind:     hidden_global_offset_z
      - .offset:         136
        .size:           2
        .value_kind:     hidden_grid_dims
    .group_segment_fixed_size: 0
    .kernarg_segment_align: 8
    .kernarg_segment_size: 328
    .language:       OpenCL C
    .language_version:
      - 2
      - 0
    .max_flat_workgroup_size: 1024
    .name:           _ZN9rocsolver6v33100L21syevj_offd_rotate_orgILb0EffPfEEvbiiT2_iilPT0_PiS6_S6_
    .private_segment_fixed_size: 0
    .sgpr_count:     26
    .sgpr_spill_count: 0
    .symbol:         _ZN9rocsolver6v33100L21syevj_offd_rotate_orgILb0EffPfEEvbiiT2_iilPT0_PiS6_S6_.kd
    .uniform_work_group_size: 1
    .uses_dynamic_stack: false
    .vgpr_count:     16
    .vgpr_spill_count: 0
    .wavefront_size: 64
  - .agpr_count:     0
    .args:
      - .offset:         0
        .size:           1
        .value_kind:     by_value
      - .offset:         4
        .size:           4
        .value_kind:     by_value
      - .offset:         8
        .size:           4
        .value_kind:     by_value
      - .address_space:  global
        .offset:         16
        .size:           8
        .value_kind:     global_buffer
      - .offset:         24
        .size:           4
        .value_kind:     by_value
      - .offset:         28
        .size:           4
        .value_kind:     by_value
      - .offset:         32
        .size:           8
        .value_kind:     by_value
      - .address_space:  global
        .offset:         40
        .size:           8
        .value_kind:     global_buffer
      - .address_space:  global
        .offset:         48
        .size:           8
        .value_kind:     global_buffer
      - .address_space:  global
        .offset:         56
        .size:           8
        .value_kind:     global_buffer
      - .address_space:  global
        .offset:         64
        .size:           8
        .value_kind:     global_buffer
      - .offset:         72
        .size:           4
        .value_kind:     by_value
      - .offset:         80
        .size:           4
        .value_kind:     hidden_block_count_x
      - .offset:         84
        .size:           4
        .value_kind:     hidden_block_count_y
      - .offset:         88
        .size:           4
        .value_kind:     hidden_block_count_z
      - .offset:         92
        .size:           2
        .value_kind:     hidden_group_size_x
      - .offset:         94
        .size:           2
        .value_kind:     hidden_group_size_y
      - .offset:         96
        .size:           2
        .value_kind:     hidden_group_size_z
      - .offset:         98
        .size:           2
        .value_kind:     hidden_remainder_x
      - .offset:         100
        .size:           2
        .value_kind:     hidden_remainder_y
      - .offset:         102
        .size:           2
        .value_kind:     hidden_remainder_z
      - .offset:         120
        .size:           8
        .value_kind:     hidden_global_offset_x
      - .offset:         128
        .size:           8
        .value_kind:     hidden_global_offset_y
      - .offset:         136
        .size:           8
        .value_kind:     hidden_global_offset_z
      - .offset:         144
        .size:           2
        .value_kind:     hidden_grid_dims
      - .offset:         200
        .size:           4
        .value_kind:     hidden_dynamic_lds_size
    .group_segment_fixed_size: 0
    .kernarg_segment_align: 8
    .kernarg_segment_size: 336
    .language:       OpenCL C
    .language_version:
      - 2
      - 0
    .max_flat_workgroup_size: 1024
    .name:           _ZN9rocsolver6v33100L17syevj_offd_rotateILb0EffPfEEvbiiT2_iilPT0_PiS6_S6_i
    .private_segment_fixed_size: 0
    .sgpr_count:     85
    .sgpr_spill_count: 0
    .symbol:         _ZN9rocsolver6v33100L17syevj_offd_rotateILb0EffPfEEvbiiT2_iilPT0_PiS6_S6_i.kd
    .uniform_work_group_size: 1
    .uses_dynamic_stack: false
    .vgpr_count:     18
    .vgpr_spill_count: 0
    .wavefront_size: 64
  - .agpr_count:     0
    .args:
      - .offset:         0
        .size:           1
        .value_kind:     by_value
      - .offset:         4
        .size:           4
        .value_kind:     by_value
      - .offset:         8
        .size:           4
        .value_kind:     by_value
      - .address_space:  global
        .offset:         16
        .size:           8
        .value_kind:     global_buffer
      - .offset:         24
        .size:           4
        .value_kind:     by_value
      - .offset:         28
        .size:           4
        .value_kind:     by_value
      - .offset:         32
        .size:           8
        .value_kind:     by_value
      - .address_space:  global
        .offset:         40
        .size:           8
        .value_kind:     global_buffer
      - .address_space:  global
        .offset:         48
        .size:           8
        .value_kind:     global_buffer
      - .address_space:  global
        .offset:         56
        .size:           8
        .value_kind:     global_buffer
      - .address_space:  global
        .offset:         64
        .size:           8
        .value_kind:     global_buffer
      - .offset:         72
        .size:           4
        .value_kind:     hidden_block_count_x
      - .offset:         76
        .size:           4
        .value_kind:     hidden_block_count_y
      - .offset:         80
        .size:           4
        .value_kind:     hidden_block_count_z
      - .offset:         84
        .size:           2
        .value_kind:     hidden_group_size_x
      - .offset:         86
        .size:           2
        .value_kind:     hidden_group_size_y
      - .offset:         88
        .size:           2
        .value_kind:     hidden_group_size_z
      - .offset:         90
        .size:           2
        .value_kind:     hidden_remainder_x
      - .offset:         92
        .size:           2
        .value_kind:     hidden_remainder_y
      - .offset:         94
        .size:           2
        .value_kind:     hidden_remainder_z
      - .offset:         112
        .size:           8
        .value_kind:     hidden_global_offset_x
      - .offset:         120
        .size:           8
        .value_kind:     hidden_global_offset_y
      - .offset:         128
        .size:           8
        .value_kind:     hidden_global_offset_z
      - .offset:         136
        .size:           2
        .value_kind:     hidden_grid_dims
    .group_segment_fixed_size: 0
    .kernarg_segment_align: 8
    .kernarg_segment_size: 328
    .language:       OpenCL C
    .language_version:
      - 2
      - 0
    .max_flat_workgroup_size: 1024
    .name:           _ZN9rocsolver6v33100L21syevj_offd_rotate_orgILb1EffPfEEvbiiT2_iilPT0_PiS6_S6_
    .private_segment_fixed_size: 0
    .sgpr_count:     25
    .sgpr_spill_count: 0
    .symbol:         _ZN9rocsolver6v33100L21syevj_offd_rotate_orgILb1EffPfEEvbiiT2_iilPT0_PiS6_S6_.kd
    .uniform_work_group_size: 1
    .uses_dynamic_stack: false
    .vgpr_count:     16
    .vgpr_spill_count: 0
    .wavefront_size: 64
  - .agpr_count:     0
    .args:
      - .offset:         0
        .size:           1
        .value_kind:     by_value
      - .offset:         4
        .size:           4
        .value_kind:     by_value
      - .offset:         8
        .size:           4
        .value_kind:     by_value
      - .address_space:  global
        .offset:         16
        .size:           8
        .value_kind:     global_buffer
      - .offset:         24
        .size:           4
        .value_kind:     by_value
      - .offset:         28
        .size:           4
        .value_kind:     by_value
      - .offset:         32
        .size:           8
        .value_kind:     by_value
      - .address_space:  global
        .offset:         40
        .size:           8
        .value_kind:     global_buffer
      - .address_space:  global
        .offset:         48
        .size:           8
        .value_kind:     global_buffer
      - .address_space:  global
        .offset:         56
        .size:           8
        .value_kind:     global_buffer
      - .address_space:  global
        .offset:         64
        .size:           8
        .value_kind:     global_buffer
      - .offset:         72
        .size:           4
        .value_kind:     by_value
      - .offset:         80
        .size:           4
        .value_kind:     hidden_block_count_x
      - .offset:         84
        .size:           4
        .value_kind:     hidden_block_count_y
      - .offset:         88
        .size:           4
        .value_kind:     hidden_block_count_z
      - .offset:         92
        .size:           2
        .value_kind:     hidden_group_size_x
      - .offset:         94
        .size:           2
        .value_kind:     hidden_group_size_y
      - .offset:         96
        .size:           2
        .value_kind:     hidden_group_size_z
      - .offset:         98
        .size:           2
        .value_kind:     hidden_remainder_x
      - .offset:         100
        .size:           2
        .value_kind:     hidden_remainder_y
      - .offset:         102
        .size:           2
        .value_kind:     hidden_remainder_z
      - .offset:         120
        .size:           8
        .value_kind:     hidden_global_offset_x
      - .offset:         128
        .size:           8
        .value_kind:     hidden_global_offset_y
      - .offset:         136
        .size:           8
        .value_kind:     hidden_global_offset_z
      - .offset:         144
        .size:           2
        .value_kind:     hidden_grid_dims
      - .offset:         200
        .size:           4
        .value_kind:     hidden_dynamic_lds_size
    .group_segment_fixed_size: 0
    .kernarg_segment_align: 8
    .kernarg_segment_size: 336
    .language:       OpenCL C
    .language_version:
      - 2
      - 0
    .max_flat_workgroup_size: 1024
    .name:           _ZN9rocsolver6v33100L17syevj_offd_rotateILb1EffPfEEvbiiT2_iilPT0_PiS6_S6_i
    .private_segment_fixed_size: 0
    .sgpr_count:     82
    .sgpr_spill_count: 0
    .symbol:         _ZN9rocsolver6v33100L17syevj_offd_rotateILb1EffPfEEvbiiT2_iilPT0_PiS6_S6_i.kd
    .uniform_work_group_size: 1
    .uses_dynamic_stack: false
    .vgpr_count:     20
    .vgpr_spill_count: 0
    .wavefront_size: 64
  - .agpr_count:     0
    .args:
      - .offset:         0
        .size:           4
        .value_kind:     by_value
      - .address_space:  global
        .offset:         8
        .size:           8
        .value_kind:     global_buffer
      - .address_space:  global
        .offset:         16
        .size:           8
        .value_kind:     global_buffer
      - .offset:         24
        .size:           4
        .value_kind:     hidden_block_count_x
      - .offset:         28
        .size:           4
        .value_kind:     hidden_block_count_y
      - .offset:         32
        .size:           4
        .value_kind:     hidden_block_count_z
      - .offset:         36
        .size:           2
        .value_kind:     hidden_group_size_x
      - .offset:         38
        .size:           2
        .value_kind:     hidden_group_size_y
      - .offset:         40
        .size:           2
        .value_kind:     hidden_group_size_z
      - .offset:         42
        .size:           2
        .value_kind:     hidden_remainder_x
      - .offset:         44
        .size:           2
        .value_kind:     hidden_remainder_y
      - .offset:         46
        .size:           2
        .value_kind:     hidden_remainder_z
      - .offset:         64
        .size:           8
        .value_kind:     hidden_global_offset_x
      - .offset:         72
        .size:           8
        .value_kind:     hidden_global_offset_y
      - .offset:         80
        .size:           8
        .value_kind:     hidden_global_offset_z
      - .offset:         88
        .size:           2
        .value_kind:     hidden_grid_dims
    .group_segment_fixed_size: 0
    .kernarg_segment_align: 8
    .kernarg_segment_size: 280
    .language:       OpenCL C
    .language_version:
      - 2
      - 0
    .max_flat_workgroup_size: 1024
    .name:           _ZN9rocsolver6v33100L17syevj_cycle_pairsIfEEviPiS2_
    .private_segment_fixed_size: 0
    .sgpr_count:     20
    .sgpr_spill_count: 0
    .symbol:         _ZN9rocsolver6v33100L17syevj_cycle_pairsIfEEviPiS2_.kd
    .uniform_work_group_size: 1
    .uses_dynamic_stack: false
    .vgpr_count:     12
    .vgpr_spill_count: 0
    .wavefront_size: 64
  - .agpr_count:     0
    .args:
      - .offset:         0
        .size:           4
        .value_kind:     by_value
      - .offset:         4
        .size:           4
        .value_kind:     by_value
      - .address_space:  global
        .offset:         8
        .size:           8
        .value_kind:     global_buffer
      - .address_space:  global
        .offset:         16
        .size:           8
        .value_kind:     global_buffer
      - .address_space:  global
        .offset:         24
        .size:           8
        .value_kind:     global_buffer
      - .address_space:  global
        .offset:         32
        .size:           8
        .value_kind:     global_buffer
      - .offset:         40
        .size:           4
        .value_kind:     hidden_block_count_x
      - .offset:         44
        .size:           4
        .value_kind:     hidden_block_count_y
      - .offset:         48
        .size:           4
        .value_kind:     hidden_block_count_z
      - .offset:         52
        .size:           2
        .value_kind:     hidden_group_size_x
      - .offset:         54
        .size:           2
        .value_kind:     hidden_group_size_y
      - .offset:         56
        .size:           2
        .value_kind:     hidden_group_size_z
      - .offset:         58
        .size:           2
        .value_kind:     hidden_remainder_x
      - .offset:         60
        .size:           2
        .value_kind:     hidden_remainder_y
      - .offset:         62
        .size:           2
        .value_kind:     hidden_remainder_z
      - .offset:         80
        .size:           8
        .value_kind:     hidden_global_offset_x
      - .offset:         88
        .size:           8
        .value_kind:     hidden_global_offset_y
      - .offset:         96
        .size:           8
        .value_kind:     hidden_global_offset_z
      - .offset:         104
        .size:           2
        .value_kind:     hidden_grid_dims
      - .offset:         160
        .size:           4
        .value_kind:     hidden_dynamic_lds_size
    .group_segment_fixed_size: 0
    .kernarg_segment_align: 8
    .kernarg_segment_size: 296
    .language:       OpenCL C
    .language_version:
      - 2
      - 0
    .max_flat_workgroup_size: 1024
    .name:           _ZN9rocsolver6v33100L15syevj_calc_normIffEEviiPT0_PT_S3_Pi
    .private_segment_fixed_size: 0
    .sgpr_count:     28
    .sgpr_spill_count: 0
    .symbol:         _ZN9rocsolver6v33100L15syevj_calc_normIffEEviiPT0_PT_S3_Pi.kd
    .uniform_work_group_size: 1
    .uses_dynamic_stack: false
    .vgpr_count:     10
    .vgpr_spill_count: 0
    .wavefront_size: 64
  - .agpr_count:     0
    .args:
      - .offset:         0
        .size:           4
        .value_kind:     by_value
      - .offset:         4
        .size:           4
        .value_kind:     by_value
      - .offset:         8
        .size:           4
        .value_kind:     by_value
      - .address_space:  global
        .offset:         16
        .size:           8
        .value_kind:     global_buffer
      - .offset:         24
        .size:           4
        .value_kind:     by_value
      - .offset:         28
        .size:           4
        .value_kind:     by_value
      - .offset:         32
        .size:           8
        .value_kind:     by_value
      - .address_space:  global
        .offset:         40
        .size:           8
        .value_kind:     global_buffer
      - .offset:         48
        .size:           4
        .value_kind:     by_value
      - .address_space:  global
        .offset:         56
        .size:           8
        .value_kind:     global_buffer
      - .address_space:  global
        .offset:         64
        .size:           8
        .value_kind:     global_buffer
      - .offset:         72
        .size:           8
        .value_kind:     by_value
      - .address_space:  global
        .offset:         80
        .size:           8
        .value_kind:     global_buffer
      - .address_space:  global
        .offset:         88
        .size:           8
        .value_kind:     global_buffer
      - .address_space:  global
        .offset:         96
        .size:           8
        .value_kind:     global_buffer
      - .offset:         104
        .size:           4
        .value_kind:     hidden_block_count_x
      - .offset:         108
        .size:           4
        .value_kind:     hidden_block_count_y
      - .offset:         112
        .size:           4
        .value_kind:     hidden_block_count_z
      - .offset:         116
        .size:           2
        .value_kind:     hidden_group_size_x
      - .offset:         118
        .size:           2
        .value_kind:     hidden_group_size_y
      - .offset:         120
        .size:           2
        .value_kind:     hidden_group_size_z
      - .offset:         122
        .size:           2
        .value_kind:     hidden_remainder_x
      - .offset:         124
        .size:           2
        .value_kind:     hidden_remainder_y
      - .offset:         126
        .size:           2
        .value_kind:     hidden_remainder_z
      - .offset:         144
        .size:           8
        .value_kind:     hidden_global_offset_x
      - .offset:         152
        .size:           8
        .value_kind:     hidden_global_offset_y
      - .offset:         160
        .size:           8
        .value_kind:     hidden_global_offset_z
      - .offset:         168
        .size:           2
        .value_kind:     hidden_grid_dims
    .group_segment_fixed_size: 0
    .kernarg_segment_align: 8
    .kernarg_segment_size: 360
    .language:       OpenCL C
    .language_version:
      - 2
      - 0
    .max_flat_workgroup_size: 1024
    .name:           _ZN9rocsolver6v33100L14syevj_finalizeIffPfEEv14rocblas_esort_14rocblas_evect_iT1_iilPT0_iPiS7_lS8_PT_S8_
    .private_segment_fixed_size: 0
    .sgpr_count:     34
    .sgpr_spill_count: 0
    .symbol:         _ZN9rocsolver6v33100L14syevj_finalizeIffPfEEv14rocblas_esort_14rocblas_evect_iT1_iilPT0_iPiS7_lS8_PT_S8_.kd
    .uniform_work_group_size: 1
    .uses_dynamic_stack: false
    .vgpr_count:     10
    .vgpr_spill_count: 0
    .wavefront_size: 64
  - .agpr_count:     0
    .args:
      - .offset:         0
        .size:           4
        .value_kind:     by_value
      - .offset:         4
        .size:           4
        .value_kind:     by_value
      - .address_space:  global
        .offset:         8
        .size:           8
        .value_kind:     global_buffer
      - .offset:         16
        .size:           8
        .value_kind:     by_value
      - .offset:         24
        .size:           4
        .value_kind:     by_value
      - .offset:         32
        .size:           8
        .value_kind:     by_value
      - .address_space:  global
        .offset:         40
        .size:           8
        .value_kind:     global_buffer
      - .offset:         48
        .size:           8
        .value_kind:     by_value
      - .address_space:  global
        .offset:         56
        .size:           8
        .value_kind:     global_buffer
      - .offset:         64
        .size:           8
        .value_kind:     by_value
    .group_segment_fixed_size: 0
    .kernarg_segment_align: 8
    .kernarg_segment_size: 72
    .language:       OpenCL C
    .language_version:
      - 2
      - 0
    .max_flat_workgroup_size: 256
    .name:           _ZN9rocsolver6v33100L18geqr2_kernel_smallILi256EfifPfEEvT1_S3_T3_lS3_lPT2_lPT0_l
    .private_segment_fixed_size: 0
    .sgpr_count:     53
    .sgpr_spill_count: 0
    .symbol:         _ZN9rocsolver6v33100L18geqr2_kernel_smallILi256EfifPfEEvT1_S3_T3_lS3_lPT2_lPT0_l.kd
    .uniform_work_group_size: 1
    .uses_dynamic_stack: false
    .vgpr_count:     25
    .vgpr_spill_count: 0
    .wavefront_size: 64
  - .agpr_count:     0
    .args:
      - .address_space:  global
        .offset:         0
        .size:           8
        .value_kind:     global_buffer
      - .offset:         8
        .size:           8
        .value_kind:     by_value
      - .offset:         16
        .size:           4
        .value_kind:     by_value
      - .offset:         20
        .size:           4
        .value_kind:     by_value
      - .offset:         24
        .size:           4
        .value_kind:     hidden_block_count_x
      - .offset:         28
        .size:           4
        .value_kind:     hidden_block_count_y
      - .offset:         32
        .size:           4
        .value_kind:     hidden_block_count_z
      - .offset:         36
        .size:           2
        .value_kind:     hidden_group_size_x
      - .offset:         38
        .size:           2
        .value_kind:     hidden_group_size_y
      - .offset:         40
        .size:           2
        .value_kind:     hidden_group_size_z
      - .offset:         42
        .size:           2
        .value_kind:     hidden_remainder_x
      - .offset:         44
        .size:           2
        .value_kind:     hidden_remainder_y
      - .offset:         46
        .size:           2
        .value_kind:     hidden_remainder_z
      - .offset:         64
        .size:           8
        .value_kind:     hidden_global_offset_x
      - .offset:         72
        .size:           8
        .value_kind:     hidden_global_offset_y
      - .offset:         80
        .size:           8
        .value_kind:     hidden_global_offset_z
      - .offset:         88
        .size:           2
        .value_kind:     hidden_grid_dims
    .group_segment_fixed_size: 0
    .kernarg_segment_align: 8
    .kernarg_segment_size: 280
    .language:       OpenCL C
    .language_version:
      - 2
      - 0
    .max_flat_workgroup_size: 1024
    .name:           _ZN9rocsolver6v33100L16reset_batch_infoIfiiPfEEvT2_lT0_T1_
    .private_segment_fixed_size: 0
    .sgpr_count:     16
    .sgpr_spill_count: 0
    .symbol:         _ZN9rocsolver6v33100L16reset_batch_infoIfiiPfEEvT2_lT0_T1_.kd
    .uniform_work_group_size: 1
    .uses_dynamic_stack: false
    .vgpr_count:     4
    .vgpr_spill_count: 0
    .wavefront_size: 64
  - .agpr_count:     0
    .args:
      - .address_space:  global
        .offset:         0
        .size:           8
        .value_kind:     global_buffer
      - .offset:         8
        .size:           8
        .value_kind:     by_value
      - .offset:         16
        .size:           8
        .value_kind:     by_value
      - .address_space:  global
        .offset:         24
        .size:           8
        .value_kind:     global_buffer
      - .offset:         32
        .size:           8
        .value_kind:     by_value
      - .offset:         40
        .size:           4
        .value_kind:     by_value
      - .offset:         48
        .size:           8
        .value_kind:     by_value
      - .offset:         56
        .size:           4
        .value_kind:     by_value
      - .offset:         60
        .size:           1
        .value_kind:     by_value
      - .offset:         64
        .size:           4
        .value_kind:     hidden_block_count_x
      - .offset:         68
        .size:           4
        .value_kind:     hidden_block_count_y
      - .offset:         72
        .size:           4
        .value_kind:     hidden_block_count_z
      - .offset:         76
        .size:           2
        .value_kind:     hidden_group_size_x
      - .offset:         78
        .size:           2
        .value_kind:     hidden_group_size_y
      - .offset:         80
        .size:           2
        .value_kind:     hidden_group_size_z
      - .offset:         82
        .size:           2
        .value_kind:     hidden_remainder_x
      - .offset:         84
        .size:           2
        .value_kind:     hidden_remainder_y
      - .offset:         86
        .size:           2
        .value_kind:     hidden_remainder_z
      - .offset:         104
        .size:           8
        .value_kind:     hidden_global_offset_x
      - .offset:         112
        .size:           8
        .value_kind:     hidden_global_offset_y
      - .offset:         120
        .size:           8
        .value_kind:     hidden_global_offset_z
      - .offset:         128
        .size:           2
        .value_kind:     hidden_grid_dims
    .group_segment_fixed_size: 0
    .kernarg_segment_align: 8
    .kernarg_segment_size: 320
    .language:       OpenCL C
    .language_version:
      - 2
      - 0
    .max_flat_workgroup_size: 1024
    .name:           _ZN9rocsolver6v33100L8set_diagIfifPfTnNSt9enable_ifIXoont18rocblas_is_complexIT_E18rocblas_is_complexIT1_EEiE4typeELi0EEEvPS5_llT2_lT0_lSA_b
    .private_segment_fixed_size: 0
    .sgpr_count:     23
    .sgpr_spill_count: 0
    .symbol:         _ZN9rocsolver6v33100L8set_diagIfifPfTnNSt9enable_ifIXoont18rocblas_is_complexIT_E18rocblas_is_complexIT1_EEiE4typeELi0EEEvPS5_llT2_lT0_lSA_b.kd
    .uniform_work_group_size: 1
    .uses_dynamic_stack: false
    .vgpr_count:     6
    .vgpr_spill_count: 0
    .wavefront_size: 64
  - .agpr_count:     0
    .args:
      - .address_space:  global
        .offset:         0
        .size:           8
        .value_kind:     global_buffer
      - .offset:         8
        .size:           8
        .value_kind:     by_value
      - .address_space:  global
        .offset:         16
        .size:           8
        .value_kind:     global_buffer
      - .address_space:  global
        .offset:         24
        .size:           8
        .value_kind:     global_buffer
      - .offset:         32
        .size:           8
        .value_kind:     by_value
      - .offset:         40
        .size:           8
        .value_kind:     by_value
      - .address_space:  global
        .offset:         48
        .size:           8
        .value_kind:     global_buffer
      - .offset:         56
        .size:           8
        .value_kind:     by_value
      - .offset:         64
        .size:           8
        .value_kind:     by_value
    .group_segment_fixed_size: 0
    .kernarg_segment_align: 8
    .kernarg_segment_size: 72
    .language:       OpenCL C
    .language_version:
      - 2
      - 0
    .max_flat_workgroup_size: 1024
    .name:           _ZN9rocsolver6v33100L11set_taubetaIfifPfEEvPT_lS4_T2_llPT1_ll
    .private_segment_fixed_size: 0
    .sgpr_count:     28
    .sgpr_spill_count: 0
    .symbol:         _ZN9rocsolver6v33100L11set_taubetaIfifPfEEvPT_lS4_T2_llPT1_ll.kd
    .uniform_work_group_size: 1
    .uses_dynamic_stack: false
    .vgpr_count:     8
    .vgpr_spill_count: 0
    .wavefront_size: 64
  - .agpr_count:     0
    .args:
      - .offset:         0
        .size:           4
        .value_kind:     by_value
      - .offset:         4
        .size:           4
        .value_kind:     by_value
      - .address_space:  global
        .offset:         8
        .size:           8
        .value_kind:     global_buffer
      - .offset:         16
        .size:           8
        .value_kind:     by_value
      - .offset:         24
        .size:           4
        .value_kind:     by_value
      - .offset:         32
        .size:           8
        .value_kind:     by_value
    .group_segment_fixed_size: 0
    .kernarg_segment_align: 8
    .kernarg_segment_size: 40
    .language:       OpenCL C
    .language_version:
      - 2
      - 0
    .max_flat_workgroup_size: 1024
    .name:           _ZN9rocsolver6v33100L13conj_in_placeIfiPfTnNSt9enable_ifIXnt18rocblas_is_complexIT_EEiE4typeELi0EEEvT0_S7_T1_lS7_l
    .private_segment_fixed_size: 0
    .sgpr_count:     4
    .sgpr_spill_count: 0
    .symbol:         _ZN9rocsolver6v33100L13conj_in_placeIfiPfTnNSt9enable_ifIXnt18rocblas_is_complexIT_EEiE4typeELi0EEEvT0_S7_T1_lS7_l.kd
    .uniform_work_group_size: 1
    .uses_dynamic_stack: false
    .vgpr_count:     0
    .vgpr_spill_count: 0
    .wavefront_size: 64
  - .agpr_count:     0
    .args:
      - .offset:         0
        .size:           4
        .value_kind:     by_value
      - .offset:         4
        .size:           4
        .value_kind:     by_value
      - .address_space:  global
        .offset:         8
        .size:           8
        .value_kind:     global_buffer
      - .offset:         16
        .size:           8
        .value_kind:     by_value
      - .offset:         24
        .size:           4
        .value_kind:     by_value
      - .offset:         32
        .size:           8
        .value_kind:     by_value
      - .address_space:  global
        .offset:         40
        .size:           8
        .value_kind:     global_buffer
      - .offset:         48
        .size:           8
        .value_kind:     by_value
      - .address_space:  global
        .offset:         56
        .size:           8
        .value_kind:     global_buffer
      - .offset:         64
        .size:           8
        .value_kind:     by_value
      - .offset:         72
        .size:           4
        .value_kind:     by_value
      - .offset:         80
        .size:           8
        .value_kind:     by_value
    .group_segment_fixed_size: 0
    .kernarg_segment_align: 8
    .kernarg_segment_size: 88
    .language:       OpenCL C
    .language_version:
      - 2
      - 0
    .max_flat_workgroup_size: 1024
    .name:           _ZN9rocsolver6v33100L16larf_left_kernelILi1024EfiPfEEvT1_S3_T2_lS3_lPKT0_lS4_lS3_l
    .private_segment_fixed_size: 0
    .sgpr_count:     44
    .sgpr_spill_count: 0
    .symbol:         _ZN9rocsolver6v33100L16larf_left_kernelILi1024EfiPfEEvT1_S3_T2_lS3_lPKT0_lS4_lS3_l.kd
    .uniform_work_group_size: 1
    .uses_dynamic_stack: false
    .vgpr_count:     22
    .vgpr_spill_count: 0
    .wavefront_size: 64
  - .agpr_count:     0
    .args:
      - .offset:         0
        .size:           4
        .value_kind:     by_value
      - .offset:         4
        .size:           4
        .value_kind:     by_value
      - .address_space:  global
        .offset:         8
        .size:           8
        .value_kind:     global_buffer
      - .offset:         16
        .size:           8
        .value_kind:     by_value
      - .offset:         24
        .size:           4
        .value_kind:     by_value
      - .offset:         32
        .size:           8
        .value_kind:     by_value
      - .address_space:  global
        .offset:         40
        .size:           8
        .value_kind:     global_buffer
      - .offset:         48
        .size:           8
        .value_kind:     by_value
      - .address_space:  global
        .offset:         56
        .size:           8
        .value_kind:     global_buffer
      - .offset:         64
        .size:           8
        .value_kind:     by_value
      - .offset:         72
        .size:           4
        .value_kind:     by_value
      - .offset:         80
        .size:           8
        .value_kind:     by_value
    .group_segment_fixed_size: 0
    .kernarg_segment_align: 8
    .kernarg_segment_size: 88
    .language:       OpenCL C
    .language_version:
      - 2
      - 0
    .max_flat_workgroup_size: 1024
    .name:           _ZN9rocsolver6v33100L17larf_right_kernelILi1024EfiPfEEvT1_S3_T2_lS3_lPKT0_lS4_lS3_l
    .private_segment_fixed_size: 0
    .sgpr_count:     44
    .sgpr_spill_count: 0
    .symbol:         _ZN9rocsolver6v33100L17larf_right_kernelILi1024EfiPfEEvT1_S3_T2_lS3_lPKT0_lS4_lS3_l.kd
    .uniform_work_group_size: 1
    .uses_dynamic_stack: false
    .vgpr_count:     18
    .vgpr_spill_count: 0
    .wavefront_size: 64
  - .agpr_count:     0
    .args:
      - .address_space:  global
        .offset:         0
        .size:           8
        .value_kind:     global_buffer
      - .offset:         8
        .size:           8
        .value_kind:     by_value
      - .offset:         16
        .size:           8
        .value_kind:     by_value
      - .address_space:  global
        .offset:         24
        .size:           8
        .value_kind:     global_buffer
      - .offset:         32
        .size:           8
        .value_kind:     by_value
      - .offset:         40
        .size:           4
        .value_kind:     by_value
      - .offset:         48
        .size:           8
        .value_kind:     by_value
      - .offset:         56
        .size:           4
        .value_kind:     by_value
      - .offset:         64
        .size:           4
        .value_kind:     hidden_block_count_x
      - .offset:         68
        .size:           4
        .value_kind:     hidden_block_count_y
      - .offset:         72
        .size:           4
        .value_kind:     hidden_block_count_z
      - .offset:         76
        .size:           2
        .value_kind:     hidden_group_size_x
      - .offset:         78
        .size:           2
        .value_kind:     hidden_group_size_y
      - .offset:         80
        .size:           2
        .value_kind:     hidden_group_size_z
      - .offset:         82
        .size:           2
        .value_kind:     hidden_remainder_x
      - .offset:         84
        .size:           2
        .value_kind:     hidden_remainder_y
      - .offset:         86
        .size:           2
        .value_kind:     hidden_remainder_z
      - .offset:         104
        .size:           8
        .value_kind:     hidden_global_offset_x
      - .offset:         112
        .size:           8
        .value_kind:     hidden_global_offset_y
      - .offset:         120
        .size:           8
        .value_kind:     hidden_global_offset_z
      - .offset:         128
        .size:           2
        .value_kind:     hidden_grid_dims
    .group_segment_fixed_size: 0
    .kernarg_segment_align: 8
    .kernarg_segment_size: 320
    .language:       OpenCL C
    .language_version:
      - 2
      - 0
    .max_flat_workgroup_size: 1024
    .name:           _ZN9rocsolver6v33100L12restore_diagIfifPfEEvPT1_llT2_lT0_lS6_
    .private_segment_fixed_size: 0
    .sgpr_count:     20
    .sgpr_spill_count: 0
    .symbol:         _ZN9rocsolver6v33100L12restore_diagIfifPfEEvPT1_llT2_lT0_lS6_.kd
    .uniform_work_group_size: 1
    .uses_dynamic_stack: false
    .vgpr_count:     5
    .vgpr_spill_count: 0
    .wavefront_size: 64
  - .agpr_count:     0
    .args:
      - .offset:         0
        .size:           4
        .value_kind:     by_value
      - .offset:         4
        .size:           4
        .value_kind:     by_value
      - .address_space:  global
        .offset:         8
        .size:           8
        .value_kind:     global_buffer
      - .offset:         16
        .size:           4
        .value_kind:     by_value
      - .offset:         20
        .size:           4
        .value_kind:     by_value
      - .offset:         24
        .size:           8
        .value_kind:     by_value
      - .address_space:  global
        .offset:         32
        .size:           8
        .value_kind:     global_buffer
      - .offset:         40
        .size:           8
        .value_kind:     by_value
      - .address_space:  global
        .offset:         48
        .size:           8
        .value_kind:     global_buffer
      - .offset:         56
        .size:           4
        .value_kind:     by_value
      - .offset:         64
        .size:           8
        .value_kind:     by_value
      - .offset:         72
        .size:           4
        .value_kind:     by_value
      - .offset:         76
        .size:           4
        .value_kind:     by_value
      - .offset:         80
        .size:           1
        .value_kind:     by_value
      - .offset:         88
        .size:           4
        .value_kind:     hidden_block_count_x
      - .offset:         92
        .size:           4
        .value_kind:     hidden_block_count_y
      - .offset:         96
        .size:           4
        .value_kind:     hidden_block_count_z
      - .offset:         100
        .size:           2
        .value_kind:     hidden_group_size_x
      - .offset:         102
        .size:           2
        .value_kind:     hidden_group_size_y
      - .offset:         104
        .size:           2
        .value_kind:     hidden_group_size_z
      - .offset:         106
        .size:           2
        .value_kind:     hidden_remainder_x
      - .offset:         108
        .size:           2
        .value_kind:     hidden_remainder_y
      - .offset:         110
        .size:           2
        .value_kind:     hidden_remainder_z
      - .offset:         128
        .size:           8
        .value_kind:     hidden_global_offset_x
      - .offset:         136
        .size:           8
        .value_kind:     hidden_global_offset_y
      - .offset:         144
        .size:           8
        .value_kind:     hidden_global_offset_z
      - .offset:         152
        .size:           2
        .value_kind:     hidden_grid_dims
    .group_segment_fixed_size: 0
    .kernarg_segment_align: 8
    .kernarg_segment_size: 344
    .language:       OpenCL C
    .language_version:
      - 2
      - 0
    .max_flat_workgroup_size: 1024
    .name:           _ZN9rocsolver6v33100L14set_triangularIfPfTnNSt9enable_ifIXnt18rocblas_is_complexIT_EEiE4typeELi0EEEviiT0_iilPS4_lS8_il15rocblas_direct_15rocblas_storev_b
    .private_segment_fixed_size: 0
    .sgpr_count:     27
    .sgpr_spill_count: 0
    .symbol:         _ZN9rocsolver6v33100L14set_triangularIfPfTnNSt9enable_ifIXnt18rocblas_is_complexIT_EEiE4typeELi0EEEviiT0_iilPS4_lS8_il15rocblas_direct_15rocblas_storev_b.kd
    .uniform_work_group_size: 1
    .uses_dynamic_stack: false
    .vgpr_count:     15
    .vgpr_spill_count: 0
    .wavefront_size: 64
  - .agpr_count:     0
    .args:
      - .offset:         0
        .size:           4
        .value_kind:     by_value
      - .address_space:  global
        .offset:         8
        .size:           8
        .value_kind:     global_buffer
      - .offset:         16
        .size:           8
        .value_kind:     by_value
      - .offset:         24
        .size:           4
        .value_kind:     hidden_block_count_x
      - .offset:         28
        .size:           4
        .value_kind:     hidden_block_count_y
      - .offset:         32
        .size:           4
        .value_kind:     hidden_block_count_z
      - .offset:         36
        .size:           2
        .value_kind:     hidden_group_size_x
      - .offset:         38
        .size:           2
        .value_kind:     hidden_group_size_y
      - .offset:         40
        .size:           2
        .value_kind:     hidden_group_size_z
      - .offset:         42
        .size:           2
        .value_kind:     hidden_remainder_x
      - .offset:         44
        .size:           2
        .value_kind:     hidden_remainder_y
      - .offset:         46
        .size:           2
        .value_kind:     hidden_remainder_z
      - .offset:         64
        .size:           8
        .value_kind:     hidden_global_offset_x
      - .offset:         72
        .size:           8
        .value_kind:     hidden_global_offset_y
      - .offset:         80
        .size:           8
        .value_kind:     hidden_global_offset_z
      - .offset:         88
        .size:           2
        .value_kind:     hidden_grid_dims
    .group_segment_fixed_size: 0
    .kernarg_segment_align: 8
    .kernarg_segment_size: 280
    .language:       OpenCL C
    .language_version:
      - 2
      - 0
    .max_flat_workgroup_size: 1024
    .name:           _ZN9rocsolver6v33100L7set_tauIfEEviPT_l
    .private_segment_fixed_size: 0
    .sgpr_count:     12
    .sgpr_spill_count: 0
    .symbol:         _ZN9rocsolver6v33100L7set_tauIfEEviPT_l.kd
    .uniform_work_group_size: 1
    .uses_dynamic_stack: false
    .vgpr_count:     3
    .vgpr_spill_count: 0
    .wavefront_size: 64
  - .agpr_count:     0
    .args:
      - .offset:         0
        .size:           4
        .value_kind:     by_value
      - .offset:         4
        .size:           4
        .value_kind:     by_value
      - .offset:         8
        .size:           4
        .value_kind:     by_value
      - .address_space:  global
        .offset:         16
        .size:           8
        .value_kind:     global_buffer
      - .offset:         24
        .size:           4
        .value_kind:     by_value
      - .offset:         28
        .size:           4
        .value_kind:     by_value
      - .offset:         32
        .size:           8
        .value_kind:     by_value
      - .address_space:  global
        .offset:         40
        .size:           8
        .value_kind:     global_buffer
      - .offset:         48
        .size:           8
        .value_kind:     by_value
      - .address_space:  global
        .offset:         56
        .size:           8
        .value_kind:     global_buffer
      - .offset:         64
        .size:           4
        .value_kind:     by_value
      - .offset:         72
        .size:           8
        .value_kind:     by_value
      - .offset:         80
        .size:           4
        .value_kind:     hidden_block_count_x
      - .offset:         84
        .size:           4
        .value_kind:     hidden_block_count_y
      - .offset:         88
        .size:           4
        .value_kind:     hidden_block_count_z
      - .offset:         92
        .size:           2
        .value_kind:     hidden_group_size_x
      - .offset:         94
        .size:           2
        .value_kind:     hidden_group_size_y
      - .offset:         96
        .size:           2
        .value_kind:     hidden_group_size_z
      - .offset:         98
        .size:           2
        .value_kind:     hidden_remainder_x
      - .offset:         100
        .size:           2
        .value_kind:     hidden_remainder_y
      - .offset:         102
        .size:           2
        .value_kind:     hidden_remainder_z
      - .offset:         120
        .size:           8
        .value_kind:     hidden_global_offset_x
      - .offset:         128
        .size:           8
        .value_kind:     hidden_global_offset_y
      - .offset:         136
        .size:           8
        .value_kind:     hidden_global_offset_z
      - .offset:         144
        .size:           2
        .value_kind:     hidden_grid_dims
      - .offset:         200
        .size:           4
        .value_kind:     hidden_dynamic_lds_size
    .group_segment_fixed_size: 0
    .kernarg_segment_align: 8
    .kernarg_segment_size: 336
    .language:       OpenCL C
    .language_version:
      - 2
      - 0
    .max_flat_workgroup_size: 1024
    .name:           _ZN9rocsolver6v33100L20larft_kernel_forwardIfPfEEv15rocblas_storev_iiT0_iilPT_lS6_il
    .private_segment_fixed_size: 0
    .sgpr_count:     52
    .sgpr_spill_count: 0
    .symbol:         _ZN9rocsolver6v33100L20larft_kernel_forwardIfPfEEv15rocblas_storev_iiT0_iilPT_lS6_il.kd
    .uniform_work_group_size: 1
    .uses_dynamic_stack: false
    .vgpr_count:     21
    .vgpr_spill_count: 0
    .wavefront_size: 64
  - .agpr_count:     0
    .args:
      - .offset:         0
        .size:           4
        .value_kind:     by_value
      - .offset:         4
        .size:           4
        .value_kind:     by_value
      - .offset:         8
        .size:           4
        .value_kind:     by_value
      - .address_space:  global
        .offset:         16
        .size:           8
        .value_kind:     global_buffer
      - .offset:         24
        .size:           4
        .value_kind:     by_value
      - .offset:         28
        .size:           4
        .value_kind:     by_value
      - .offset:         32
        .size:           8
        .value_kind:     by_value
      - .address_space:  global
        .offset:         40
        .size:           8
        .value_kind:     global_buffer
      - .offset:         48
        .size:           8
        .value_kind:     by_value
      - .address_space:  global
        .offset:         56
        .size:           8
        .value_kind:     global_buffer
      - .offset:         64
        .size:           4
        .value_kind:     by_value
      - .offset:         72
        .size:           8
        .value_kind:     by_value
      - .offset:         80
        .size:           4
        .value_kind:     hidden_block_count_x
      - .offset:         84
        .size:           4
        .value_kind:     hidden_block_count_y
      - .offset:         88
        .size:           4
        .value_kind:     hidden_block_count_z
      - .offset:         92
        .size:           2
        .value_kind:     hidden_group_size_x
      - .offset:         94
        .size:           2
        .value_kind:     hidden_group_size_y
      - .offset:         96
        .size:           2
        .value_kind:     hidden_group_size_z
      - .offset:         98
        .size:           2
        .value_kind:     hidden_remainder_x
      - .offset:         100
        .size:           2
        .value_kind:     hidden_remainder_y
      - .offset:         102
        .size:           2
        .value_kind:     hidden_remainder_z
      - .offset:         120
        .size:           8
        .value_kind:     hidden_global_offset_x
      - .offset:         128
        .size:           8
        .value_kind:     hidden_global_offset_y
      - .offset:         136
        .size:           8
        .value_kind:     hidden_global_offset_z
      - .offset:         144
        .size:           2
        .value_kind:     hidden_grid_dims
      - .offset:         200
        .size:           4
        .value_kind:     hidden_dynamic_lds_size
    .group_segment_fixed_size: 0
    .kernarg_segment_align: 8
    .kernarg_segment_size: 336
    .language:       OpenCL C
    .language_version:
      - 2
      - 0
    .max_flat_workgroup_size: 1024
    .name:           _ZN9rocsolver6v33100L21larft_kernel_backwardIfPfEEv15rocblas_storev_iiT0_iilPT_lS6_il
    .private_segment_fixed_size: 0
    .sgpr_count:     53
    .sgpr_spill_count: 0
    .symbol:         _ZN9rocsolver6v33100L21larft_kernel_backwardIfPfEEv15rocblas_storev_iiT0_iilPT_lS6_il.kd
    .uniform_work_group_size: 1
    .uses_dynamic_stack: false
    .vgpr_count:     13
    .vgpr_spill_count: 0
    .wavefront_size: 64
  - .agpr_count:     0
    .args:
      - .offset:         0
        .size:           4
        .value_kind:     by_value
      - .offset:         4
        .size:           4
        .value_kind:     by_value
      - .address_space:  global
        .offset:         8
        .size:           8
        .value_kind:     global_buffer
      - .offset:         16
        .size:           4
        .value_kind:     by_value
      - .offset:         20
        .size:           4
        .value_kind:     by_value
      - .offset:         24
        .size:           8
        .value_kind:     by_value
      - .address_space:  global
        .offset:         32
        .size:           8
        .value_kind:     global_buffer
      - .offset:         40
        .size:           4
        .value_kind:     hidden_block_count_x
      - .offset:         44
        .size:           4
        .value_kind:     hidden_block_count_y
      - .offset:         48
        .size:           4
        .value_kind:     hidden_block_count_z
      - .offset:         52
        .size:           2
        .value_kind:     hidden_group_size_x
      - .offset:         54
        .size:           2
        .value_kind:     hidden_group_size_y
      - .offset:         56
        .size:           2
        .value_kind:     hidden_group_size_z
      - .offset:         58
        .size:           2
        .value_kind:     hidden_remainder_x
      - .offset:         60
        .size:           2
        .value_kind:     hidden_remainder_y
      - .offset:         62
        .size:           2
        .value_kind:     hidden_remainder_z
      - .offset:         80
        .size:           8
        .value_kind:     hidden_global_offset_x
      - .offset:         88
        .size:           8
        .value_kind:     hidden_global_offset_y
      - .offset:         96
        .size:           8
        .value_kind:     hidden_global_offset_z
      - .offset:         104
        .size:           2
        .value_kind:     hidden_grid_dims
    .group_segment_fixed_size: 0
    .kernarg_segment_align: 8
    .kernarg_segment_size: 296
    .language:       OpenCL C
    .language_version:
      - 2
      - 0
    .max_flat_workgroup_size: 1024
    .name:           _ZN9rocsolver6v33100L9copymatA1IfPfEEviiT0_iilPT_
    .private_segment_fixed_size: 0
    .sgpr_count:     24
    .sgpr_spill_count: 0
    .symbol:         _ZN9rocsolver6v33100L9copymatA1IfPfEEviiT0_iilPT_.kd
    .uniform_work_group_size: 1
    .uses_dynamic_stack: false
    .vgpr_count:     6
    .vgpr_spill_count: 0
    .wavefront_size: 64
  - .agpr_count:     0
    .args:
      - .offset:         0
        .size:           4
        .value_kind:     by_value
      - .offset:         4
        .size:           4
        .value_kind:     by_value
      - .address_space:  global
        .offset:         8
        .size:           8
        .value_kind:     global_buffer
      - .offset:         16
        .size:           4
        .value_kind:     by_value
      - .offset:         20
        .size:           4
        .value_kind:     by_value
      - .offset:         24
        .size:           8
        .value_kind:     by_value
      - .address_space:  global
        .offset:         32
        .size:           8
        .value_kind:     global_buffer
      - .offset:         40
        .size:           4
        .value_kind:     hidden_block_count_x
      - .offset:         44
        .size:           4
        .value_kind:     hidden_block_count_y
      - .offset:         48
        .size:           4
        .value_kind:     hidden_block_count_z
      - .offset:         52
        .size:           2
        .value_kind:     hidden_group_size_x
      - .offset:         54
        .size:           2
        .value_kind:     hidden_group_size_y
      - .offset:         56
        .size:           2
        .value_kind:     hidden_group_size_z
      - .offset:         58
        .size:           2
        .value_kind:     hidden_remainder_x
      - .offset:         60
        .size:           2
        .value_kind:     hidden_remainder_y
      - .offset:         62
        .size:           2
        .value_kind:     hidden_remainder_z
      - .offset:         80
        .size:           8
        .value_kind:     hidden_global_offset_x
      - .offset:         88
        .size:           8
        .value_kind:     hidden_global_offset_y
      - .offset:         96
        .size:           8
        .value_kind:     hidden_global_offset_z
      - .offset:         104
        .size:           2
        .value_kind:     hidden_grid_dims
    .group_segment_fixed_size: 0
    .kernarg_segment_align: 8
    .kernarg_segment_size: 296
    .language:       OpenCL C
    .language_version:
      - 2
      - 0
    .max_flat_workgroup_size: 1024
    .name:           _ZN9rocsolver6v33100L8addmatA1IfPfEEviiT0_iilPT_
    .private_segment_fixed_size: 0
    .sgpr_count:     19
    .sgpr_spill_count: 0
    .symbol:         _ZN9rocsolver6v33100L8addmatA1IfPfEEviiT0_iilPT_.kd
    .uniform_work_group_size: 1
    .uses_dynamic_stack: false
    .vgpr_count:     6
    .vgpr_spill_count: 0
    .wavefront_size: 64
  - .agpr_count:     0
    .args:
      - .offset:         0
        .size:           4
        .value_kind:     by_value
      - .address_space:  global
        .offset:         8
        .size:           8
        .value_kind:     global_buffer
      - .offset:         16
        .size:           8
        .value_kind:     by_value
      - .address_space:  global
        .offset:         24
        .size:           8
        .value_kind:     global_buffer
      - .offset:         32
        .size:           4
        .value_kind:     by_value
      - .offset:         40
        .size:           8
        .value_kind:     by_value
      - .address_space:  global
        .offset:         48
        .size:           8
        .value_kind:     global_buffer
      - .offset:         56
        .size:           4
        .value_kind:     by_value
      - .offset:         64
        .size:           8
        .value_kind:     by_value
      - .offset:         72
        .size:           4
        .value_kind:     hidden_block_count_x
      - .offset:         76
        .size:           4
        .value_kind:     hidden_block_count_y
      - .offset:         80
        .size:           4
        .value_kind:     hidden_block_count_z
      - .offset:         84
        .size:           2
        .value_kind:     hidden_group_size_x
      - .offset:         86
        .size:           2
        .value_kind:     hidden_group_size_y
      - .offset:         88
        .size:           2
        .value_kind:     hidden_group_size_z
      - .offset:         90
        .size:           2
        .value_kind:     hidden_remainder_x
      - .offset:         92
        .size:           2
        .value_kind:     hidden_remainder_y
      - .offset:         94
        .size:           2
        .value_kind:     hidden_remainder_z
      - .offset:         112
        .size:           8
        .value_kind:     hidden_global_offset_x
      - .offset:         120
        .size:           8
        .value_kind:     hidden_global_offset_y
      - .offset:         128
        .size:           8
        .value_kind:     hidden_global_offset_z
      - .offset:         136
        .size:           2
        .value_kind:     hidden_grid_dims
    .group_segment_fixed_size: 0
    .kernarg_segment_align: 8
    .kernarg_segment_size: 328
    .language:       OpenCL C
    .language_version:
      - 2
      - 0
    .max_flat_workgroup_size: 1024
    .name:           _ZN9rocsolver6v33100L15gesvdj_finalizeIffEEviPT0_lPT_ilS5_il
    .private_segment_fixed_size: 0
    .sgpr_count:     26
    .sgpr_spill_count: 0
    .symbol:         _ZN9rocsolver6v33100L15gesvdj_finalizeIffEEviPT0_lPT_ilS5_il.kd
    .uniform_work_group_size: 1
    .uses_dynamic_stack: false
    .vgpr_count:     6
    .vgpr_spill_count: 0
    .wavefront_size: 64
  - .agpr_count:     0
    .args:
      - .offset:         0
        .size:           4
        .value_kind:     by_value
      - .offset:         4
        .size:           4
        .value_kind:     by_value
      - .offset:         8
        .size:           4
        .value_kind:     by_value
      - .address_space:  global
        .offset:         16
        .size:           8
        .value_kind:     global_buffer
      - .offset:         24
        .size:           4
        .value_kind:     by_value
      - .offset:         28
        .size:           4
        .value_kind:     by_value
      - .offset:         32
        .size:           8
        .value_kind:     by_value
      - .offset:         40
        .size:           4
        .value_kind:     hidden_block_count_x
      - .offset:         44
        .size:           4
        .value_kind:     hidden_block_count_y
      - .offset:         48
        .size:           4
        .value_kind:     hidden_block_count_z
      - .offset:         52
        .size:           2
        .value_kind:     hidden_group_size_x
      - .offset:         54
        .size:           2
        .value_kind:     hidden_group_size_y
      - .offset:         56
        .size:           2
        .value_kind:     hidden_group_size_z
      - .offset:         58
        .size:           2
        .value_kind:     hidden_remainder_x
      - .offset:         60
        .size:           2
        .value_kind:     hidden_remainder_y
      - .offset:         62
        .size:           2
        .value_kind:     hidden_remainder_z
      - .offset:         80
        .size:           8
        .value_kind:     hidden_global_offset_x
      - .offset:         88
        .size:           8
        .value_kind:     hidden_global_offset_y
      - .offset:         96
        .size:           8
        .value_kind:     hidden_global_offset_z
      - .offset:         104
        .size:           2
        .value_kind:     hidden_grid_dims
    .group_segment_fixed_size: 0
    .kernarg_segment_align: 8
    .kernarg_segment_size: 296
    .language:       OpenCL C
    .language_version:
      - 2
      - 0
    .max_flat_workgroup_size: 1024
    .name:           _ZN9rocsolver6v33100L16org2r_init_identIfPfEEviiiT0_iil
    .private_segment_fixed_size: 0
    .sgpr_count:     20
    .sgpr_spill_count: 0
    .symbol:         _ZN9rocsolver6v33100L16org2r_init_identIfPfEEviiiT0_iil.kd
    .uniform_work_group_size: 1
    .uses_dynamic_stack: false
    .vgpr_count:     6
    .vgpr_spill_count: 0
    .wavefront_size: 64
  - .agpr_count:     0
    .args:
      - .offset:         0
        .size:           4
        .value_kind:     by_value
      - .offset:         4
        .size:           4
        .value_kind:     by_value
      - .address_space:  global
        .offset:         8
        .size:           8
        .value_kind:     global_buffer
      - .offset:         16
        .size:           4
        .value_kind:     by_value
      - .offset:         20
        .size:           4
        .value_kind:     by_value
      - .offset:         24
        .size:           8
        .value_kind:     by_value
      - .address_space:  global
        .offset:         32
        .size:           8
        .value_kind:     global_buffer
      - .offset:         40
        .size:           8
        .value_kind:     by_value
    .group_segment_fixed_size: 0
    .kernarg_segment_align: 8
    .kernarg_segment_size: 48
    .language:       OpenCL C
    .language_version:
      - 2
      - 0
    .max_flat_workgroup_size: 1024
    .name:           _ZN9rocsolver6v33100L12subtract_tauIfPfEEviiT0_iilPT_l
    .private_segment_fixed_size: 0
    .sgpr_count:     20
    .sgpr_spill_count: 0
    .symbol:         _ZN9rocsolver6v33100L12subtract_tauIfPfEEviiT0_iilPT_l.kd
    .uniform_work_group_size: 1
    .uses_dynamic_stack: false
    .vgpr_count:     2
    .vgpr_spill_count: 0
    .wavefront_size: 64
  - .agpr_count:     0
    .args:
      - .offset:         0
        .size:           4
        .value_kind:     by_value
      - .address_space:  global
        .offset:         8
        .size:           8
        .value_kind:     global_buffer
      - .offset:         16
        .size:           8
        .value_kind:     by_value
      - .offset:         24
        .size:           4
        .value_kind:     hidden_block_count_x
      - .offset:         28
        .size:           4
        .value_kind:     hidden_block_count_y
      - .offset:         32
        .size:           4
        .value_kind:     hidden_block_count_z
      - .offset:         36
        .size:           2
        .value_kind:     hidden_group_size_x
      - .offset:         38
        .size:           2
        .value_kind:     hidden_group_size_y
      - .offset:         40
        .size:           2
        .value_kind:     hidden_group_size_z
      - .offset:         42
        .size:           2
        .value_kind:     hidden_remainder_x
      - .offset:         44
        .size:           2
        .value_kind:     hidden_remainder_y
      - .offset:         46
        .size:           2
        .value_kind:     hidden_remainder_z
      - .offset:         64
        .size:           8
        .value_kind:     hidden_global_offset_x
      - .offset:         72
        .size:           8
        .value_kind:     hidden_global_offset_y
      - .offset:         80
        .size:           8
        .value_kind:     hidden_global_offset_z
      - .offset:         88
        .size:           2
        .value_kind:     hidden_grid_dims
    .group_segment_fixed_size: 0
    .kernarg_segment_align: 8
    .kernarg_segment_size: 280
    .language:       OpenCL C
    .language_version:
      - 2
      - 0
    .max_flat_workgroup_size: 1024
    .name:           _ZN9rocsolver6v33100L6restauIfEEviPT_l
    .private_segment_fixed_size: 0
    .sgpr_count:     12
    .sgpr_spill_count: 0
    .symbol:         _ZN9rocsolver6v33100L6restauIfEEviPT_l.kd
    .uniform_work_group_size: 1
    .uses_dynamic_stack: false
    .vgpr_count:     3
    .vgpr_spill_count: 0
    .wavefront_size: 64
  - .agpr_count:     0
    .args:
      - .offset:         0
        .size:           4
        .value_kind:     by_value
      - .offset:         4
        .size:           4
        .value_kind:     by_value
      - .address_space:  global
        .offset:         8
        .size:           8
        .value_kind:     global_buffer
      - .offset:         16
        .size:           4
        .value_kind:     by_value
      - .offset:         20
        .size:           4
        .value_kind:     by_value
      - .offset:         24
        .size:           8
        .value_kind:     by_value
      - .offset:         32
        .size:           4
        .value_kind:     by_value
      - .offset:         40
        .size:           4
        .value_kind:     hidden_block_count_x
      - .offset:         44
        .size:           4
        .value_kind:     hidden_block_count_y
      - .offset:         48
        .size:           4
        .value_kind:     hidden_block_count_z
      - .offset:         52
        .size:           2
        .value_kind:     hidden_group_size_x
      - .offset:         54
        .size:           2
        .value_kind:     hidden_group_size_y
      - .offset:         56
        .size:           2
        .value_kind:     hidden_group_size_z
      - .offset:         58
        .size:           2
        .value_kind:     hidden_remainder_x
      - .offset:         60
        .size:           2
        .value_kind:     hidden_remainder_y
      - .offset:         62
        .size:           2
        .value_kind:     hidden_remainder_z
      - .offset:         80
        .size:           8
        .value_kind:     hidden_global_offset_x
      - .offset:         88
        .size:           8
        .value_kind:     hidden_global_offset_y
      - .offset:         96
        .size:           8
        .value_kind:     hidden_global_offset_z
      - .offset:         104
        .size:           2
        .value_kind:     hidden_grid_dims
    .group_segment_fixed_size: 0
    .kernarg_segment_align: 8
    .kernarg_segment_size: 296
    .language:       OpenCL C
    .language_version:
      - 2
      - 0
    .max_flat_workgroup_size: 1024
    .name:           _ZN9rocsolver6v33100L8set_zeroIfPfEEviiT0_iil13rocblas_fill_
    .private_segment_fixed_size: 0
    .sgpr_count:     13
    .sgpr_spill_count: 0
    .symbol:         _ZN9rocsolver6v33100L8set_zeroIfPfEEviiT0_iil13rocblas_fill_.kd
    .uniform_work_group_size: 1
    .uses_dynamic_stack: false
    .vgpr_count:     4
    .vgpr_spill_count: 0
    .wavefront_size: 64
  - .agpr_count:     0
    .args:
      - .address_space:  global
        .offset:         0
        .size:           8
        .value_kind:     global_buffer
      - .offset:         8
        .size:           4
        .value_kind:     by_value
      - .offset:         16
        .size:           8
        .value_kind:     by_value
    .group_segment_fixed_size: 0
    .kernarg_segment_align: 8
    .kernarg_segment_size: 24
    .language:       OpenCL C
    .language_version:
      - 2
      - 0
    .max_flat_workgroup_size: 32
    .name:           _ZN9rocsolver6v33100L6iota_nIdEEvPT_jS2_
    .private_segment_fixed_size: 0
    .sgpr_count:     10
    .sgpr_spill_count: 0
    .symbol:         _ZN9rocsolver6v33100L6iota_nIdEEvPT_jS2_.kd
    .uniform_work_group_size: 1
    .uses_dynamic_stack: false
    .vgpr_count:     3
    .vgpr_spill_count: 0
    .wavefront_size: 64
  - .agpr_count:     0
    .args:
      - .address_space:  global
        .offset:         0
        .size:           8
        .value_kind:     global_buffer
      - .offset:         8
        .size:           4
        .value_kind:     by_value
      - .offset:         12
        .size:           4
        .value_kind:     by_value
      - .offset:         16
        .size:           4
        .value_kind:     by_value
      - .offset:         24
        .size:           4
        .value_kind:     hidden_block_count_x
      - .offset:         28
        .size:           4
        .value_kind:     hidden_block_count_y
      - .offset:         32
        .size:           4
        .value_kind:     hidden_block_count_z
      - .offset:         36
        .size:           2
        .value_kind:     hidden_group_size_x
      - .offset:         38
        .size:           2
        .value_kind:     hidden_group_size_y
      - .offset:         40
        .size:           2
        .value_kind:     hidden_group_size_z
      - .offset:         42
        .size:           2
        .value_kind:     hidden_remainder_x
      - .offset:         44
        .size:           2
        .value_kind:     hidden_remainder_y
      - .offset:         46
        .size:           2
        .value_kind:     hidden_remainder_z
      - .offset:         64
        .size:           8
        .value_kind:     hidden_global_offset_x
      - .offset:         72
        .size:           8
        .value_kind:     hidden_global_offset_y
      - .offset:         80
        .size:           8
        .value_kind:     hidden_global_offset_z
      - .offset:         88
        .size:           2
        .value_kind:     hidden_grid_dims
    .group_segment_fixed_size: 0
    .kernarg_segment_align: 8
    .kernarg_segment_size: 280
    .language:       OpenCL C
    .language_version:
      - 2
      - 0
    .max_flat_workgroup_size: 1024
    .name:           _ZN9rocsolver6v33100L10reset_infoIdiiEEvPT_T0_T1_S4_
    .private_segment_fixed_size: 0
    .sgpr_count:     12
    .sgpr_spill_count: 0
    .symbol:         _ZN9rocsolver6v33100L10reset_infoIdiiEEvPT_T0_T1_S4_.kd
    .uniform_work_group_size: 1
    .uses_dynamic_stack: false
    .vgpr_count:     6
    .vgpr_spill_count: 0
    .wavefront_size: 64
  - .agpr_count:     0
    .args:
      - .offset:         0
        .size:           4
        .value_kind:     by_value
      - .address_space:  global
        .offset:         8
        .size:           8
        .value_kind:     global_buffer
      - .offset:         16
        .size:           8
        .value_kind:     by_value
      - .address_space:  global
        .offset:         24
        .size:           8
        .value_kind:     global_buffer
      - .offset:         32
        .size:           8
        .value_kind:     by_value
      - .offset:         40
        .size:           4
        .value_kind:     by_value
      - .offset:         48
        .size:           4
        .value_kind:     hidden_block_count_x
      - .offset:         52
        .size:           4
        .value_kind:     hidden_block_count_y
      - .offset:         56
        .size:           4
        .value_kind:     hidden_block_count_z
      - .offset:         60
        .size:           2
        .value_kind:     hidden_group_size_x
      - .offset:         62
        .size:           2
        .value_kind:     hidden_group_size_y
      - .offset:         64
        .size:           2
        .value_kind:     hidden_group_size_z
      - .offset:         66
        .size:           2
        .value_kind:     hidden_remainder_x
      - .offset:         68
        .size:           2
        .value_kind:     hidden_remainder_y
      - .offset:         70
        .size:           2
        .value_kind:     hidden_remainder_z
      - .offset:         88
        .size:           8
        .value_kind:     hidden_global_offset_x
      - .offset:         96
        .size:           8
        .value_kind:     hidden_global_offset_y
      - .offset:         104
        .size:           8
        .value_kind:     hidden_global_offset_z
      - .offset:         112
        .size:           2
        .value_kind:     hidden_grid_dims
    .group_segment_fixed_size: 0
    .kernarg_segment_align: 8
    .kernarg_segment_size: 304
    .language:       OpenCL C
    .language_version:
      - 2
      - 0
    .max_flat_workgroup_size: 1024
    .name:           _ZN9rocsolver6v33100L16syev_scalar_caseIdPdTnNSt9enable_ifIXnt18rocblas_is_complexIT_EEiE4typeELi0EEEv14rocblas_evect_T0_lPS4_li
    .private_segment_fixed_size: 0
    .sgpr_count:     20
    .sgpr_spill_count: 0
    .symbol:         _ZN9rocsolver6v33100L16syev_scalar_caseIdPdTnNSt9enable_ifIXnt18rocblas_is_complexIT_EEiE4typeELi0EEEv14rocblas_evect_T0_lPS4_li.kd
    .uniform_work_group_size: 1
    .uses_dynamic_stack: false
    .vgpr_count:     8
    .vgpr_spill_count: 0
    .wavefront_size: 64
  - .agpr_count:     0
    .args:
      - .offset:         0
        .size:           4
        .value_kind:     by_value
      - .offset:         4
        .size:           4
        .value_kind:     by_value
      - .offset:         8
        .size:           4
        .value_kind:     by_value
      - .offset:         12
        .size:           4
        .value_kind:     by_value
      - .address_space:  global
        .offset:         16
        .size:           8
        .value_kind:     global_buffer
      - .offset:         24
        .size:           4
        .value_kind:     by_value
      - .offset:         28
        .size:           4
        .value_kind:     by_value
      - .offset:         32
        .size:           8
        .value_kind:     by_value
      - .offset:         40
        .size:           8
        .value_kind:     by_value
      - .offset:         48
        .size:           8
        .value_kind:     by_value
      - .address_space:  global
        .offset:         56
        .size:           8
        .value_kind:     global_buffer
      - .offset:         64
        .size:           4
        .value_kind:     by_value
      - .address_space:  global
        .offset:         72
        .size:           8
        .value_kind:     global_buffer
      - .address_space:  global
        .offset:         80
        .size:           8
        .value_kind:     global_buffer
      - .offset:         88
        .size:           8
        .value_kind:     by_value
      - .address_space:  global
        .offset:         96
        .size:           8
        .value_kind:     global_buffer
      - .address_space:  global
        .offset:         104
        .size:           8
        .value_kind:     global_buffer
    .group_segment_fixed_size: 0
    .kernarg_segment_align: 8
    .kernarg_segment_size: 112
    .language:       OpenCL C
    .language_version:
      - 2
      - 0
    .max_flat_workgroup_size: 1024
    .name:           _ZN9rocsolver6v33100L18syevj_small_kernelIddPdEEv14rocblas_esort_14rocblas_evect_13rocblas_fill_iT1_iilT0_S7_PS7_iPiS8_lS9_PT_
    .private_segment_fixed_size: 0
    .sgpr_count:     92
    .sgpr_spill_count: 0
    .symbol:         _ZN9rocsolver6v33100L18syevj_small_kernelIddPdEEv14rocblas_esort_14rocblas_evect_13rocblas_fill_iT1_iilT0_S7_PS7_iPiS8_lS9_PT_.kd
    .uniform_work_group_size: 1
    .uses_dynamic_stack: false
    .vgpr_count:     49
    .vgpr_spill_count: 0
    .wavefront_size: 64
  - .agpr_count:     0
    .args:
      - .offset:         0
        .size:           4
        .value_kind:     by_value
      - .offset:         4
        .size:           4
        .value_kind:     by_value
      - .offset:         8
        .size:           4
        .value_kind:     by_value
      - .offset:         12
        .size:           4
        .value_kind:     by_value
      - .address_space:  global
        .offset:         16
        .size:           8
        .value_kind:     global_buffer
      - .offset:         24
        .size:           4
        .value_kind:     by_value
      - .offset:         28
        .size:           4
        .value_kind:     by_value
      - .offset:         32
        .size:           8
        .value_kind:     by_value
      - .offset:         40
        .size:           8
        .value_kind:     by_value
      - .address_space:  global
        .offset:         48
        .size:           8
        .value_kind:     global_buffer
      - .address_space:  global
        .offset:         56
        .size:           8
        .value_kind:     global_buffer
      - .address_space:  global
        .offset:         64
        .size:           8
        .value_kind:     global_buffer
      - .address_space:  global
        .offset:         72
        .size:           8
        .value_kind:     global_buffer
      - .address_space:  global
        .offset:         80
        .size:           8
        .value_kind:     global_buffer
      - .address_space:  global
        .offset:         88
        .size:           8
        .value_kind:     global_buffer
      - .offset:         96
        .size:           4
        .value_kind:     hidden_block_count_x
      - .offset:         100
        .size:           4
        .value_kind:     hidden_block_count_y
      - .offset:         104
        .size:           4
        .value_kind:     hidden_block_count_z
      - .offset:         108
        .size:           2
        .value_kind:     hidden_group_size_x
      - .offset:         110
        .size:           2
        .value_kind:     hidden_group_size_y
      - .offset:         112
        .size:           2
        .value_kind:     hidden_group_size_z
      - .offset:         114
        .size:           2
        .value_kind:     hidden_remainder_x
      - .offset:         116
        .size:           2
        .value_kind:     hidden_remainder_y
      - .offset:         118
        .size:           2
        .value_kind:     hidden_remainder_z
      - .offset:         136
        .size:           8
        .value_kind:     hidden_global_offset_x
      - .offset:         144
        .size:           8
        .value_kind:     hidden_global_offset_y
      - .offset:         152
        .size:           8
        .value_kind:     hidden_global_offset_z
      - .offset:         160
        .size:           2
        .value_kind:     hidden_grid_dims
      - .offset:         216
        .size:           4
        .value_kind:     hidden_dynamic_lds_size
    .group_segment_fixed_size: 0
    .kernarg_segment_align: 8
    .kernarg_segment_size: 352
    .language:       OpenCL C
    .language_version:
      - 2
      - 0
    .max_flat_workgroup_size: 1024
    .name:           _ZN9rocsolver6v33100L10syevj_initIddPdEEv14rocblas_evect_13rocblas_fill_iiT1_iilT0_PS6_PT_S7_PiSA_SA_
    .private_segment_fixed_size: 0
    .sgpr_count:     59
    .sgpr_spill_count: 0
    .symbol:         _ZN9rocsolver6v33100L10syevj_initIddPdEEv14rocblas_evect_13rocblas_fill_iiT1_iilT0_PS6_PT_S7_PiSA_SA_.kd
    .uniform_work_group_size: 1
    .uses_dynamic_stack: false
    .vgpr_count:     38
    .vgpr_spill_count: 0
    .wavefront_size: 64
  - .agpr_count:     0
    .args:
      - .offset:         0
        .size:           4
        .value_kind:     by_value
      - .address_space:  global
        .offset:         8
        .size:           8
        .value_kind:     global_buffer
      - .offset:         16
        .size:           4
        .value_kind:     by_value
      - .offset:         20
        .size:           4
        .value_kind:     by_value
      - .offset:         24
        .size:           8
        .value_kind:     by_value
      - .offset:         32
        .size:           8
        .value_kind:     by_value
      - .address_space:  global
        .offset:         40
        .size:           8
        .value_kind:     global_buffer
      - .address_space:  global
        .offset:         48
        .size:           8
        .value_kind:     global_buffer
      - .offset:         56
        .size:           4
        .value_kind:     hidden_block_count_x
      - .offset:         60
        .size:           4
        .value_kind:     hidden_block_count_y
      - .offset:         64
        .size:           4
        .value_kind:     hidden_block_count_z
      - .offset:         68
        .size:           2
        .value_kind:     hidden_group_size_x
      - .offset:         70
        .size:           2
        .value_kind:     hidden_group_size_y
      - .offset:         72
        .size:           2
        .value_kind:     hidden_group_size_z
      - .offset:         74
        .size:           2
        .value_kind:     hidden_remainder_x
      - .offset:         76
        .size:           2
        .value_kind:     hidden_remainder_y
      - .offset:         78
        .size:           2
        .value_kind:     hidden_remainder_z
      - .offset:         96
        .size:           8
        .value_kind:     hidden_global_offset_x
      - .offset:         104
        .size:           8
        .value_kind:     hidden_global_offset_y
      - .offset:         112
        .size:           8
        .value_kind:     hidden_global_offset_z
      - .offset:         120
        .size:           2
        .value_kind:     hidden_grid_dims
      - .offset:         176
        .size:           4
        .value_kind:     hidden_dynamic_lds_size
    .group_segment_fixed_size: 0
    .kernarg_segment_align: 8
    .kernarg_segment_size: 312
    .language:       OpenCL C
    .language_version:
      - 2
      - 0
    .max_flat_workgroup_size: 1024
    .name:           _ZN9rocsolver6v33100L17syevj_diag_kernelIddPdEEviT1_iilT0_PT_Pi
    .private_segment_fixed_size: 0
    .sgpr_count:     44
    .sgpr_spill_count: 0
    .symbol:         _ZN9rocsolver6v33100L17syevj_diag_kernelIddPdEEviT1_iilT0_PT_Pi.kd
    .uniform_work_group_size: 1
    .uses_dynamic_stack: false
    .vgpr_count:     40
    .vgpr_spill_count: 0
    .wavefront_size: 64
  - .agpr_count:     0
    .args:
      - .offset:         0
        .size:           1
        .value_kind:     by_value
      - .offset:         4
        .size:           4
        .value_kind:     by_value
      - .address_space:  global
        .offset:         8
        .size:           8
        .value_kind:     global_buffer
      - .offset:         16
        .size:           4
        .value_kind:     by_value
      - .offset:         20
        .size:           4
        .value_kind:     by_value
      - .offset:         24
        .size:           8
        .value_kind:     by_value
      - .address_space:  global
        .offset:         32
        .size:           8
        .value_kind:     global_buffer
      - .address_space:  global
        .offset:         40
        .size:           8
        .value_kind:     global_buffer
      - .offset:         48
        .size:           4
        .value_kind:     hidden_block_count_x
      - .offset:         52
        .size:           4
        .value_kind:     hidden_block_count_y
      - .offset:         56
        .size:           4
        .value_kind:     hidden_block_count_z
      - .offset:         60
        .size:           2
        .value_kind:     hidden_group_size_x
      - .offset:         62
        .size:           2
        .value_kind:     hidden_group_size_y
      - .offset:         64
        .size:           2
        .value_kind:     hidden_group_size_z
      - .offset:         66
        .size:           2
        .value_kind:     hidden_remainder_x
      - .offset:         68
        .size:           2
        .value_kind:     hidden_remainder_y
      - .offset:         70
        .size:           2
        .value_kind:     hidden_remainder_z
      - .offset:         88
        .size:           8
        .value_kind:     hidden_global_offset_x
      - .offset:         96
        .size:           8
        .value_kind:     hidden_global_offset_y
      - .offset:         104
        .size:           8
        .value_kind:     hidden_global_offset_z
      - .offset:         112
        .size:           2
        .value_kind:     hidden_grid_dims
    .group_segment_fixed_size: 0
    .kernarg_segment_align: 8
    .kernarg_segment_size: 304
    .language:       OpenCL C
    .language_version:
      - 2
      - 0
    .max_flat_workgroup_size: 1024
    .name:           _ZN9rocsolver6v33100L21syevj_diag_rotate_orgILb0EddPdEEvbiT2_iilPT0_Pi
    .private_segment_fixed_size: 0
    .sgpr_count:     24
    .sgpr_spill_count: 0
    .symbol:         _ZN9rocsolver6v33100L21syevj_diag_rotate_orgILb0EddPdEEvbiT2_iilPT0_Pi.kd
    .uniform_work_group_size: 1
    .uses_dynamic_stack: false
    .vgpr_count:     14
    .vgpr_spill_count: 0
    .wavefront_size: 64
  - .agpr_count:     0
    .args:
      - .offset:         0
        .size:           1
        .value_kind:     by_value
      - .offset:         4
        .size:           4
        .value_kind:     by_value
      - .address_space:  global
        .offset:         8
        .size:           8
        .value_kind:     global_buffer
      - .offset:         16
        .size:           4
        .value_kind:     by_value
      - .offset:         20
        .size:           4
        .value_kind:     by_value
      - .offset:         24
        .size:           8
        .value_kind:     by_value
      - .address_space:  global
        .offset:         32
        .size:           8
        .value_kind:     global_buffer
      - .address_space:  global
        .offset:         40
        .size:           8
        .value_kind:     global_buffer
      - .offset:         48
        .size:           4
        .value_kind:     hidden_block_count_x
      - .offset:         52
        .size:           4
        .value_kind:     hidden_block_count_y
      - .offset:         56
        .size:           4
        .value_kind:     hidden_block_count_z
      - .offset:         60
        .size:           2
        .value_kind:     hidden_group_size_x
      - .offset:         62
        .size:           2
        .value_kind:     hidden_group_size_y
      - .offset:         64
        .size:           2
        .value_kind:     hidden_group_size_z
      - .offset:         66
        .size:           2
        .value_kind:     hidden_remainder_x
      - .offset:         68
        .size:           2
        .value_kind:     hidden_remainder_y
      - .offset:         70
        .size:           2
        .value_kind:     hidden_remainder_z
      - .offset:         88
        .size:           8
        .value_kind:     hidden_global_offset_x
      - .offset:         96
        .size:           8
        .value_kind:     hidden_global_offset_y
      - .offset:         104
        .size:           8
        .value_kind:     hidden_global_offset_z
      - .offset:         112
        .size:           2
        .value_kind:     hidden_grid_dims
    .group_segment_fixed_size: 0
    .kernarg_segment_align: 8
    .kernarg_segment_size: 304
    .language:       OpenCL C
    .language_version:
      - 2
      - 0
    .max_flat_workgroup_size: 1024
    .name:           _ZN9rocsolver6v33100L21syevj_diag_rotate_orgILb1EddPdEEvbiT2_iilPT0_Pi
    .private_segment_fixed_size: 0
    .sgpr_count:     24
    .sgpr_spill_count: 0
    .symbol:         _ZN9rocsolver6v33100L21syevj_diag_rotate_orgILb1EddPdEEvbiT2_iilPT0_Pi.kd
    .uniform_work_group_size: 1
    .uses_dynamic_stack: false
    .vgpr_count:     14
    .vgpr_spill_count: 0
    .wavefront_size: 64
  - .agpr_count:     0
    .args:
      - .offset:         0
        .size:           1
        .value_kind:     by_value
      - .offset:         4
        .size:           4
        .value_kind:     by_value
      - .offset:         8
        .size:           4
        .value_kind:     by_value
      - .address_space:  global
        .offset:         16
        .size:           8
        .value_kind:     global_buffer
      - .offset:         24
        .size:           4
        .value_kind:     by_value
      - .offset:         28
        .size:           4
        .value_kind:     by_value
      - .offset:         32
        .size:           8
        .value_kind:     by_value
      - .address_space:  global
        .offset:         40
        .size:           8
        .value_kind:     global_buffer
      - .address_space:  global
        .offset:         48
        .size:           8
        .value_kind:     global_buffer
      - .offset:         56
        .size:           4
        .value_kind:     by_value
      - .offset:         64
        .size:           4
        .value_kind:     hidden_block_count_x
      - .offset:         68
        .size:           4
        .value_kind:     hidden_block_count_y
      - .offset:         72
        .size:           4
        .value_kind:     hidden_block_count_z
      - .offset:         76
        .size:           2
        .value_kind:     hidden_group_size_x
      - .offset:         78
        .size:           2
        .value_kind:     hidden_group_size_y
      - .offset:         80
        .size:           2
        .value_kind:     hidden_group_size_z
      - .offset:         82
        .size:           2
        .value_kind:     hidden_remainder_x
      - .offset:         84
        .size:           2
        .value_kind:     hidden_remainder_y
      - .offset:         86
        .size:           2
        .value_kind:     hidden_remainder_z
      - .offset:         104
        .size:           8
        .value_kind:     hidden_global_offset_x
      - .offset:         112
        .size:           8
        .value_kind:     hidden_global_offset_y
      - .offset:         120
        .size:           8
        .value_kind:     hidden_global_offset_z
      - .offset:         128
        .size:           2
        .value_kind:     hidden_grid_dims
      - .offset:         144
        .size:           8
        .value_kind:     hidden_hostcall_buffer
      - .offset:         184
        .size:           4
        .value_kind:     hidden_dynamic_lds_size
    .group_segment_fixed_size: 0
    .kernarg_segment_align: 8
    .kernarg_segment_size: 320
    .language:       OpenCL C
    .language_version:
      - 2
      - 0
    .max_flat_workgroup_size: 1024
    .name:           _ZN9rocsolver6v33100L17syevj_diag_rotateILb0EddPdEEvbiiT2_iilPT0_Pii
    .private_segment_fixed_size: 64
    .sgpr_count:     81
    .sgpr_spill_count: 0
    .symbol:         _ZN9rocsolver6v33100L17syevj_diag_rotateILb0EddPdEEvbiiT2_iilPT0_Pii.kd
    .uniform_work_group_size: 1
    .uses_dynamic_stack: false
    .vgpr_count:     42
    .vgpr_spill_count: 0
    .wavefront_size: 64
  - .agpr_count:     0
    .args:
      - .offset:         0
        .size:           1
        .value_kind:     by_value
      - .offset:         4
        .size:           4
        .value_kind:     by_value
      - .offset:         8
        .size:           4
        .value_kind:     by_value
      - .address_space:  global
        .offset:         16
        .size:           8
        .value_kind:     global_buffer
      - .offset:         24
        .size:           4
        .value_kind:     by_value
      - .offset:         28
        .size:           4
        .value_kind:     by_value
      - .offset:         32
        .size:           8
        .value_kind:     by_value
      - .address_space:  global
        .offset:         40
        .size:           8
        .value_kind:     global_buffer
      - .address_space:  global
        .offset:         48
        .size:           8
        .value_kind:     global_buffer
      - .offset:         56
        .size:           4
        .value_kind:     by_value
      - .offset:         64
        .size:           4
        .value_kind:     hidden_block_count_x
      - .offset:         68
        .size:           4
        .value_kind:     hidden_block_count_y
      - .offset:         72
        .size:           4
        .value_kind:     hidden_block_count_z
      - .offset:         76
        .size:           2
        .value_kind:     hidden_group_size_x
      - .offset:         78
        .size:           2
        .value_kind:     hidden_group_size_y
      - .offset:         80
        .size:           2
        .value_kind:     hidden_group_size_z
      - .offset:         82
        .size:           2
        .value_kind:     hidden_remainder_x
      - .offset:         84
        .size:           2
        .value_kind:     hidden_remainder_y
      - .offset:         86
        .size:           2
        .value_kind:     hidden_remainder_z
      - .offset:         104
        .size:           8
        .value_kind:     hidden_global_offset_x
      - .offset:         112
        .size:           8
        .value_kind:     hidden_global_offset_y
      - .offset:         120
        .size:           8
        .value_kind:     hidden_global_offset_z
      - .offset:         128
        .size:           2
        .value_kind:     hidden_grid_dims
      - .offset:         144
        .size:           8
        .value_kind:     hidden_hostcall_buffer
      - .offset:         184
        .size:           4
        .value_kind:     hidden_dynamic_lds_size
    .group_segment_fixed_size: 0
    .kernarg_segment_align: 8
    .kernarg_segment_size: 320
    .language:       OpenCL C
    .language_version:
      - 2
      - 0
    .max_flat_workgroup_size: 1024
    .name:           _ZN9rocsolver6v33100L17syevj_diag_rotateILb1EddPdEEvbiiT2_iilPT0_Pii
    .private_segment_fixed_size: 64
    .sgpr_count:     80
    .sgpr_spill_count: 0
    .symbol:         _ZN9rocsolver6v33100L17syevj_diag_rotateILb1EddPdEEvbiiT2_iilPT0_Pii.kd
    .uniform_work_group_size: 1
    .uses_dynamic_stack: false
    .vgpr_count:     42
    .vgpr_spill_count: 0
    .wavefront_size: 64
  - .agpr_count:     0
    .args:
      - .offset:         0
        .size:           4
        .value_kind:     by_value
      - .offset:         4
        .size:           4
        .value_kind:     by_value
      - .address_space:  global
        .offset:         8
        .size:           8
        .value_kind:     global_buffer
      - .offset:         16
        .size:           4
        .value_kind:     by_value
      - .offset:         20
        .size:           4
        .value_kind:     by_value
      - .offset:         24
        .size:           8
        .value_kind:     by_value
      - .offset:         32
        .size:           8
        .value_kind:     by_value
      - .address_space:  global
        .offset:         40
        .size:           8
        .value_kind:     global_buffer
      - .address_space:  global
        .offset:         48
        .size:           8
        .value_kind:     global_buffer
      - .address_space:  global
        .offset:         56
        .size:           8
        .value_kind:     global_buffer
      - .address_space:  global
        .offset:         64
        .size:           8
        .value_kind:     global_buffer
      - .offset:         72
        .size:           4
        .value_kind:     hidden_block_count_x
      - .offset:         76
        .size:           4
        .value_kind:     hidden_block_count_y
      - .offset:         80
        .size:           4
        .value_kind:     hidden_block_count_z
      - .offset:         84
        .size:           2
        .value_kind:     hidden_group_size_x
      - .offset:         86
        .size:           2
        .value_kind:     hidden_group_size_y
      - .offset:         88
        .size:           2
        .value_kind:     hidden_group_size_z
      - .offset:         90
        .size:           2
        .value_kind:     hidden_remainder_x
      - .offset:         92
        .size:           2
        .value_kind:     hidden_remainder_y
      - .offset:         94
        .size:           2
        .value_kind:     hidden_remainder_z
      - .offset:         112
        .size:           8
        .value_kind:     hidden_global_offset_x
      - .offset:         120
        .size:           8
        .value_kind:     hidden_global_offset_y
      - .offset:         128
        .size:           8
        .value_kind:     hidden_global_offset_z
      - .offset:         136
        .size:           2
        .value_kind:     hidden_grid_dims
      - .offset:         192
        .size:           4
        .value_kind:     hidden_dynamic_lds_size
    .group_segment_fixed_size: 0
    .kernarg_segment_align: 8
    .kernarg_segment_size: 328
    .language:       OpenCL C
    .language_version:
      - 2
      - 0
    .max_flat_workgroup_size: 1024
    .name:           _ZN9rocsolver6v33100L21syevj_offd_kernel_orgIddPdEEviiT1_iilT0_PT_PiS7_S7_
    .private_segment_fixed_size: 0
    .sgpr_count:     44
    .sgpr_spill_count: 0
    .symbol:         _ZN9rocsolver6v33100L21syevj_offd_kernel_orgIddPdEEviiT1_iilT0_PT_PiS7_S7_.kd
    .uniform_work_group_size: 1
    .uses_dynamic_stack: false
    .vgpr_count:     58
    .vgpr_spill_count: 0
    .wavefront_size: 64
  - .agpr_count:     0
    .args:
      - .offset:         0
        .size:           4
        .value_kind:     by_value
      - .offset:         4
        .size:           4
        .value_kind:     by_value
      - .address_space:  global
        .offset:         8
        .size:           8
        .value_kind:     global_buffer
      - .offset:         16
        .size:           4
        .value_kind:     by_value
      - .offset:         20
        .size:           4
        .value_kind:     by_value
      - .offset:         24
        .size:           8
        .value_kind:     by_value
      - .offset:         32
        .size:           8
        .value_kind:     by_value
      - .address_space:  global
        .offset:         40
        .size:           8
        .value_kind:     global_buffer
      - .address_space:  global
        .offset:         48
        .size:           8
        .value_kind:     global_buffer
      - .address_space:  global
        .offset:         56
        .size:           8
        .value_kind:     global_buffer
      - .address_space:  global
        .offset:         64
        .size:           8
        .value_kind:     global_buffer
      - .offset:         72
        .size:           4
        .value_kind:     by_value
      - .offset:         80
        .size:           4
        .value_kind:     hidden_block_count_x
      - .offset:         84
        .size:           4
        .value_kind:     hidden_block_count_y
      - .offset:         88
        .size:           4
        .value_kind:     hidden_block_count_z
      - .offset:         92
        .size:           2
        .value_kind:     hidden_group_size_x
      - .offset:         94
        .size:           2
        .value_kind:     hidden_group_size_y
      - .offset:         96
        .size:           2
        .value_kind:     hidden_group_size_z
      - .offset:         98
        .size:           2
        .value_kind:     hidden_remainder_x
      - .offset:         100
        .size:           2
        .value_kind:     hidden_remainder_y
      - .offset:         102
        .size:           2
        .value_kind:     hidden_remainder_z
      - .offset:         120
        .size:           8
        .value_kind:     hidden_global_offset_x
      - .offset:         128
        .size:           8
        .value_kind:     hidden_global_offset_y
      - .offset:         136
        .size:           8
        .value_kind:     hidden_global_offset_z
      - .offset:         144
        .size:           2
        .value_kind:     hidden_grid_dims
      - .offset:         200
        .size:           4
        .value_kind:     hidden_dynamic_lds_size
    .group_segment_fixed_size: 0
    .kernarg_segment_align: 8
    .kernarg_segment_size: 336
    .language:       OpenCL C
    .language_version:
      - 2
      - 0
    .max_flat_workgroup_size: 1024
    .name:           _ZN9rocsolver6v33100L17syevj_offd_kernelIddPdEEviiT1_iilT0_PT_PiS7_S7_i
    .private_segment_fixed_size: 0
    .sgpr_count:     92
    .sgpr_spill_count: 0
    .symbol:         _ZN9rocsolver6v33100L17syevj_offd_kernelIddPdEEviiT1_iilT0_PT_PiS7_S7_i.kd
    .uniform_work_group_size: 1
    .uses_dynamic_stack: false
    .vgpr_count:     52
    .vgpr_spill_count: 0
    .wavefront_size: 64
  - .agpr_count:     0
    .args:
      - .offset:         0
        .size:           1
        .value_kind:     by_value
      - .offset:         4
        .size:           4
        .value_kind:     by_value
      - .offset:         8
        .size:           4
        .value_kind:     by_value
      - .address_space:  global
        .offset:         16
        .size:           8
        .value_kind:     global_buffer
      - .offset:         24
        .size:           4
        .value_kind:     by_value
      - .offset:         28
        .size:           4
        .value_kind:     by_value
      - .offset:         32
        .size:           8
        .value_kind:     by_value
      - .address_space:  global
        .offset:         40
        .size:           8
        .value_kind:     global_buffer
      - .address_space:  global
        .offset:         48
        .size:           8
        .value_kind:     global_buffer
      - .address_space:  global
        .offset:         56
        .size:           8
        .value_kind:     global_buffer
      - .address_space:  global
        .offset:         64
        .size:           8
        .value_kind:     global_buffer
      - .offset:         72
        .size:           4
        .value_kind:     hidden_block_count_x
      - .offset:         76
        .size:           4
        .value_kind:     hidden_block_count_y
      - .offset:         80
        .size:           4
        .value_kind:     hidden_block_count_z
      - .offset:         84
        .size:           2
        .value_kind:     hidden_group_size_x
      - .offset:         86
        .size:           2
        .value_kind:     hidden_group_size_y
      - .offset:         88
        .size:           2
        .value_kind:     hidden_group_size_z
      - .offset:         90
        .size:           2
        .value_kind:     hidden_remainder_x
      - .offset:         92
        .size:           2
        .value_kind:     hidden_remainder_y
      - .offset:         94
        .size:           2
        .value_kind:     hidden_remainder_z
      - .offset:         112
        .size:           8
        .value_kind:     hidden_global_offset_x
      - .offset:         120
        .size:           8
        .value_kind:     hidden_global_offset_y
      - .offset:         128
        .size:           8
        .value_kind:     hidden_global_offset_z
      - .offset:         136
        .size:           2
        .value_kind:     hidden_grid_dims
    .group_segment_fixed_size: 0
    .kernarg_segment_align: 8
    .kernarg_segment_size: 328
    .language:       OpenCL C
    .language_version:
      - 2
      - 0
    .max_flat_workgroup_size: 1024
    .name:           _ZN9rocsolver6v33100L21syevj_offd_rotate_orgILb0EddPdEEvbiiT2_iilPT0_PiS6_S6_
    .private_segment_fixed_size: 0
    .sgpr_count:     26
    .sgpr_spill_count: 0
    .symbol:         _ZN9rocsolver6v33100L21syevj_offd_rotate_orgILb0EddPdEEvbiiT2_iilPT0_PiS6_S6_.kd
    .uniform_work_group_size: 1
    .uses_dynamic_stack: false
    .vgpr_count:     16
    .vgpr_spill_count: 0
    .wavefront_size: 64
  - .agpr_count:     0
    .args:
      - .offset:         0
        .size:           1
        .value_kind:     by_value
      - .offset:         4
        .size:           4
        .value_kind:     by_value
      - .offset:         8
        .size:           4
        .value_kind:     by_value
      - .address_space:  global
        .offset:         16
        .size:           8
        .value_kind:     global_buffer
      - .offset:         24
        .size:           4
        .value_kind:     by_value
      - .offset:         28
        .size:           4
        .value_kind:     by_value
      - .offset:         32
        .size:           8
        .value_kind:     by_value
      - .address_space:  global
        .offset:         40
        .size:           8
        .value_kind:     global_buffer
      - .address_space:  global
        .offset:         48
        .size:           8
        .value_kind:     global_buffer
      - .address_space:  global
        .offset:         56
        .size:           8
        .value_kind:     global_buffer
      - .address_space:  global
        .offset:         64
        .size:           8
        .value_kind:     global_buffer
      - .offset:         72
        .size:           4
        .value_kind:     by_value
      - .offset:         80
        .size:           4
        .value_kind:     hidden_block_count_x
      - .offset:         84
        .size:           4
        .value_kind:     hidden_block_count_y
      - .offset:         88
        .size:           4
        .value_kind:     hidden_block_count_z
      - .offset:         92
        .size:           2
        .value_kind:     hidden_group_size_x
      - .offset:         94
        .size:           2
        .value_kind:     hidden_group_size_y
      - .offset:         96
        .size:           2
        .value_kind:     hidden_group_size_z
      - .offset:         98
        .size:           2
        .value_kind:     hidden_remainder_x
      - .offset:         100
        .size:           2
        .value_kind:     hidden_remainder_y
      - .offset:         102
        .size:           2
        .value_kind:     hidden_remainder_z
      - .offset:         120
        .size:           8
        .value_kind:     hidden_global_offset_x
      - .offset:         128
        .size:           8
        .value_kind:     hidden_global_offset_y
      - .offset:         136
        .size:           8
        .value_kind:     hidden_global_offset_z
      - .offset:         144
        .size:           2
        .value_kind:     hidden_grid_dims
      - .offset:         200
        .size:           4
        .value_kind:     hidden_dynamic_lds_size
    .group_segment_fixed_size: 0
    .kernarg_segment_align: 8
    .kernarg_segment_size: 336
    .language:       OpenCL C
    .language_version:
      - 2
      - 0
    .max_flat_workgroup_size: 1024
    .name:           _ZN9rocsolver6v33100L17syevj_offd_rotateILb0EddPdEEvbiiT2_iilPT0_PiS6_S6_i
    .private_segment_fixed_size: 0
    .sgpr_count:     85
    .sgpr_spill_count: 0
    .symbol:         _ZN9rocsolver6v33100L17syevj_offd_rotateILb0EddPdEEvbiiT2_iilPT0_PiS6_S6_i.kd
    .uniform_work_group_size: 1
    .uses_dynamic_stack: false
    .vgpr_count:     22
    .vgpr_spill_count: 0
    .wavefront_size: 64
  - .agpr_count:     0
    .args:
      - .offset:         0
        .size:           1
        .value_kind:     by_value
      - .offset:         4
        .size:           4
        .value_kind:     by_value
      - .offset:         8
        .size:           4
        .value_kind:     by_value
      - .address_space:  global
        .offset:         16
        .size:           8
        .value_kind:     global_buffer
      - .offset:         24
        .size:           4
        .value_kind:     by_value
      - .offset:         28
        .size:           4
        .value_kind:     by_value
      - .offset:         32
        .size:           8
        .value_kind:     by_value
      - .address_space:  global
        .offset:         40
        .size:           8
        .value_kind:     global_buffer
      - .address_space:  global
        .offset:         48
        .size:           8
        .value_kind:     global_buffer
      - .address_space:  global
        .offset:         56
        .size:           8
        .value_kind:     global_buffer
      - .address_space:  global
        .offset:         64
        .size:           8
        .value_kind:     global_buffer
      - .offset:         72
        .size:           4
        .value_kind:     hidden_block_count_x
      - .offset:         76
        .size:           4
        .value_kind:     hidden_block_count_y
      - .offset:         80
        .size:           4
        .value_kind:     hidden_block_count_z
      - .offset:         84
        .size:           2
        .value_kind:     hidden_group_size_x
      - .offset:         86
        .size:           2
        .value_kind:     hidden_group_size_y
      - .offset:         88
        .size:           2
        .value_kind:     hidden_group_size_z
      - .offset:         90
        .size:           2
        .value_kind:     hidden_remainder_x
      - .offset:         92
        .size:           2
        .value_kind:     hidden_remainder_y
      - .offset:         94
        .size:           2
        .value_kind:     hidden_remainder_z
      - .offset:         112
        .size:           8
        .value_kind:     hidden_global_offset_x
      - .offset:         120
        .size:           8
        .value_kind:     hidden_global_offset_y
      - .offset:         128
        .size:           8
        .value_kind:     hidden_global_offset_z
      - .offset:         136
        .size:           2
        .value_kind:     hidden_grid_dims
    .group_segment_fixed_size: 0
    .kernarg_segment_align: 8
    .kernarg_segment_size: 328
    .language:       OpenCL C
    .language_version:
      - 2
      - 0
    .max_flat_workgroup_size: 1024
    .name:           _ZN9rocsolver6v33100L21syevj_offd_rotate_orgILb1EddPdEEvbiiT2_iilPT0_PiS6_S6_
    .private_segment_fixed_size: 0
    .sgpr_count:     25
    .sgpr_spill_count: 0
    .symbol:         _ZN9rocsolver6v33100L21syevj_offd_rotate_orgILb1EddPdEEvbiiT2_iilPT0_PiS6_S6_.kd
    .uniform_work_group_size: 1
    .uses_dynamic_stack: false
    .vgpr_count:     16
    .vgpr_spill_count: 0
    .wavefront_size: 64
  - .agpr_count:     0
    .args:
      - .offset:         0
        .size:           1
        .value_kind:     by_value
      - .offset:         4
        .size:           4
        .value_kind:     by_value
      - .offset:         8
        .size:           4
        .value_kind:     by_value
      - .address_space:  global
        .offset:         16
        .size:           8
        .value_kind:     global_buffer
      - .offset:         24
        .size:           4
        .value_kind:     by_value
      - .offset:         28
        .size:           4
        .value_kind:     by_value
      - .offset:         32
        .size:           8
        .value_kind:     by_value
      - .address_space:  global
        .offset:         40
        .size:           8
        .value_kind:     global_buffer
      - .address_space:  global
        .offset:         48
        .size:           8
        .value_kind:     global_buffer
      - .address_space:  global
        .offset:         56
        .size:           8
        .value_kind:     global_buffer
      - .address_space:  global
        .offset:         64
        .size:           8
        .value_kind:     global_buffer
      - .offset:         72
        .size:           4
        .value_kind:     by_value
      - .offset:         80
        .size:           4
        .value_kind:     hidden_block_count_x
      - .offset:         84
        .size:           4
        .value_kind:     hidden_block_count_y
      - .offset:         88
        .size:           4
        .value_kind:     hidden_block_count_z
      - .offset:         92
        .size:           2
        .value_kind:     hidden_group_size_x
      - .offset:         94
        .size:           2
        .value_kind:     hidden_group_size_y
      - .offset:         96
        .size:           2
        .value_kind:     hidden_group_size_z
      - .offset:         98
        .size:           2
        .value_kind:     hidden_remainder_x
      - .offset:         100
        .size:           2
        .value_kind:     hidden_remainder_y
      - .offset:         102
        .size:           2
        .value_kind:     hidden_remainder_z
      - .offset:         120
        .size:           8
        .value_kind:     hidden_global_offset_x
      - .offset:         128
        .size:           8
        .value_kind:     hidden_global_offset_y
      - .offset:         136
        .size:           8
        .value_kind:     hidden_global_offset_z
      - .offset:         144
        .size:           2
        .value_kind:     hidden_grid_dims
      - .offset:         200
        .size:           4
        .value_kind:     hidden_dynamic_lds_size
    .group_segment_fixed_size: 0
    .kernarg_segment_align: 8
    .kernarg_segment_size: 336
    .language:       OpenCL C
    .language_version:
      - 2
      - 0
    .max_flat_workgroup_size: 1024
    .name:           _ZN9rocsolver6v33100L17syevj_offd_rotateILb1EddPdEEvbiiT2_iilPT0_PiS6_S6_i
    .private_segment_fixed_size: 0
    .sgpr_count:     82
    .sgpr_spill_count: 0
    .symbol:         _ZN9rocsolver6v33100L17syevj_offd_rotateILb1EddPdEEvbiiT2_iilPT0_PiS6_S6_i.kd
    .uniform_work_group_size: 1
    .uses_dynamic_stack: false
    .vgpr_count:     22
    .vgpr_spill_count: 0
    .wavefront_size: 64
  - .agpr_count:     0
    .args:
      - .offset:         0
        .size:           4
        .value_kind:     by_value
      - .address_space:  global
        .offset:         8
        .size:           8
        .value_kind:     global_buffer
      - .address_space:  global
        .offset:         16
        .size:           8
        .value_kind:     global_buffer
      - .offset:         24
        .size:           4
        .value_kind:     hidden_block_count_x
      - .offset:         28
        .size:           4
        .value_kind:     hidden_block_count_y
      - .offset:         32
        .size:           4
        .value_kind:     hidden_block_count_z
      - .offset:         36
        .size:           2
        .value_kind:     hidden_group_size_x
      - .offset:         38
        .size:           2
        .value_kind:     hidden_group_size_y
      - .offset:         40
        .size:           2
        .value_kind:     hidden_group_size_z
      - .offset:         42
        .size:           2
        .value_kind:     hidden_remainder_x
      - .offset:         44
        .size:           2
        .value_kind:     hidden_remainder_y
      - .offset:         46
        .size:           2
        .value_kind:     hidden_remainder_z
      - .offset:         64
        .size:           8
        .value_kind:     hidden_global_offset_x
      - .offset:         72
        .size:           8
        .value_kind:     hidden_global_offset_y
      - .offset:         80
        .size:           8
        .value_kind:     hidden_global_offset_z
      - .offset:         88
        .size:           2
        .value_kind:     hidden_grid_dims
    .group_segment_fixed_size: 0
    .kernarg_segment_align: 8
    .kernarg_segment_size: 280
    .language:       OpenCL C
    .language_version:
      - 2
      - 0
    .max_flat_workgroup_size: 1024
    .name:           _ZN9rocsolver6v33100L17syevj_cycle_pairsIdEEviPiS2_
    .private_segment_fixed_size: 0
    .sgpr_count:     20
    .sgpr_spill_count: 0
    .symbol:         _ZN9rocsolver6v33100L17syevj_cycle_pairsIdEEviPiS2_.kd
    .uniform_work_group_size: 1
    .uses_dynamic_stack: false
    .vgpr_count:     12
    .vgpr_spill_count: 0
    .wavefront_size: 64
  - .agpr_count:     0
    .args:
      - .offset:         0
        .size:           4
        .value_kind:     by_value
      - .offset:         4
        .size:           4
        .value_kind:     by_value
      - .address_space:  global
        .offset:         8
        .size:           8
        .value_kind:     global_buffer
      - .address_space:  global
        .offset:         16
        .size:           8
        .value_kind:     global_buffer
      - .address_space:  global
        .offset:         24
        .size:           8
        .value_kind:     global_buffer
      - .address_space:  global
        .offset:         32
        .size:           8
        .value_kind:     global_buffer
      - .offset:         40
        .size:           4
        .value_kind:     hidden_block_count_x
      - .offset:         44
        .size:           4
        .value_kind:     hidden_block_count_y
      - .offset:         48
        .size:           4
        .value_kind:     hidden_block_count_z
      - .offset:         52
        .size:           2
        .value_kind:     hidden_group_size_x
      - .offset:         54
        .size:           2
        .value_kind:     hidden_group_size_y
      - .offset:         56
        .size:           2
        .value_kind:     hidden_group_size_z
      - .offset:         58
        .size:           2
        .value_kind:     hidden_remainder_x
      - .offset:         60
        .size:           2
        .value_kind:     hidden_remainder_y
      - .offset:         62
        .size:           2
        .value_kind:     hidden_remainder_z
      - .offset:         80
        .size:           8
        .value_kind:     hidden_global_offset_x
      - .offset:         88
        .size:           8
        .value_kind:     hidden_global_offset_y
      - .offset:         96
        .size:           8
        .value_kind:     hidden_global_offset_z
      - .offset:         104
        .size:           2
        .value_kind:     hidden_grid_dims
      - .offset:         160
        .size:           4
        .value_kind:     hidden_dynamic_lds_size
    .group_segment_fixed_size: 0
    .kernarg_segment_align: 8
    .kernarg_segment_size: 296
    .language:       OpenCL C
    .language_version:
      - 2
      - 0
    .max_flat_workgroup_size: 1024
    .name:           _ZN9rocsolver6v33100L15syevj_calc_normIddEEviiPT0_PT_S3_Pi
    .private_segment_fixed_size: 0
    .sgpr_count:     28
    .sgpr_spill_count: 0
    .symbol:         _ZN9rocsolver6v33100L15syevj_calc_normIddEEviiPT0_PT_S3_Pi.kd
    .uniform_work_group_size: 1
    .uses_dynamic_stack: false
    .vgpr_count:     20
    .vgpr_spill_count: 0
    .wavefront_size: 64
  - .agpr_count:     0
    .args:
      - .offset:         0
        .size:           4
        .value_kind:     by_value
      - .offset:         4
        .size:           4
        .value_kind:     by_value
      - .offset:         8
        .size:           4
        .value_kind:     by_value
      - .address_space:  global
        .offset:         16
        .size:           8
        .value_kind:     global_buffer
      - .offset:         24
        .size:           4
        .value_kind:     by_value
      - .offset:         28
        .size:           4
        .value_kind:     by_value
      - .offset:         32
        .size:           8
        .value_kind:     by_value
      - .address_space:  global
        .offset:         40
        .size:           8
        .value_kind:     global_buffer
      - .offset:         48
        .size:           4
        .value_kind:     by_value
      - .address_space:  global
        .offset:         56
        .size:           8
        .value_kind:     global_buffer
      - .address_space:  global
        .offset:         64
        .size:           8
        .value_kind:     global_buffer
      - .offset:         72
        .size:           8
        .value_kind:     by_value
      - .address_space:  global
        .offset:         80
        .size:           8
        .value_kind:     global_buffer
      - .address_space:  global
        .offset:         88
        .size:           8
        .value_kind:     global_buffer
      - .address_space:  global
        .offset:         96
        .size:           8
        .value_kind:     global_buffer
      - .offset:         104
        .size:           4
        .value_kind:     hidden_block_count_x
      - .offset:         108
        .size:           4
        .value_kind:     hidden_block_count_y
      - .offset:         112
        .size:           4
        .value_kind:     hidden_block_count_z
      - .offset:         116
        .size:           2
        .value_kind:     hidden_group_size_x
      - .offset:         118
        .size:           2
        .value_kind:     hidden_group_size_y
      - .offset:         120
        .size:           2
        .value_kind:     hidden_group_size_z
      - .offset:         122
        .size:           2
        .value_kind:     hidden_remainder_x
      - .offset:         124
        .size:           2
        .value_kind:     hidden_remainder_y
      - .offset:         126
        .size:           2
        .value_kind:     hidden_remainder_z
      - .offset:         144
        .size:           8
        .value_kind:     hidden_global_offset_x
      - .offset:         152
        .size:           8
        .value_kind:     hidden_global_offset_y
      - .offset:         160
        .size:           8
        .value_kind:     hidden_global_offset_z
      - .offset:         168
        .size:           2
        .value_kind:     hidden_grid_dims
    .group_segment_fixed_size: 0
    .kernarg_segment_align: 8
    .kernarg_segment_size: 360
    .language:       OpenCL C
    .language_version:
      - 2
      - 0
    .max_flat_workgroup_size: 1024
    .name:           _ZN9rocsolver6v33100L14syevj_finalizeIddPdEEv14rocblas_esort_14rocblas_evect_iT1_iilPT0_iPiS7_lS8_PT_S8_
    .private_segment_fixed_size: 0
    .sgpr_count:     34
    .sgpr_spill_count: 0
    .symbol:         _ZN9rocsolver6v33100L14syevj_finalizeIddPdEEv14rocblas_esort_14rocblas_evect_iT1_iilPT0_iPiS7_lS8_PT_S8_.kd
    .uniform_work_group_size: 1
    .uses_dynamic_stack: false
    .vgpr_count:     12
    .vgpr_spill_count: 0
    .wavefront_size: 64
  - .agpr_count:     0
    .args:
      - .offset:         0
        .size:           4
        .value_kind:     by_value
      - .offset:         4
        .size:           4
        .value_kind:     by_value
      - .address_space:  global
        .offset:         8
        .size:           8
        .value_kind:     global_buffer
      - .offset:         16
        .size:           8
        .value_kind:     by_value
      - .offset:         24
        .size:           4
        .value_kind:     by_value
      - .offset:         32
        .size:           8
        .value_kind:     by_value
      - .address_space:  global
        .offset:         40
        .size:           8
        .value_kind:     global_buffer
      - .offset:         48
        .size:           8
        .value_kind:     by_value
      - .address_space:  global
        .offset:         56
        .size:           8
        .value_kind:     global_buffer
      - .offset:         64
        .size:           8
        .value_kind:     by_value
    .group_segment_fixed_size: 0
    .kernarg_segment_align: 8
    .kernarg_segment_size: 72
    .language:       OpenCL C
    .language_version:
      - 2
      - 0
    .max_flat_workgroup_size: 256
    .name:           _ZN9rocsolver6v33100L18geqr2_kernel_smallILi256EdidPdEEvT1_S3_T3_lS3_lPT2_lPT0_l
    .private_segment_fixed_size: 0
    .sgpr_count:     54
    .sgpr_spill_count: 0
    .symbol:         _ZN9rocsolver6v33100L18geqr2_kernel_smallILi256EdidPdEEvT1_S3_T3_lS3_lPT2_lPT0_l.kd
    .uniform_work_group_size: 1
    .uses_dynamic_stack: false
    .vgpr_count:     36
    .vgpr_spill_count: 0
    .wavefront_size: 64
  - .agpr_count:     0
    .args:
      - .address_space:  global
        .offset:         0
        .size:           8
        .value_kind:     global_buffer
      - .offset:         8
        .size:           8
        .value_kind:     by_value
      - .offset:         16
        .size:           4
        .value_kind:     by_value
      - .offset:         20
        .size:           4
        .value_kind:     by_value
      - .offset:         24
        .size:           4
        .value_kind:     hidden_block_count_x
      - .offset:         28
        .size:           4
        .value_kind:     hidden_block_count_y
      - .offset:         32
        .size:           4
        .value_kind:     hidden_block_count_z
      - .offset:         36
        .size:           2
        .value_kind:     hidden_group_size_x
      - .offset:         38
        .size:           2
        .value_kind:     hidden_group_size_y
      - .offset:         40
        .size:           2
        .value_kind:     hidden_group_size_z
      - .offset:         42
        .size:           2
        .value_kind:     hidden_remainder_x
      - .offset:         44
        .size:           2
        .value_kind:     hidden_remainder_y
      - .offset:         46
        .size:           2
        .value_kind:     hidden_remainder_z
      - .offset:         64
        .size:           8
        .value_kind:     hidden_global_offset_x
      - .offset:         72
        .size:           8
        .value_kind:     hidden_global_offset_y
      - .offset:         80
        .size:           8
        .value_kind:     hidden_global_offset_z
      - .offset:         88
        .size:           2
        .value_kind:     hidden_grid_dims
    .group_segment_fixed_size: 0
    .kernarg_segment_align: 8
    .kernarg_segment_size: 280
    .language:       OpenCL C
    .language_version:
      - 2
      - 0
    .max_flat_workgroup_size: 1024
    .name:           _ZN9rocsolver6v33100L16reset_batch_infoIdiiPdEEvT2_lT0_T1_
    .private_segment_fixed_size: 0
    .sgpr_count:     16
    .sgpr_spill_count: 0
    .symbol:         _ZN9rocsolver6v33100L16reset_batch_infoIdiiPdEEvT2_lT0_T1_.kd
    .uniform_work_group_size: 1
    .uses_dynamic_stack: false
    .vgpr_count:     4
    .vgpr_spill_count: 0
    .wavefront_size: 64
  - .agpr_count:     0
    .args:
      - .address_space:  global
        .offset:         0
        .size:           8
        .value_kind:     global_buffer
      - .offset:         8
        .size:           8
        .value_kind:     by_value
      - .offset:         16
        .size:           8
        .value_kind:     by_value
      - .address_space:  global
        .offset:         24
        .size:           8
        .value_kind:     global_buffer
      - .offset:         32
        .size:           8
        .value_kind:     by_value
      - .offset:         40
        .size:           4
        .value_kind:     by_value
      - .offset:         48
        .size:           8
        .value_kind:     by_value
      - .offset:         56
        .size:           4
        .value_kind:     by_value
      - .offset:         60
        .size:           1
        .value_kind:     by_value
      - .offset:         64
        .size:           4
        .value_kind:     hidden_block_count_x
      - .offset:         68
        .size:           4
        .value_kind:     hidden_block_count_y
      - .offset:         72
        .size:           4
        .value_kind:     hidden_block_count_z
      - .offset:         76
        .size:           2
        .value_kind:     hidden_group_size_x
      - .offset:         78
        .size:           2
        .value_kind:     hidden_group_size_y
      - .offset:         80
        .size:           2
        .value_kind:     hidden_group_size_z
      - .offset:         82
        .size:           2
        .value_kind:     hidden_remainder_x
      - .offset:         84
        .size:           2
        .value_kind:     hidden_remainder_y
      - .offset:         86
        .size:           2
        .value_kind:     hidden_remainder_z
      - .offset:         104
        .size:           8
        .value_kind:     hidden_global_offset_x
      - .offset:         112
        .size:           8
        .value_kind:     hidden_global_offset_y
      - .offset:         120
        .size:           8
        .value_kind:     hidden_global_offset_z
      - .offset:         128
        .size:           2
        .value_kind:     hidden_grid_dims
    .group_segment_fixed_size: 0
    .kernarg_segment_align: 8
    .kernarg_segment_size: 320
    .language:       OpenCL C
    .language_version:
      - 2
      - 0
    .max_flat_workgroup_size: 1024
    .name:           _ZN9rocsolver6v33100L8set_diagIdidPdTnNSt9enable_ifIXoont18rocblas_is_complexIT_E18rocblas_is_complexIT1_EEiE4typeELi0EEEvPS5_llT2_lT0_lSA_b
    .private_segment_fixed_size: 0
    .sgpr_count:     22
    .sgpr_spill_count: 0
    .symbol:         _ZN9rocsolver6v33100L8set_diagIdidPdTnNSt9enable_ifIXoont18rocblas_is_complexIT_E18rocblas_is_complexIT1_EEiE4typeELi0EEEvPS5_llT2_lT0_lSA_b.kd
    .uniform_work_group_size: 1
    .uses_dynamic_stack: false
    .vgpr_count:     8
    .vgpr_spill_count: 0
    .wavefront_size: 64
  - .agpr_count:     0
    .args:
      - .address_space:  global
        .offset:         0
        .size:           8
        .value_kind:     global_buffer
      - .offset:         8
        .size:           8
        .value_kind:     by_value
      - .address_space:  global
        .offset:         16
        .size:           8
        .value_kind:     global_buffer
      - .address_space:  global
        .offset:         24
        .size:           8
        .value_kind:     global_buffer
      - .offset:         32
        .size:           8
        .value_kind:     by_value
      - .offset:         40
        .size:           8
        .value_kind:     by_value
      - .address_space:  global
        .offset:         48
        .size:           8
        .value_kind:     global_buffer
      - .offset:         56
        .size:           8
        .value_kind:     by_value
      - .offset:         64
        .size:           8
        .value_kind:     by_value
    .group_segment_fixed_size: 0
    .kernarg_segment_align: 8
    .kernarg_segment_size: 72
    .language:       OpenCL C
    .language_version:
      - 2
      - 0
    .max_flat_workgroup_size: 1024
    .name:           _ZN9rocsolver6v33100L11set_taubetaIdidPdEEvPT_lS4_T2_llPT1_ll
    .private_segment_fixed_size: 0
    .sgpr_count:     30
    .sgpr_spill_count: 0
    .symbol:         _ZN9rocsolver6v33100L11set_taubetaIdidPdEEvPT_lS4_T2_llPT1_ll.kd
    .uniform_work_group_size: 1
    .uses_dynamic_stack: false
    .vgpr_count:     13
    .vgpr_spill_count: 0
    .wavefront_size: 64
  - .agpr_count:     0
    .args:
      - .offset:         0
        .size:           4
        .value_kind:     by_value
      - .offset:         4
        .size:           4
        .value_kind:     by_value
      - .address_space:  global
        .offset:         8
        .size:           8
        .value_kind:     global_buffer
      - .offset:         16
        .size:           8
        .value_kind:     by_value
      - .offset:         24
        .size:           4
        .value_kind:     by_value
      - .offset:         32
        .size:           8
        .value_kind:     by_value
    .group_segment_fixed_size: 0
    .kernarg_segment_align: 8
    .kernarg_segment_size: 40
    .language:       OpenCL C
    .language_version:
      - 2
      - 0
    .max_flat_workgroup_size: 1024
    .name:           _ZN9rocsolver6v33100L13conj_in_placeIdiPdTnNSt9enable_ifIXnt18rocblas_is_complexIT_EEiE4typeELi0EEEvT0_S7_T1_lS7_l
    .private_segment_fixed_size: 0
    .sgpr_count:     4
    .sgpr_spill_count: 0
    .symbol:         _ZN9rocsolver6v33100L13conj_in_placeIdiPdTnNSt9enable_ifIXnt18rocblas_is_complexIT_EEiE4typeELi0EEEvT0_S7_T1_lS7_l.kd
    .uniform_work_group_size: 1
    .uses_dynamic_stack: false
    .vgpr_count:     0
    .vgpr_spill_count: 0
    .wavefront_size: 64
  - .agpr_count:     0
    .args:
      - .offset:         0
        .size:           4
        .value_kind:     by_value
      - .offset:         4
        .size:           4
        .value_kind:     by_value
      - .address_space:  global
        .offset:         8
        .size:           8
        .value_kind:     global_buffer
      - .offset:         16
        .size:           8
        .value_kind:     by_value
      - .offset:         24
        .size:           4
        .value_kind:     by_value
      - .offset:         32
        .size:           8
        .value_kind:     by_value
      - .address_space:  global
        .offset:         40
        .size:           8
        .value_kind:     global_buffer
      - .offset:         48
        .size:           8
        .value_kind:     by_value
      - .address_space:  global
        .offset:         56
        .size:           8
        .value_kind:     global_buffer
      - .offset:         64
        .size:           8
        .value_kind:     by_value
      - .offset:         72
        .size:           4
        .value_kind:     by_value
      - .offset:         80
        .size:           8
        .value_kind:     by_value
    .group_segment_fixed_size: 0
    .kernarg_segment_align: 8
    .kernarg_segment_size: 88
    .language:       OpenCL C
    .language_version:
      - 2
      - 0
    .max_flat_workgroup_size: 1024
    .name:           _ZN9rocsolver6v33100L16larf_left_kernelILi1024EdiPdEEvT1_S3_T2_lS3_lPKT0_lS4_lS3_l
    .private_segment_fixed_size: 0
    .sgpr_count:     40
    .sgpr_spill_count: 0
    .symbol:         _ZN9rocsolver6v33100L16larf_left_kernelILi1024EdiPdEEvT1_S3_T2_lS3_lPKT0_lS4_lS3_l.kd
    .uniform_work_group_size: 1
    .uses_dynamic_stack: false
    .vgpr_count:     20
    .vgpr_spill_count: 0
    .wavefront_size: 64
  - .agpr_count:     0
    .args:
      - .offset:         0
        .size:           4
        .value_kind:     by_value
      - .offset:         4
        .size:           4
        .value_kind:     by_value
      - .address_space:  global
        .offset:         8
        .size:           8
        .value_kind:     global_buffer
      - .offset:         16
        .size:           8
        .value_kind:     by_value
      - .offset:         24
        .size:           4
        .value_kind:     by_value
      - .offset:         32
        .size:           8
        .value_kind:     by_value
      - .address_space:  global
        .offset:         40
        .size:           8
        .value_kind:     global_buffer
      - .offset:         48
        .size:           8
        .value_kind:     by_value
      - .address_space:  global
        .offset:         56
        .size:           8
        .value_kind:     global_buffer
      - .offset:         64
        .size:           8
        .value_kind:     by_value
      - .offset:         72
        .size:           4
        .value_kind:     by_value
      - .offset:         80
        .size:           8
        .value_kind:     by_value
    .group_segment_fixed_size: 0
    .kernarg_segment_align: 8
    .kernarg_segment_size: 88
    .language:       OpenCL C
    .language_version:
      - 2
      - 0
    .max_flat_workgroup_size: 1024
    .name:           _ZN9rocsolver6v33100L17larf_right_kernelILi1024EdiPdEEvT1_S3_T2_lS3_lPKT0_lS4_lS3_l
    .private_segment_fixed_size: 0
    .sgpr_count:     40
    .sgpr_spill_count: 0
    .symbol:         _ZN9rocsolver6v33100L17larf_right_kernelILi1024EdiPdEEvT1_S3_T2_lS3_lPKT0_lS4_lS3_l.kd
    .uniform_work_group_size: 1
    .uses_dynamic_stack: false
    .vgpr_count:     21
    .vgpr_spill_count: 0
    .wavefront_size: 64
  - .agpr_count:     0
    .args:
      - .address_space:  global
        .offset:         0
        .size:           8
        .value_kind:     global_buffer
      - .offset:         8
        .size:           8
        .value_kind:     by_value
      - .offset:         16
        .size:           8
        .value_kind:     by_value
      - .address_space:  global
        .offset:         24
        .size:           8
        .value_kind:     global_buffer
      - .offset:         32
        .size:           8
        .value_kind:     by_value
      - .offset:         40
        .size:           4
        .value_kind:     by_value
      - .offset:         48
        .size:           8
        .value_kind:     by_value
      - .offset:         56
        .size:           4
        .value_kind:     by_value
      - .offset:         64
        .size:           4
        .value_kind:     hidden_block_count_x
      - .offset:         68
        .size:           4
        .value_kind:     hidden_block_count_y
      - .offset:         72
        .size:           4
        .value_kind:     hidden_block_count_z
      - .offset:         76
        .size:           2
        .value_kind:     hidden_group_size_x
      - .offset:         78
        .size:           2
        .value_kind:     hidden_group_size_y
      - .offset:         80
        .size:           2
        .value_kind:     hidden_group_size_z
      - .offset:         82
        .size:           2
        .value_kind:     hidden_remainder_x
      - .offset:         84
        .size:           2
        .value_kind:     hidden_remainder_y
      - .offset:         86
        .size:           2
        .value_kind:     hidden_remainder_z
      - .offset:         104
        .size:           8
        .value_kind:     hidden_global_offset_x
      - .offset:         112
        .size:           8
        .value_kind:     hidden_global_offset_y
      - .offset:         120
        .size:           8
        .value_kind:     hidden_global_offset_z
      - .offset:         128
        .size:           2
        .value_kind:     hidden_grid_dims
    .group_segment_fixed_size: 0
    .kernarg_segment_align: 8
    .kernarg_segment_size: 320
    .language:       OpenCL C
    .language_version:
      - 2
      - 0
    .max_flat_workgroup_size: 1024
    .name:           _ZN9rocsolver6v33100L12restore_diagIdidPdEEvPT1_llT2_lT0_lS6_
    .private_segment_fixed_size: 0
    .sgpr_count:     20
    .sgpr_spill_count: 0
    .symbol:         _ZN9rocsolver6v33100L12restore_diagIdidPdEEvPT1_llT2_lT0_lS6_.kd
    .uniform_work_group_size: 1
    .uses_dynamic_stack: false
    .vgpr_count:     5
    .vgpr_spill_count: 0
    .wavefront_size: 64
  - .agpr_count:     0
    .args:
      - .offset:         0
        .size:           4
        .value_kind:     by_value
      - .offset:         4
        .size:           4
        .value_kind:     by_value
      - .address_space:  global
        .offset:         8
        .size:           8
        .value_kind:     global_buffer
      - .offset:         16
        .size:           4
        .value_kind:     by_value
      - .offset:         20
        .size:           4
        .value_kind:     by_value
      - .offset:         24
        .size:           8
        .value_kind:     by_value
      - .address_space:  global
        .offset:         32
        .size:           8
        .value_kind:     global_buffer
      - .offset:         40
        .size:           8
        .value_kind:     by_value
      - .address_space:  global
        .offset:         48
        .size:           8
        .value_kind:     global_buffer
      - .offset:         56
        .size:           4
        .value_kind:     by_value
      - .offset:         64
        .size:           8
        .value_kind:     by_value
      - .offset:         72
        .size:           4
        .value_kind:     by_value
      - .offset:         76
        .size:           4
        .value_kind:     by_value
      - .offset:         80
        .size:           1
        .value_kind:     by_value
      - .offset:         88
        .size:           4
        .value_kind:     hidden_block_count_x
      - .offset:         92
        .size:           4
        .value_kind:     hidden_block_count_y
      - .offset:         96
        .size:           4
        .value_kind:     hidden_block_count_z
      - .offset:         100
        .size:           2
        .value_kind:     hidden_group_size_x
      - .offset:         102
        .size:           2
        .value_kind:     hidden_group_size_y
      - .offset:         104
        .size:           2
        .value_kind:     hidden_group_size_z
      - .offset:         106
        .size:           2
        .value_kind:     hidden_remainder_x
      - .offset:         108
        .size:           2
        .value_kind:     hidden_remainder_y
      - .offset:         110
        .size:           2
        .value_kind:     hidden_remainder_z
      - .offset:         128
        .size:           8
        .value_kind:     hidden_global_offset_x
      - .offset:         136
        .size:           8
        .value_kind:     hidden_global_offset_y
      - .offset:         144
        .size:           8
        .value_kind:     hidden_global_offset_z
      - .offset:         152
        .size:           2
        .value_kind:     hidden_grid_dims
    .group_segment_fixed_size: 0
    .kernarg_segment_align: 8
    .kernarg_segment_size: 344
    .language:       OpenCL C
    .language_version:
      - 2
      - 0
    .max_flat_workgroup_size: 1024
    .name:           _ZN9rocsolver6v33100L14set_triangularIdPdTnNSt9enable_ifIXnt18rocblas_is_complexIT_EEiE4typeELi0EEEviiT0_iilPS4_lS8_il15rocblas_direct_15rocblas_storev_b
    .private_segment_fixed_size: 0
    .sgpr_count:     27
    .sgpr_spill_count: 0
    .symbol:         _ZN9rocsolver6v33100L14set_triangularIdPdTnNSt9enable_ifIXnt18rocblas_is_complexIT_EEiE4typeELi0EEEviiT0_iilPS4_lS8_il15rocblas_direct_15rocblas_storev_b.kd
    .uniform_work_group_size: 1
    .uses_dynamic_stack: false
    .vgpr_count:     18
    .vgpr_spill_count: 0
    .wavefront_size: 64
  - .agpr_count:     0
    .args:
      - .offset:         0
        .size:           4
        .value_kind:     by_value
      - .address_space:  global
        .offset:         8
        .size:           8
        .value_kind:     global_buffer
      - .offset:         16
        .size:           8
        .value_kind:     by_value
      - .offset:         24
        .size:           4
        .value_kind:     hidden_block_count_x
      - .offset:         28
        .size:           4
        .value_kind:     hidden_block_count_y
      - .offset:         32
        .size:           4
        .value_kind:     hidden_block_count_z
      - .offset:         36
        .size:           2
        .value_kind:     hidden_group_size_x
      - .offset:         38
        .size:           2
        .value_kind:     hidden_group_size_y
      - .offset:         40
        .size:           2
        .value_kind:     hidden_group_size_z
      - .offset:         42
        .size:           2
        .value_kind:     hidden_remainder_x
      - .offset:         44
        .size:           2
        .value_kind:     hidden_remainder_y
      - .offset:         46
        .size:           2
        .value_kind:     hidden_remainder_z
      - .offset:         64
        .size:           8
        .value_kind:     hidden_global_offset_x
      - .offset:         72
        .size:           8
        .value_kind:     hidden_global_offset_y
      - .offset:         80
        .size:           8
        .value_kind:     hidden_global_offset_z
      - .offset:         88
        .size:           2
        .value_kind:     hidden_grid_dims
    .group_segment_fixed_size: 0
    .kernarg_segment_align: 8
    .kernarg_segment_size: 280
    .language:       OpenCL C
    .language_version:
      - 2
      - 0
    .max_flat_workgroup_size: 1024
    .name:           _ZN9rocsolver6v33100L7set_tauIdEEviPT_l
    .private_segment_fixed_size: 0
    .sgpr_count:     12
    .sgpr_spill_count: 0
    .symbol:         _ZN9rocsolver6v33100L7set_tauIdEEviPT_l.kd
    .uniform_work_group_size: 1
    .uses_dynamic_stack: false
    .vgpr_count:     4
    .vgpr_spill_count: 0
    .wavefront_size: 64
  - .agpr_count:     0
    .args:
      - .offset:         0
        .size:           4
        .value_kind:     by_value
      - .offset:         4
        .size:           4
        .value_kind:     by_value
      - .offset:         8
        .size:           4
        .value_kind:     by_value
      - .address_space:  global
        .offset:         16
        .size:           8
        .value_kind:     global_buffer
      - .offset:         24
        .size:           4
        .value_kind:     by_value
      - .offset:         28
        .size:           4
        .value_kind:     by_value
      - .offset:         32
        .size:           8
        .value_kind:     by_value
      - .address_space:  global
        .offset:         40
        .size:           8
        .value_kind:     global_buffer
      - .offset:         48
        .size:           8
        .value_kind:     by_value
      - .address_space:  global
        .offset:         56
        .size:           8
        .value_kind:     global_buffer
      - .offset:         64
        .size:           4
        .value_kind:     by_value
      - .offset:         72
        .size:           8
        .value_kind:     by_value
      - .offset:         80
        .size:           4
        .value_kind:     hidden_block_count_x
      - .offset:         84
        .size:           4
        .value_kind:     hidden_block_count_y
      - .offset:         88
        .size:           4
        .value_kind:     hidden_block_count_z
      - .offset:         92
        .size:           2
        .value_kind:     hidden_group_size_x
      - .offset:         94
        .size:           2
        .value_kind:     hidden_group_size_y
      - .offset:         96
        .size:           2
        .value_kind:     hidden_group_size_z
      - .offset:         98
        .size:           2
        .value_kind:     hidden_remainder_x
      - .offset:         100
        .size:           2
        .value_kind:     hidden_remainder_y
      - .offset:         102
        .size:           2
        .value_kind:     hidden_remainder_z
      - .offset:         120
        .size:           8
        .value_kind:     hidden_global_offset_x
      - .offset:         128
        .size:           8
        .value_kind:     hidden_global_offset_y
      - .offset:         136
        .size:           8
        .value_kind:     hidden_global_offset_z
      - .offset:         144
        .size:           2
        .value_kind:     hidden_grid_dims
      - .offset:         200
        .size:           4
        .value_kind:     hidden_dynamic_lds_size
    .group_segment_fixed_size: 0
    .kernarg_segment_align: 8
    .kernarg_segment_size: 336
    .language:       OpenCL C
    .language_version:
      - 2
      - 0
    .max_flat_workgroup_size: 1024
    .name:           _ZN9rocsolver6v33100L20larft_kernel_forwardIdPdEEv15rocblas_storev_iiT0_iilPT_lS6_il
    .private_segment_fixed_size: 0
    .sgpr_count:     54
    .sgpr_spill_count: 0
    .symbol:         _ZN9rocsolver6v33100L20larft_kernel_forwardIdPdEEv15rocblas_storev_iiT0_iilPT_lS6_il.kd
    .uniform_work_group_size: 1
    .uses_dynamic_stack: false
    .vgpr_count:     20
    .vgpr_spill_count: 0
    .wavefront_size: 64
  - .agpr_count:     0
    .args:
      - .offset:         0
        .size:           4
        .value_kind:     by_value
      - .offset:         4
        .size:           4
        .value_kind:     by_value
      - .offset:         8
        .size:           4
        .value_kind:     by_value
      - .address_space:  global
        .offset:         16
        .size:           8
        .value_kind:     global_buffer
      - .offset:         24
        .size:           4
        .value_kind:     by_value
      - .offset:         28
        .size:           4
        .value_kind:     by_value
      - .offset:         32
        .size:           8
        .value_kind:     by_value
      - .address_space:  global
        .offset:         40
        .size:           8
        .value_kind:     global_buffer
      - .offset:         48
        .size:           8
        .value_kind:     by_value
      - .address_space:  global
        .offset:         56
        .size:           8
        .value_kind:     global_buffer
      - .offset:         64
        .size:           4
        .value_kind:     by_value
      - .offset:         72
        .size:           8
        .value_kind:     by_value
      - .offset:         80
        .size:           4
        .value_kind:     hidden_block_count_x
      - .offset:         84
        .size:           4
        .value_kind:     hidden_block_count_y
      - .offset:         88
        .size:           4
        .value_kind:     hidden_block_count_z
      - .offset:         92
        .size:           2
        .value_kind:     hidden_group_size_x
      - .offset:         94
        .size:           2
        .value_kind:     hidden_group_size_y
      - .offset:         96
        .size:           2
        .value_kind:     hidden_group_size_z
      - .offset:         98
        .size:           2
        .value_kind:     hidden_remainder_x
      - .offset:         100
        .size:           2
        .value_kind:     hidden_remainder_y
      - .offset:         102
        .size:           2
        .value_kind:     hidden_remainder_z
      - .offset:         120
        .size:           8
        .value_kind:     hidden_global_offset_x
      - .offset:         128
        .size:           8
        .value_kind:     hidden_global_offset_y
      - .offset:         136
        .size:           8
        .value_kind:     hidden_global_offset_z
      - .offset:         144
        .size:           2
        .value_kind:     hidden_grid_dims
      - .offset:         200
        .size:           4
        .value_kind:     hidden_dynamic_lds_size
    .group_segment_fixed_size: 0
    .kernarg_segment_align: 8
    .kernarg_segment_size: 336
    .language:       OpenCL C
    .language_version:
      - 2
      - 0
    .max_flat_workgroup_size: 1024
    .name:           _ZN9rocsolver6v33100L21larft_kernel_backwardIdPdEEv15rocblas_storev_iiT0_iilPT_lS6_il
    .private_segment_fixed_size: 0
    .sgpr_count:     56
    .sgpr_spill_count: 0
    .symbol:         _ZN9rocsolver6v33100L21larft_kernel_backwardIdPdEEv15rocblas_storev_iiT0_iilPT_lS6_il.kd
    .uniform_work_group_size: 1
    .uses_dynamic_stack: false
    .vgpr_count:     16
    .vgpr_spill_count: 0
    .wavefront_size: 64
  - .agpr_count:     0
    .args:
      - .offset:         0
        .size:           4
        .value_kind:     by_value
      - .offset:         4
        .size:           4
        .value_kind:     by_value
      - .address_space:  global
        .offset:         8
        .size:           8
        .value_kind:     global_buffer
      - .offset:         16
        .size:           4
        .value_kind:     by_value
      - .offset:         20
        .size:           4
        .value_kind:     by_value
      - .offset:         24
        .size:           8
        .value_kind:     by_value
      - .address_space:  global
        .offset:         32
        .size:           8
        .value_kind:     global_buffer
      - .offset:         40
        .size:           4
        .value_kind:     hidden_block_count_x
      - .offset:         44
        .size:           4
        .value_kind:     hidden_block_count_y
      - .offset:         48
        .size:           4
        .value_kind:     hidden_block_count_z
      - .offset:         52
        .size:           2
        .value_kind:     hidden_group_size_x
      - .offset:         54
        .size:           2
        .value_kind:     hidden_group_size_y
      - .offset:         56
        .size:           2
        .value_kind:     hidden_group_size_z
      - .offset:         58
        .size:           2
        .value_kind:     hidden_remainder_x
      - .offset:         60
        .size:           2
        .value_kind:     hidden_remainder_y
      - .offset:         62
        .size:           2
        .value_kind:     hidden_remainder_z
      - .offset:         80
        .size:           8
        .value_kind:     hidden_global_offset_x
      - .offset:         88
        .size:           8
        .value_kind:     hidden_global_offset_y
      - .offset:         96
        .size:           8
        .value_kind:     hidden_global_offset_z
      - .offset:         104
        .size:           2
        .value_kind:     hidden_grid_dims
    .group_segment_fixed_size: 0
    .kernarg_segment_align: 8
    .kernarg_segment_size: 296
    .language:       OpenCL C
    .language_version:
      - 2
      - 0
    .max_flat_workgroup_size: 1024
    .name:           _ZN9rocsolver6v33100L9copymatA1IdPdEEviiT0_iilPT_
    .private_segment_fixed_size: 0
    .sgpr_count:     24
    .sgpr_spill_count: 0
    .symbol:         _ZN9rocsolver6v33100L9copymatA1IdPdEEviiT0_iilPT_.kd
    .uniform_work_group_size: 1
    .uses_dynamic_stack: false
    .vgpr_count:     6
    .vgpr_spill_count: 0
    .wavefront_size: 64
  - .agpr_count:     0
    .args:
      - .offset:         0
        .size:           4
        .value_kind:     by_value
      - .offset:         4
        .size:           4
        .value_kind:     by_value
      - .address_space:  global
        .offset:         8
        .size:           8
        .value_kind:     global_buffer
      - .offset:         16
        .size:           4
        .value_kind:     by_value
      - .offset:         20
        .size:           4
        .value_kind:     by_value
      - .offset:         24
        .size:           8
        .value_kind:     by_value
      - .address_space:  global
        .offset:         32
        .size:           8
        .value_kind:     global_buffer
      - .offset:         40
        .size:           4
        .value_kind:     hidden_block_count_x
      - .offset:         44
        .size:           4
        .value_kind:     hidden_block_count_y
      - .offset:         48
        .size:           4
        .value_kind:     hidden_block_count_z
      - .offset:         52
        .size:           2
        .value_kind:     hidden_group_size_x
      - .offset:         54
        .size:           2
        .value_kind:     hidden_group_size_y
      - .offset:         56
        .size:           2
        .value_kind:     hidden_group_size_z
      - .offset:         58
        .size:           2
        .value_kind:     hidden_remainder_x
      - .offset:         60
        .size:           2
        .value_kind:     hidden_remainder_y
      - .offset:         62
        .size:           2
        .value_kind:     hidden_remainder_z
      - .offset:         80
        .size:           8
        .value_kind:     hidden_global_offset_x
      - .offset:         88
        .size:           8
        .value_kind:     hidden_global_offset_y
      - .offset:         96
        .size:           8
        .value_kind:     hidden_global_offset_z
      - .offset:         104
        .size:           2
        .value_kind:     hidden_grid_dims
    .group_segment_fixed_size: 0
    .kernarg_segment_align: 8
    .kernarg_segment_size: 296
    .language:       OpenCL C
    .language_version:
      - 2
      - 0
    .max_flat_workgroup_size: 1024
    .name:           _ZN9rocsolver6v33100L8addmatA1IdPdEEviiT0_iilPT_
    .private_segment_fixed_size: 0
    .sgpr_count:     19
    .sgpr_spill_count: 0
    .symbol:         _ZN9rocsolver6v33100L8addmatA1IdPdEEviiT0_iilPT_.kd
    .uniform_work_group_size: 1
    .uses_dynamic_stack: false
    .vgpr_count:     6
    .vgpr_spill_count: 0
    .wavefront_size: 64
  - .agpr_count:     0
    .args:
      - .offset:         0
        .size:           4
        .value_kind:     by_value
      - .address_space:  global
        .offset:         8
        .size:           8
        .value_kind:     global_buffer
      - .offset:         16
        .size:           8
        .value_kind:     by_value
      - .address_space:  global
        .offset:         24
        .size:           8
        .value_kind:     global_buffer
      - .offset:         32
        .size:           4
        .value_kind:     by_value
      - .offset:         40
        .size:           8
        .value_kind:     by_value
      - .address_space:  global
        .offset:         48
        .size:           8
        .value_kind:     global_buffer
      - .offset:         56
        .size:           4
        .value_kind:     by_value
      - .offset:         64
        .size:           8
        .value_kind:     by_value
      - .offset:         72
        .size:           4
        .value_kind:     hidden_block_count_x
      - .offset:         76
        .size:           4
        .value_kind:     hidden_block_count_y
      - .offset:         80
        .size:           4
        .value_kind:     hidden_block_count_z
      - .offset:         84
        .size:           2
        .value_kind:     hidden_group_size_x
      - .offset:         86
        .size:           2
        .value_kind:     hidden_group_size_y
      - .offset:         88
        .size:           2
        .value_kind:     hidden_group_size_z
      - .offset:         90
        .size:           2
        .value_kind:     hidden_remainder_x
      - .offset:         92
        .size:           2
        .value_kind:     hidden_remainder_y
      - .offset:         94
        .size:           2
        .value_kind:     hidden_remainder_z
      - .offset:         112
        .size:           8
        .value_kind:     hidden_global_offset_x
      - .offset:         120
        .size:           8
        .value_kind:     hidden_global_offset_y
      - .offset:         128
        .size:           8
        .value_kind:     hidden_global_offset_z
      - .offset:         136
        .size:           2
        .value_kind:     hidden_grid_dims
    .group_segment_fixed_size: 0
    .kernarg_segment_align: 8
    .kernarg_segment_size: 328
    .language:       OpenCL C
    .language_version:
      - 2
      - 0
    .max_flat_workgroup_size: 1024
    .name:           _ZN9rocsolver6v33100L15gesvdj_finalizeIddEEviPT0_lPT_ilS5_il
    .private_segment_fixed_size: 0
    .sgpr_count:     26
    .sgpr_spill_count: 0
    .symbol:         _ZN9rocsolver6v33100L15gesvdj_finalizeIddEEviPT0_lPT_ilS5_il.kd
    .uniform_work_group_size: 1
    .uses_dynamic_stack: false
    .vgpr_count:     8
    .vgpr_spill_count: 0
    .wavefront_size: 64
  - .agpr_count:     0
    .args:
      - .offset:         0
        .size:           4
        .value_kind:     by_value
      - .offset:         4
        .size:           4
        .value_kind:     by_value
      - .offset:         8
        .size:           4
        .value_kind:     by_value
      - .address_space:  global
        .offset:         16
        .size:           8
        .value_kind:     global_buffer
      - .offset:         24
        .size:           4
        .value_kind:     by_value
      - .offset:         28
        .size:           4
        .value_kind:     by_value
      - .offset:         32
        .size:           8
        .value_kind:     by_value
      - .offset:         40
        .size:           4
        .value_kind:     hidden_block_count_x
      - .offset:         44
        .size:           4
        .value_kind:     hidden_block_count_y
      - .offset:         48
        .size:           4
        .value_kind:     hidden_block_count_z
      - .offset:         52
        .size:           2
        .value_kind:     hidden_group_size_x
      - .offset:         54
        .size:           2
        .value_kind:     hidden_group_size_y
      - .offset:         56
        .size:           2
        .value_kind:     hidden_group_size_z
      - .offset:         58
        .size:           2
        .value_kind:     hidden_remainder_x
      - .offset:         60
        .size:           2
        .value_kind:     hidden_remainder_y
      - .offset:         62
        .size:           2
        .value_kind:     hidden_remainder_z
      - .offset:         80
        .size:           8
        .value_kind:     hidden_global_offset_x
      - .offset:         88
        .size:           8
        .value_kind:     hidden_global_offset_y
      - .offset:         96
        .size:           8
        .value_kind:     hidden_global_offset_z
      - .offset:         104
        .size:           2
        .value_kind:     hidden_grid_dims
    .group_segment_fixed_size: 0
    .kernarg_segment_align: 8
    .kernarg_segment_size: 296
    .language:       OpenCL C
    .language_version:
      - 2
      - 0
    .max_flat_workgroup_size: 1024
    .name:           _ZN9rocsolver6v33100L16org2r_init_identIdPdEEviiiT0_iil
    .private_segment_fixed_size: 0
    .sgpr_count:     20
    .sgpr_spill_count: 0
    .symbol:         _ZN9rocsolver6v33100L16org2r_init_identIdPdEEviiiT0_iil.kd
    .uniform_work_group_size: 1
    .uses_dynamic_stack: false
    .vgpr_count:     8
    .vgpr_spill_count: 0
    .wavefront_size: 64
  - .agpr_count:     0
    .args:
      - .offset:         0
        .size:           4
        .value_kind:     by_value
      - .offset:         4
        .size:           4
        .value_kind:     by_value
      - .address_space:  global
        .offset:         8
        .size:           8
        .value_kind:     global_buffer
      - .offset:         16
        .size:           4
        .value_kind:     by_value
      - .offset:         20
        .size:           4
        .value_kind:     by_value
      - .offset:         24
        .size:           8
        .value_kind:     by_value
      - .address_space:  global
        .offset:         32
        .size:           8
        .value_kind:     global_buffer
      - .offset:         40
        .size:           8
        .value_kind:     by_value
    .group_segment_fixed_size: 0
    .kernarg_segment_align: 8
    .kernarg_segment_size: 48
    .language:       OpenCL C
    .language_version:
      - 2
      - 0
    .max_flat_workgroup_size: 1024
    .name:           _ZN9rocsolver6v33100L12subtract_tauIdPdEEviiT0_iilPT_l
    .private_segment_fixed_size: 0
    .sgpr_count:     20
    .sgpr_spill_count: 0
    .symbol:         _ZN9rocsolver6v33100L12subtract_tauIdPdEEviiT0_iilPT_l.kd
    .uniform_work_group_size: 1
    .uses_dynamic_stack: false
    .vgpr_count:     3
    .vgpr_spill_count: 0
    .wavefront_size: 64
  - .agpr_count:     0
    .args:
      - .offset:         0
        .size:           4
        .value_kind:     by_value
      - .address_space:  global
        .offset:         8
        .size:           8
        .value_kind:     global_buffer
      - .offset:         16
        .size:           8
        .value_kind:     by_value
      - .offset:         24
        .size:           4
        .value_kind:     hidden_block_count_x
      - .offset:         28
        .size:           4
        .value_kind:     hidden_block_count_y
      - .offset:         32
        .size:           4
        .value_kind:     hidden_block_count_z
      - .offset:         36
        .size:           2
        .value_kind:     hidden_group_size_x
      - .offset:         38
        .size:           2
        .value_kind:     hidden_group_size_y
      - .offset:         40
        .size:           2
        .value_kind:     hidden_group_size_z
      - .offset:         42
        .size:           2
        .value_kind:     hidden_remainder_x
      - .offset:         44
        .size:           2
        .value_kind:     hidden_remainder_y
      - .offset:         46
        .size:           2
        .value_kind:     hidden_remainder_z
      - .offset:         64
        .size:           8
        .value_kind:     hidden_global_offset_x
      - .offset:         72
        .size:           8
        .value_kind:     hidden_global_offset_y
      - .offset:         80
        .size:           8
        .value_kind:     hidden_global_offset_z
      - .offset:         88
        .size:           2
        .value_kind:     hidden_grid_dims
    .group_segment_fixed_size: 0
    .kernarg_segment_align: 8
    .kernarg_segment_size: 280
    .language:       OpenCL C
    .language_version:
      - 2
      - 0
    .max_flat_workgroup_size: 1024
    .name:           _ZN9rocsolver6v33100L6restauIdEEviPT_l
    .private_segment_fixed_size: 0
    .sgpr_count:     12
    .sgpr_spill_count: 0
    .symbol:         _ZN9rocsolver6v33100L6restauIdEEviPT_l.kd
    .uniform_work_group_size: 1
    .uses_dynamic_stack: false
    .vgpr_count:     4
    .vgpr_spill_count: 0
    .wavefront_size: 64
  - .agpr_count:     0
    .args:
      - .offset:         0
        .size:           4
        .value_kind:     by_value
      - .offset:         4
        .size:           4
        .value_kind:     by_value
      - .address_space:  global
        .offset:         8
        .size:           8
        .value_kind:     global_buffer
      - .offset:         16
        .size:           4
        .value_kind:     by_value
      - .offset:         20
        .size:           4
        .value_kind:     by_value
      - .offset:         24
        .size:           8
        .value_kind:     by_value
      - .offset:         32
        .size:           4
        .value_kind:     by_value
      - .offset:         40
        .size:           4
        .value_kind:     hidden_block_count_x
      - .offset:         44
        .size:           4
        .value_kind:     hidden_block_count_y
      - .offset:         48
        .size:           4
        .value_kind:     hidden_block_count_z
      - .offset:         52
        .size:           2
        .value_kind:     hidden_group_size_x
      - .offset:         54
        .size:           2
        .value_kind:     hidden_group_size_y
      - .offset:         56
        .size:           2
        .value_kind:     hidden_group_size_z
      - .offset:         58
        .size:           2
        .value_kind:     hidden_remainder_x
      - .offset:         60
        .size:           2
        .value_kind:     hidden_remainder_y
      - .offset:         62
        .size:           2
        .value_kind:     hidden_remainder_z
      - .offset:         80
        .size:           8
        .value_kind:     hidden_global_offset_x
      - .offset:         88
        .size:           8
        .value_kind:     hidden_global_offset_y
      - .offset:         96
        .size:           8
        .value_kind:     hidden_global_offset_z
      - .offset:         104
        .size:           2
        .value_kind:     hidden_grid_dims
    .group_segment_fixed_size: 0
    .kernarg_segment_align: 8
    .kernarg_segment_size: 296
    .language:       OpenCL C
    .language_version:
      - 2
      - 0
    .max_flat_workgroup_size: 1024
    .name:           _ZN9rocsolver6v33100L8set_zeroIdPdEEviiT0_iil13rocblas_fill_
    .private_segment_fixed_size: 0
    .sgpr_count:     13
    .sgpr_spill_count: 0
    .symbol:         _ZN9rocsolver6v33100L8set_zeroIdPdEEviiT0_iil13rocblas_fill_.kd
    .uniform_work_group_size: 1
    .uses_dynamic_stack: false
    .vgpr_count:     4
    .vgpr_spill_count: 0
    .wavefront_size: 64
  - .agpr_count:     0
    .args:
      - .address_space:  global
        .offset:         0
        .size:           8
        .value_kind:     global_buffer
      - .offset:         8
        .size:           4
        .value_kind:     by_value
      - .offset:         12
        .size:           8
        .value_kind:     by_value
    .group_segment_fixed_size: 0
    .kernarg_segment_align: 8
    .kernarg_segment_size: 20
    .language:       OpenCL C
    .language_version:
      - 2
      - 0
    .max_flat_workgroup_size: 32
    .name:           _ZN9rocsolver6v33100L6iota_nI19rocblas_complex_numIfEEEvPT_jS4_
    .private_segment_fixed_size: 0
    .sgpr_count:     10
    .sgpr_spill_count: 0
    .symbol:         _ZN9rocsolver6v33100L6iota_nI19rocblas_complex_numIfEEEvPT_jS4_.kd
    .uniform_work_group_size: 1
    .uses_dynamic_stack: false
    .vgpr_count:     5
    .vgpr_spill_count: 0
    .wavefront_size: 64
  - .agpr_count:     0
    .args:
      - .offset:         0
        .size:           4
        .value_kind:     by_value
      - .address_space:  global
        .offset:         8
        .size:           8
        .value_kind:     global_buffer
      - .offset:         16
        .size:           8
        .value_kind:     by_value
      - .address_space:  global
        .offset:         24
        .size:           8
        .value_kind:     global_buffer
      - .offset:         32
        .size:           8
        .value_kind:     by_value
      - .offset:         40
        .size:           4
        .value_kind:     by_value
      - .offset:         48
        .size:           4
        .value_kind:     hidden_block_count_x
      - .offset:         52
        .size:           4
        .value_kind:     hidden_block_count_y
      - .offset:         56
        .size:           4
        .value_kind:     hidden_block_count_z
      - .offset:         60
        .size:           2
        .value_kind:     hidden_group_size_x
      - .offset:         62
        .size:           2
        .value_kind:     hidden_group_size_y
      - .offset:         64
        .size:           2
        .value_kind:     hidden_group_size_z
      - .offset:         66
        .size:           2
        .value_kind:     hidden_remainder_x
      - .offset:         68
        .size:           2
        .value_kind:     hidden_remainder_y
      - .offset:         70
        .size:           2
        .value_kind:     hidden_remainder_z
      - .offset:         88
        .size:           8
        .value_kind:     hidden_global_offset_x
      - .offset:         96
        .size:           8
        .value_kind:     hidden_global_offset_y
      - .offset:         104
        .size:           8
        .value_kind:     hidden_global_offset_z
      - .offset:         112
        .size:           2
        .value_kind:     hidden_grid_dims
    .group_segment_fixed_size: 0
    .kernarg_segment_align: 8
    .kernarg_segment_size: 304
    .language:       OpenCL C
    .language_version:
      - 2
      - 0
    .max_flat_workgroup_size: 1024
    .name:           _ZN9rocsolver6v33100L16syev_scalar_caseI19rocblas_complex_numIfEfPS3_TnNSt9enable_ifIX18rocblas_is_complexIT_EEiE4typeELi0EEEv14rocblas_evect_T1_lPT0_li
    .private_segment_fixed_size: 0
    .sgpr_count:     20
    .sgpr_spill_count: 0
    .symbol:         _ZN9rocsolver6v33100L16syev_scalar_caseI19rocblas_complex_numIfEfPS3_TnNSt9enable_ifIX18rocblas_is_complexIT_EEiE4typeELi0EEEv14rocblas_evect_T1_lPT0_li.kd
    .uniform_work_group_size: 1
    .uses_dynamic_stack: false
    .vgpr_count:     7
    .vgpr_spill_count: 0
    .wavefront_size: 64
  - .agpr_count:     0
    .args:
      - .offset:         0
        .size:           4
        .value_kind:     by_value
      - .offset:         4
        .size:           4
        .value_kind:     by_value
      - .offset:         8
        .size:           4
        .value_kind:     by_value
      - .offset:         12
        .size:           4
        .value_kind:     by_value
      - .address_space:  global
        .offset:         16
        .size:           8
        .value_kind:     global_buffer
      - .offset:         24
        .size:           4
        .value_kind:     by_value
      - .offset:         28
        .size:           4
        .value_kind:     by_value
      - .offset:         32
        .size:           8
        .value_kind:     by_value
      - .offset:         40
        .size:           4
        .value_kind:     by_value
      - .offset:         44
        .size:           4
        .value_kind:     by_value
      - .address_space:  global
        .offset:         48
        .size:           8
        .value_kind:     global_buffer
      - .offset:         56
        .size:           4
        .value_kind:     by_value
      - .address_space:  global
        .offset:         64
        .size:           8
        .value_kind:     global_buffer
      - .address_space:  global
        .offset:         72
        .size:           8
        .value_kind:     global_buffer
      - .offset:         80
        .size:           8
        .value_kind:     by_value
      - .address_space:  global
        .offset:         88
        .size:           8
        .value_kind:     global_buffer
      - .address_space:  global
        .offset:         96
        .size:           8
        .value_kind:     global_buffer
    .group_segment_fixed_size: 0
    .kernarg_segment_align: 8
    .kernarg_segment_size: 104
    .language:       OpenCL C
    .language_version:
      - 2
      - 0
    .max_flat_workgroup_size: 1024
    .name:           _ZN9rocsolver6v33100L18syevj_small_kernelI19rocblas_complex_numIfEfPS3_EEv14rocblas_esort_14rocblas_evect_13rocblas_fill_iT1_iilT0_S9_PS9_iPiSA_lSB_PT_
    .private_segment_fixed_size: 0
    .sgpr_count:     91
    .sgpr_spill_count: 0
    .symbol:         _ZN9rocsolver6v33100L18syevj_small_kernelI19rocblas_complex_numIfEfPS3_EEv14rocblas_esort_14rocblas_evect_13rocblas_fill_iT1_iilT0_S9_PS9_iPiSA_lSB_PT_.kd
    .uniform_work_group_size: 1
    .uses_dynamic_stack: false
    .vgpr_count:     51
    .vgpr_spill_count: 0
    .wavefront_size: 64
  - .agpr_count:     0
    .args:
      - .offset:         0
        .size:           4
        .value_kind:     by_value
      - .offset:         4
        .size:           4
        .value_kind:     by_value
      - .offset:         8
        .size:           4
        .value_kind:     by_value
      - .offset:         12
        .size:           4
        .value_kind:     by_value
      - .address_space:  global
        .offset:         16
        .size:           8
        .value_kind:     global_buffer
      - .offset:         24
        .size:           4
        .value_kind:     by_value
      - .offset:         28
        .size:           4
        .value_kind:     by_value
      - .offset:         32
        .size:           8
        .value_kind:     by_value
      - .offset:         40
        .size:           4
        .value_kind:     by_value
      - .address_space:  global
        .offset:         48
        .size:           8
        .value_kind:     global_buffer
      - .address_space:  global
        .offset:         56
        .size:           8
        .value_kind:     global_buffer
      - .address_space:  global
        .offset:         64
        .size:           8
        .value_kind:     global_buffer
      - .address_space:  global
        .offset:         72
        .size:           8
        .value_kind:     global_buffer
      - .address_space:  global
        .offset:         80
        .size:           8
        .value_kind:     global_buffer
      - .address_space:  global
        .offset:         88
        .size:           8
        .value_kind:     global_buffer
      - .offset:         96
        .size:           4
        .value_kind:     hidden_block_count_x
      - .offset:         100
        .size:           4
        .value_kind:     hidden_block_count_y
      - .offset:         104
        .size:           4
        .value_kind:     hidden_block_count_z
      - .offset:         108
        .size:           2
        .value_kind:     hidden_group_size_x
      - .offset:         110
        .size:           2
        .value_kind:     hidden_group_size_y
      - .offset:         112
        .size:           2
        .value_kind:     hidden_group_size_z
      - .offset:         114
        .size:           2
        .value_kind:     hidden_remainder_x
      - .offset:         116
        .size:           2
        .value_kind:     hidden_remainder_y
      - .offset:         118
        .size:           2
        .value_kind:     hidden_remainder_z
      - .offset:         136
        .size:           8
        .value_kind:     hidden_global_offset_x
      - .offset:         144
        .size:           8
        .value_kind:     hidden_global_offset_y
      - .offset:         152
        .size:           8
        .value_kind:     hidden_global_offset_z
      - .offset:         160
        .size:           2
        .value_kind:     hidden_grid_dims
      - .offset:         216
        .size:           4
        .value_kind:     hidden_dynamic_lds_size
    .group_segment_fixed_size: 0
    .kernarg_segment_align: 8
    .kernarg_segment_size: 352
    .language:       OpenCL C
    .language_version:
      - 2
      - 0
    .max_flat_workgroup_size: 1024
    .name:           _ZN9rocsolver6v33100L10syevj_initI19rocblas_complex_numIfEfPS3_EEv14rocblas_evect_13rocblas_fill_iiT1_iilT0_PS8_PT_S9_PiSC_SC_
    .private_segment_fixed_size: 0
    .sgpr_count:     58
    .sgpr_spill_count: 0
    .symbol:         _ZN9rocsolver6v33100L10syevj_initI19rocblas_complex_numIfEfPS3_EEv14rocblas_evect_13rocblas_fill_iiT1_iilT0_PS8_PT_S9_PiSC_SC_.kd
    .uniform_work_group_size: 1
    .uses_dynamic_stack: false
    .vgpr_count:     30
    .vgpr_spill_count: 0
    .wavefront_size: 64
  - .agpr_count:     0
    .args:
      - .offset:         0
        .size:           4
        .value_kind:     by_value
      - .address_space:  global
        .offset:         8
        .size:           8
        .value_kind:     global_buffer
      - .offset:         16
        .size:           4
        .value_kind:     by_value
      - .offset:         20
        .size:           4
        .value_kind:     by_value
      - .offset:         24
        .size:           8
        .value_kind:     by_value
      - .offset:         32
        .size:           4
        .value_kind:     by_value
      - .address_space:  global
        .offset:         40
        .size:           8
        .value_kind:     global_buffer
      - .address_space:  global
        .offset:         48
        .size:           8
        .value_kind:     global_buffer
      - .offset:         56
        .size:           4
        .value_kind:     hidden_block_count_x
      - .offset:         60
        .size:           4
        .value_kind:     hidden_block_count_y
      - .offset:         64
        .size:           4
        .value_kind:     hidden_block_count_z
      - .offset:         68
        .size:           2
        .value_kind:     hidden_group_size_x
      - .offset:         70
        .size:           2
        .value_kind:     hidden_group_size_y
      - .offset:         72
        .size:           2
        .value_kind:     hidden_group_size_z
      - .offset:         74
        .size:           2
        .value_kind:     hidden_remainder_x
      - .offset:         76
        .size:           2
        .value_kind:     hidden_remainder_y
      - .offset:         78
        .size:           2
        .value_kind:     hidden_remainder_z
      - .offset:         96
        .size:           8
        .value_kind:     hidden_global_offset_x
      - .offset:         104
        .size:           8
        .value_kind:     hidden_global_offset_y
      - .offset:         112
        .size:           8
        .value_kind:     hidden_global_offset_z
      - .offset:         120
        .size:           2
        .value_kind:     hidden_grid_dims
      - .offset:         176
        .size:           4
        .value_kind:     hidden_dynamic_lds_size
    .group_segment_fixed_size: 0
    .kernarg_segment_align: 8
    .kernarg_segment_size: 312
    .language:       OpenCL C
    .language_version:
      - 2
      - 0
    .max_flat_workgroup_size: 1024
    .name:           _ZN9rocsolver6v33100L17syevj_diag_kernelI19rocblas_complex_numIfEfPS3_EEviT1_iilT0_PT_Pi
    .private_segment_fixed_size: 0
    .sgpr_count:     43
    .sgpr_spill_count: 0
    .symbol:         _ZN9rocsolver6v33100L17syevj_diag_kernelI19rocblas_complex_numIfEfPS3_EEviT1_iilT0_PT_Pi.kd
    .uniform_work_group_size: 1
    .uses_dynamic_stack: false
    .vgpr_count:     42
    .vgpr_spill_count: 0
    .wavefront_size: 64
  - .agpr_count:     0
    .args:
      - .offset:         0
        .size:           1
        .value_kind:     by_value
      - .offset:         4
        .size:           4
        .value_kind:     by_value
      - .address_space:  global
        .offset:         8
        .size:           8
        .value_kind:     global_buffer
      - .offset:         16
        .size:           4
        .value_kind:     by_value
      - .offset:         20
        .size:           4
        .value_kind:     by_value
      - .offset:         24
        .size:           8
        .value_kind:     by_value
      - .address_space:  global
        .offset:         32
        .size:           8
        .value_kind:     global_buffer
      - .address_space:  global
        .offset:         40
        .size:           8
        .value_kind:     global_buffer
      - .offset:         48
        .size:           4
        .value_kind:     hidden_block_count_x
      - .offset:         52
        .size:           4
        .value_kind:     hidden_block_count_y
      - .offset:         56
        .size:           4
        .value_kind:     hidden_block_count_z
      - .offset:         60
        .size:           2
        .value_kind:     hidden_group_size_x
      - .offset:         62
        .size:           2
        .value_kind:     hidden_group_size_y
      - .offset:         64
        .size:           2
        .value_kind:     hidden_group_size_z
      - .offset:         66
        .size:           2
        .value_kind:     hidden_remainder_x
      - .offset:         68
        .size:           2
        .value_kind:     hidden_remainder_y
      - .offset:         70
        .size:           2
        .value_kind:     hidden_remainder_z
      - .offset:         88
        .size:           8
        .value_kind:     hidden_global_offset_x
      - .offset:         96
        .size:           8
        .value_kind:     hidden_global_offset_y
      - .offset:         104
        .size:           8
        .value_kind:     hidden_global_offset_z
      - .offset:         112
        .size:           2
        .value_kind:     hidden_grid_dims
    .group_segment_fixed_size: 0
    .kernarg_segment_align: 8
    .kernarg_segment_size: 304
    .language:       OpenCL C
    .language_version:
      - 2
      - 0
    .max_flat_workgroup_size: 1024
    .name:           _ZN9rocsolver6v33100L21syevj_diag_rotate_orgILb0E19rocblas_complex_numIfEfPS3_EEvbiT2_iilPT0_Pi
    .private_segment_fixed_size: 0
    .sgpr_count:     24
    .sgpr_spill_count: 0
    .symbol:         _ZN9rocsolver6v33100L21syevj_diag_rotate_orgILb0E19rocblas_complex_numIfEfPS3_EEvbiT2_iilPT0_Pi.kd
    .uniform_work_group_size: 1
    .uses_dynamic_stack: false
    .vgpr_count:     18
    .vgpr_spill_count: 0
    .wavefront_size: 64
  - .agpr_count:     0
    .args:
      - .offset:         0
        .size:           1
        .value_kind:     by_value
      - .offset:         4
        .size:           4
        .value_kind:     by_value
      - .address_space:  global
        .offset:         8
        .size:           8
        .value_kind:     global_buffer
      - .offset:         16
        .size:           4
        .value_kind:     by_value
      - .offset:         20
        .size:           4
        .value_kind:     by_value
      - .offset:         24
        .size:           8
        .value_kind:     by_value
      - .address_space:  global
        .offset:         32
        .size:           8
        .value_kind:     global_buffer
      - .address_space:  global
        .offset:         40
        .size:           8
        .value_kind:     global_buffer
      - .offset:         48
        .size:           4
        .value_kind:     hidden_block_count_x
      - .offset:         52
        .size:           4
        .value_kind:     hidden_block_count_y
      - .offset:         56
        .size:           4
        .value_kind:     hidden_block_count_z
      - .offset:         60
        .size:           2
        .value_kind:     hidden_group_size_x
      - .offset:         62
        .size:           2
        .value_kind:     hidden_group_size_y
      - .offset:         64
        .size:           2
        .value_kind:     hidden_group_size_z
      - .offset:         66
        .size:           2
        .value_kind:     hidden_remainder_x
      - .offset:         68
        .size:           2
        .value_kind:     hidden_remainder_y
      - .offset:         70
        .size:           2
        .value_kind:     hidden_remainder_z
      - .offset:         88
        .size:           8
        .value_kind:     hidden_global_offset_x
      - .offset:         96
        .size:           8
        .value_kind:     hidden_global_offset_y
      - .offset:         104
        .size:           8
        .value_kind:     hidden_global_offset_z
      - .offset:         112
        .size:           2
        .value_kind:     hidden_grid_dims
    .group_segment_fixed_size: 0
    .kernarg_segment_align: 8
    .kernarg_segment_size: 304
    .language:       OpenCL C
    .language_version:
      - 2
      - 0
    .max_flat_workgroup_size: 1024
    .name:           _ZN9rocsolver6v33100L21syevj_diag_rotate_orgILb1E19rocblas_complex_numIfEfPS3_EEvbiT2_iilPT0_Pi
    .private_segment_fixed_size: 0
    .sgpr_count:     24
    .sgpr_spill_count: 0
    .symbol:         _ZN9rocsolver6v33100L21syevj_diag_rotate_orgILb1E19rocblas_complex_numIfEfPS3_EEvbiT2_iilPT0_Pi.kd
    .uniform_work_group_size: 1
    .uses_dynamic_stack: false
    .vgpr_count:     18
    .vgpr_spill_count: 0
    .wavefront_size: 64
  - .agpr_count:     0
    .args:
      - .offset:         0
        .size:           1
        .value_kind:     by_value
      - .offset:         4
        .size:           4
        .value_kind:     by_value
      - .offset:         8
        .size:           4
        .value_kind:     by_value
      - .address_space:  global
        .offset:         16
        .size:           8
        .value_kind:     global_buffer
      - .offset:         24
        .size:           4
        .value_kind:     by_value
      - .offset:         28
        .size:           4
        .value_kind:     by_value
      - .offset:         32
        .size:           8
        .value_kind:     by_value
      - .address_space:  global
        .offset:         40
        .size:           8
        .value_kind:     global_buffer
      - .address_space:  global
        .offset:         48
        .size:           8
        .value_kind:     global_buffer
      - .offset:         56
        .size:           4
        .value_kind:     by_value
      - .offset:         64
        .size:           4
        .value_kind:     hidden_block_count_x
      - .offset:         68
        .size:           4
        .value_kind:     hidden_block_count_y
      - .offset:         72
        .size:           4
        .value_kind:     hidden_block_count_z
      - .offset:         76
        .size:           2
        .value_kind:     hidden_group_size_x
      - .offset:         78
        .size:           2
        .value_kind:     hidden_group_size_y
      - .offset:         80
        .size:           2
        .value_kind:     hidden_group_size_z
      - .offset:         82
        .size:           2
        .value_kind:     hidden_remainder_x
      - .offset:         84
        .size:           2
        .value_kind:     hidden_remainder_y
      - .offset:         86
        .size:           2
        .value_kind:     hidden_remainder_z
      - .offset:         104
        .size:           8
        .value_kind:     hidden_global_offset_x
      - .offset:         112
        .size:           8
        .value_kind:     hidden_global_offset_y
      - .offset:         120
        .size:           8
        .value_kind:     hidden_global_offset_z
      - .offset:         128
        .size:           2
        .value_kind:     hidden_grid_dims
      - .offset:         144
        .size:           8
        .value_kind:     hidden_hostcall_buffer
      - .offset:         184
        .size:           4
        .value_kind:     hidden_dynamic_lds_size
    .group_segment_fixed_size: 0
    .kernarg_segment_align: 8
    .kernarg_segment_size: 320
    .language:       OpenCL C
    .language_version:
      - 2
      - 0
    .max_flat_workgroup_size: 1024
    .name:           _ZN9rocsolver6v33100L17syevj_diag_rotateILb0E19rocblas_complex_numIfEfPS3_EEvbiiT2_iilPT0_Pii
    .private_segment_fixed_size: 64
    .sgpr_count:     81
    .sgpr_spill_count: 0
    .symbol:         _ZN9rocsolver6v33100L17syevj_diag_rotateILb0E19rocblas_complex_numIfEfPS3_EEvbiiT2_iilPT0_Pii.kd
    .uniform_work_group_size: 1
    .uses_dynamic_stack: false
    .vgpr_count:     42
    .vgpr_spill_count: 0
    .wavefront_size: 64
  - .agpr_count:     0
    .args:
      - .offset:         0
        .size:           1
        .value_kind:     by_value
      - .offset:         4
        .size:           4
        .value_kind:     by_value
      - .offset:         8
        .size:           4
        .value_kind:     by_value
      - .address_space:  global
        .offset:         16
        .size:           8
        .value_kind:     global_buffer
      - .offset:         24
        .size:           4
        .value_kind:     by_value
      - .offset:         28
        .size:           4
        .value_kind:     by_value
      - .offset:         32
        .size:           8
        .value_kind:     by_value
      - .address_space:  global
        .offset:         40
        .size:           8
        .value_kind:     global_buffer
      - .address_space:  global
        .offset:         48
        .size:           8
        .value_kind:     global_buffer
      - .offset:         56
        .size:           4
        .value_kind:     by_value
      - .offset:         64
        .size:           4
        .value_kind:     hidden_block_count_x
      - .offset:         68
        .size:           4
        .value_kind:     hidden_block_count_y
      - .offset:         72
        .size:           4
        .value_kind:     hidden_block_count_z
      - .offset:         76
        .size:           2
        .value_kind:     hidden_group_size_x
      - .offset:         78
        .size:           2
        .value_kind:     hidden_group_size_y
      - .offset:         80
        .size:           2
        .value_kind:     hidden_group_size_z
      - .offset:         82
        .size:           2
        .value_kind:     hidden_remainder_x
      - .offset:         84
        .size:           2
        .value_kind:     hidden_remainder_y
      - .offset:         86
        .size:           2
        .value_kind:     hidden_remainder_z
      - .offset:         104
        .size:           8
        .value_kind:     hidden_global_offset_x
      - .offset:         112
        .size:           8
        .value_kind:     hidden_global_offset_y
      - .offset:         120
        .size:           8
        .value_kind:     hidden_global_offset_z
      - .offset:         128
        .size:           2
        .value_kind:     hidden_grid_dims
      - .offset:         144
        .size:           8
        .value_kind:     hidden_hostcall_buffer
      - .offset:         184
        .size:           4
        .value_kind:     hidden_dynamic_lds_size
    .group_segment_fixed_size: 0
    .kernarg_segment_align: 8
    .kernarg_segment_size: 320
    .language:       OpenCL C
    .language_version:
      - 2
      - 0
    .max_flat_workgroup_size: 1024
    .name:           _ZN9rocsolver6v33100L17syevj_diag_rotateILb1E19rocblas_complex_numIfEfPS3_EEvbiiT2_iilPT0_Pii
    .private_segment_fixed_size: 64
    .sgpr_count:     80
    .sgpr_spill_count: 0
    .symbol:         _ZN9rocsolver6v33100L17syevj_diag_rotateILb1E19rocblas_complex_numIfEfPS3_EEvbiiT2_iilPT0_Pii.kd
    .uniform_work_group_size: 1
    .uses_dynamic_stack: false
    .vgpr_count:     42
    .vgpr_spill_count: 0
    .wavefront_size: 64
  - .agpr_count:     0
    .args:
      - .offset:         0
        .size:           4
        .value_kind:     by_value
      - .offset:         4
        .size:           4
        .value_kind:     by_value
      - .address_space:  global
        .offset:         8
        .size:           8
        .value_kind:     global_buffer
      - .offset:         16
        .size:           4
        .value_kind:     by_value
      - .offset:         20
        .size:           4
        .value_kind:     by_value
      - .offset:         24
        .size:           8
        .value_kind:     by_value
      - .offset:         32
        .size:           4
        .value_kind:     by_value
      - .address_space:  global
        .offset:         40
        .size:           8
        .value_kind:     global_buffer
      - .address_space:  global
        .offset:         48
        .size:           8
        .value_kind:     global_buffer
      - .address_space:  global
        .offset:         56
        .size:           8
        .value_kind:     global_buffer
      - .address_space:  global
        .offset:         64
        .size:           8
        .value_kind:     global_buffer
      - .offset:         72
        .size:           4
        .value_kind:     hidden_block_count_x
      - .offset:         76
        .size:           4
        .value_kind:     hidden_block_count_y
      - .offset:         80
        .size:           4
        .value_kind:     hidden_block_count_z
      - .offset:         84
        .size:           2
        .value_kind:     hidden_group_size_x
      - .offset:         86
        .size:           2
        .value_kind:     hidden_group_size_y
      - .offset:         88
        .size:           2
        .value_kind:     hidden_group_size_z
      - .offset:         90
        .size:           2
        .value_kind:     hidden_remainder_x
      - .offset:         92
        .size:           2
        .value_kind:     hidden_remainder_y
      - .offset:         94
        .size:           2
        .value_kind:     hidden_remainder_z
      - .offset:         112
        .size:           8
        .value_kind:     hidden_global_offset_x
      - .offset:         120
        .size:           8
        .value_kind:     hidden_global_offset_y
      - .offset:         128
        .size:           8
        .value_kind:     hidden_global_offset_z
      - .offset:         136
        .size:           2
        .value_kind:     hidden_grid_dims
      - .offset:         192
        .size:           4
        .value_kind:     hidden_dynamic_lds_size
    .group_segment_fixed_size: 0
    .kernarg_segment_align: 8
    .kernarg_segment_size: 328
    .language:       OpenCL C
    .language_version:
      - 2
      - 0
    .max_flat_workgroup_size: 1024
    .name:           _ZN9rocsolver6v33100L21syevj_offd_kernel_orgI19rocblas_complex_numIfEfPS3_EEviiT1_iilT0_PT_PiS9_S9_
    .private_segment_fixed_size: 0
    .sgpr_count:     42
    .sgpr_spill_count: 0
    .symbol:         _ZN9rocsolver6v33100L21syevj_offd_kernel_orgI19rocblas_complex_numIfEfPS3_EEviiT1_iilT0_PT_PiS9_S9_.kd
    .uniform_work_group_size: 1
    .uses_dynamic_stack: false
    .vgpr_count:     56
    .vgpr_spill_count: 0
    .wavefront_size: 64
  - .agpr_count:     0
    .args:
      - .offset:         0
        .size:           4
        .value_kind:     by_value
      - .offset:         4
        .size:           4
        .value_kind:     by_value
      - .address_space:  global
        .offset:         8
        .size:           8
        .value_kind:     global_buffer
      - .offset:         16
        .size:           4
        .value_kind:     by_value
      - .offset:         20
        .size:           4
        .value_kind:     by_value
      - .offset:         24
        .size:           8
        .value_kind:     by_value
      - .offset:         32
        .size:           4
        .value_kind:     by_value
      - .address_space:  global
        .offset:         40
        .size:           8
        .value_kind:     global_buffer
      - .address_space:  global
        .offset:         48
        .size:           8
        .value_kind:     global_buffer
      - .address_space:  global
        .offset:         56
        .size:           8
        .value_kind:     global_buffer
      - .address_space:  global
        .offset:         64
        .size:           8
        .value_kind:     global_buffer
      - .offset:         72
        .size:           4
        .value_kind:     by_value
      - .offset:         80
        .size:           4
        .value_kind:     hidden_block_count_x
      - .offset:         84
        .size:           4
        .value_kind:     hidden_block_count_y
      - .offset:         88
        .size:           4
        .value_kind:     hidden_block_count_z
      - .offset:         92
        .size:           2
        .value_kind:     hidden_group_size_x
      - .offset:         94
        .size:           2
        .value_kind:     hidden_group_size_y
      - .offset:         96
        .size:           2
        .value_kind:     hidden_group_size_z
      - .offset:         98
        .size:           2
        .value_kind:     hidden_remainder_x
      - .offset:         100
        .size:           2
        .value_kind:     hidden_remainder_y
      - .offset:         102
        .size:           2
        .value_kind:     hidden_remainder_z
      - .offset:         120
        .size:           8
        .value_kind:     hidden_global_offset_x
      - .offset:         128
        .size:           8
        .value_kind:     hidden_global_offset_y
      - .offset:         136
        .size:           8
        .value_kind:     hidden_global_offset_z
      - .offset:         144
        .size:           2
        .value_kind:     hidden_grid_dims
      - .offset:         200
        .size:           4
        .value_kind:     hidden_dynamic_lds_size
    .group_segment_fixed_size: 0
    .kernarg_segment_align: 8
    .kernarg_segment_size: 336
    .language:       OpenCL C
    .language_version:
      - 2
      - 0
    .max_flat_workgroup_size: 1024
    .name:           _ZN9rocsolver6v33100L17syevj_offd_kernelI19rocblas_complex_numIfEfPS3_EEviiT1_iilT0_PT_PiS9_S9_i
    .private_segment_fixed_size: 0
    .sgpr_count:     91
    .sgpr_spill_count: 0
    .symbol:         _ZN9rocsolver6v33100L17syevj_offd_kernelI19rocblas_complex_numIfEfPS3_EEviiT1_iilT0_PT_PiS9_S9_i.kd
    .uniform_work_group_size: 1
    .uses_dynamic_stack: false
    .vgpr_count:     54
    .vgpr_spill_count: 0
    .wavefront_size: 64
  - .agpr_count:     0
    .args:
      - .offset:         0
        .size:           1
        .value_kind:     by_value
      - .offset:         4
        .size:           4
        .value_kind:     by_value
      - .offset:         8
        .size:           4
        .value_kind:     by_value
      - .address_space:  global
        .offset:         16
        .size:           8
        .value_kind:     global_buffer
      - .offset:         24
        .size:           4
        .value_kind:     by_value
      - .offset:         28
        .size:           4
        .value_kind:     by_value
      - .offset:         32
        .size:           8
        .value_kind:     by_value
      - .address_space:  global
        .offset:         40
        .size:           8
        .value_kind:     global_buffer
      - .address_space:  global
        .offset:         48
        .size:           8
        .value_kind:     global_buffer
      - .address_space:  global
        .offset:         56
        .size:           8
        .value_kind:     global_buffer
      - .address_space:  global
        .offset:         64
        .size:           8
        .value_kind:     global_buffer
      - .offset:         72
        .size:           4
        .value_kind:     hidden_block_count_x
      - .offset:         76
        .size:           4
        .value_kind:     hidden_block_count_y
      - .offset:         80
        .size:           4
        .value_kind:     hidden_block_count_z
      - .offset:         84
        .size:           2
        .value_kind:     hidden_group_size_x
      - .offset:         86
        .size:           2
        .value_kind:     hidden_group_size_y
      - .offset:         88
        .size:           2
        .value_kind:     hidden_group_size_z
      - .offset:         90
        .size:           2
        .value_kind:     hidden_remainder_x
      - .offset:         92
        .size:           2
        .value_kind:     hidden_remainder_y
      - .offset:         94
        .size:           2
        .value_kind:     hidden_remainder_z
      - .offset:         112
        .size:           8
        .value_kind:     hidden_global_offset_x
      - .offset:         120
        .size:           8
        .value_kind:     hidden_global_offset_y
      - .offset:         128
        .size:           8
        .value_kind:     hidden_global_offset_z
      - .offset:         136
        .size:           2
        .value_kind:     hidden_grid_dims
    .group_segment_fixed_size: 0
    .kernarg_segment_align: 8
    .kernarg_segment_size: 328
    .language:       OpenCL C
    .language_version:
      - 2
      - 0
    .max_flat_workgroup_size: 1024
    .name:           _ZN9rocsolver6v33100L21syevj_offd_rotate_orgILb0E19rocblas_complex_numIfEfPS3_EEvbiiT2_iilPT0_PiS8_S8_
    .private_segment_fixed_size: 0
    .sgpr_count:     26
    .sgpr_spill_count: 0
    .symbol:         _ZN9rocsolver6v33100L21syevj_offd_rotate_orgILb0E19rocblas_complex_numIfEfPS3_EEvbiiT2_iilPT0_PiS8_S8_.kd
    .uniform_work_group_size: 1
    .uses_dynamic_stack: false
    .vgpr_count:     20
    .vgpr_spill_count: 0
    .wavefront_size: 64
  - .agpr_count:     0
    .args:
      - .offset:         0
        .size:           1
        .value_kind:     by_value
      - .offset:         4
        .size:           4
        .value_kind:     by_value
      - .offset:         8
        .size:           4
        .value_kind:     by_value
      - .address_space:  global
        .offset:         16
        .size:           8
        .value_kind:     global_buffer
      - .offset:         24
        .size:           4
        .value_kind:     by_value
      - .offset:         28
        .size:           4
        .value_kind:     by_value
      - .offset:         32
        .size:           8
        .value_kind:     by_value
      - .address_space:  global
        .offset:         40
        .size:           8
        .value_kind:     global_buffer
      - .address_space:  global
        .offset:         48
        .size:           8
        .value_kind:     global_buffer
      - .address_space:  global
        .offset:         56
        .size:           8
        .value_kind:     global_buffer
      - .address_space:  global
        .offset:         64
        .size:           8
        .value_kind:     global_buffer
      - .offset:         72
        .size:           4
        .value_kind:     by_value
      - .offset:         80
        .size:           4
        .value_kind:     hidden_block_count_x
      - .offset:         84
        .size:           4
        .value_kind:     hidden_block_count_y
      - .offset:         88
        .size:           4
        .value_kind:     hidden_block_count_z
      - .offset:         92
        .size:           2
        .value_kind:     hidden_group_size_x
      - .offset:         94
        .size:           2
        .value_kind:     hidden_group_size_y
      - .offset:         96
        .size:           2
        .value_kind:     hidden_group_size_z
      - .offset:         98
        .size:           2
        .value_kind:     hidden_remainder_x
      - .offset:         100
        .size:           2
        .value_kind:     hidden_remainder_y
      - .offset:         102
        .size:           2
        .value_kind:     hidden_remainder_z
      - .offset:         120
        .size:           8
        .value_kind:     hidden_global_offset_x
      - .offset:         128
        .size:           8
        .value_kind:     hidden_global_offset_y
      - .offset:         136
        .size:           8
        .value_kind:     hidden_global_offset_z
      - .offset:         144
        .size:           2
        .value_kind:     hidden_grid_dims
      - .offset:         200
        .size:           4
        .value_kind:     hidden_dynamic_lds_size
    .group_segment_fixed_size: 0
    .kernarg_segment_align: 8
    .kernarg_segment_size: 336
    .language:       OpenCL C
    .language_version:
      - 2
      - 0
    .max_flat_workgroup_size: 1024
    .name:           _ZN9rocsolver6v33100L17syevj_offd_rotateILb0E19rocblas_complex_numIfEfPS3_EEvbiiT2_iilPT0_PiS8_S8_i
    .private_segment_fixed_size: 0
    .sgpr_count:     85
    .sgpr_spill_count: 0
    .symbol:         _ZN9rocsolver6v33100L17syevj_offd_rotateILb0E19rocblas_complex_numIfEfPS3_EEvbiiT2_iilPT0_PiS8_S8_i.kd
    .uniform_work_group_size: 1
    .uses_dynamic_stack: false
    .vgpr_count:     26
    .vgpr_spill_count: 0
    .wavefront_size: 64
  - .agpr_count:     0
    .args:
      - .offset:         0
        .size:           1
        .value_kind:     by_value
      - .offset:         4
        .size:           4
        .value_kind:     by_value
      - .offset:         8
        .size:           4
        .value_kind:     by_value
      - .address_space:  global
        .offset:         16
        .size:           8
        .value_kind:     global_buffer
      - .offset:         24
        .size:           4
        .value_kind:     by_value
      - .offset:         28
        .size:           4
        .value_kind:     by_value
      - .offset:         32
        .size:           8
        .value_kind:     by_value
      - .address_space:  global
        .offset:         40
        .size:           8
        .value_kind:     global_buffer
      - .address_space:  global
        .offset:         48
        .size:           8
        .value_kind:     global_buffer
      - .address_space:  global
        .offset:         56
        .size:           8
        .value_kind:     global_buffer
      - .address_space:  global
        .offset:         64
        .size:           8
        .value_kind:     global_buffer
      - .offset:         72
        .size:           4
        .value_kind:     hidden_block_count_x
      - .offset:         76
        .size:           4
        .value_kind:     hidden_block_count_y
      - .offset:         80
        .size:           4
        .value_kind:     hidden_block_count_z
      - .offset:         84
        .size:           2
        .value_kind:     hidden_group_size_x
      - .offset:         86
        .size:           2
        .value_kind:     hidden_group_size_y
      - .offset:         88
        .size:           2
        .value_kind:     hidden_group_size_z
      - .offset:         90
        .size:           2
        .value_kind:     hidden_remainder_x
      - .offset:         92
        .size:           2
        .value_kind:     hidden_remainder_y
      - .offset:         94
        .size:           2
        .value_kind:     hidden_remainder_z
      - .offset:         112
        .size:           8
        .value_kind:     hidden_global_offset_x
      - .offset:         120
        .size:           8
        .value_kind:     hidden_global_offset_y
      - .offset:         128
        .size:           8
        .value_kind:     hidden_global_offset_z
      - .offset:         136
        .size:           2
        .value_kind:     hidden_grid_dims
    .group_segment_fixed_size: 0
    .kernarg_segment_align: 8
    .kernarg_segment_size: 328
    .language:       OpenCL C
    .language_version:
      - 2
      - 0
    .max_flat_workgroup_size: 1024
    .name:           _ZN9rocsolver6v33100L21syevj_offd_rotate_orgILb1E19rocblas_complex_numIfEfPS3_EEvbiiT2_iilPT0_PiS8_S8_
    .private_segment_fixed_size: 0
    .sgpr_count:     25
    .sgpr_spill_count: 0
    .symbol:         _ZN9rocsolver6v33100L21syevj_offd_rotate_orgILb1E19rocblas_complex_numIfEfPS3_EEvbiiT2_iilPT0_PiS8_S8_.kd
    .uniform_work_group_size: 1
    .uses_dynamic_stack: false
    .vgpr_count:     20
    .vgpr_spill_count: 0
    .wavefront_size: 64
  - .agpr_count:     0
    .args:
      - .offset:         0
        .size:           1
        .value_kind:     by_value
      - .offset:         4
        .size:           4
        .value_kind:     by_value
      - .offset:         8
        .size:           4
        .value_kind:     by_value
      - .address_space:  global
        .offset:         16
        .size:           8
        .value_kind:     global_buffer
      - .offset:         24
        .size:           4
        .value_kind:     by_value
      - .offset:         28
        .size:           4
        .value_kind:     by_value
      - .offset:         32
        .size:           8
        .value_kind:     by_value
      - .address_space:  global
        .offset:         40
        .size:           8
        .value_kind:     global_buffer
      - .address_space:  global
        .offset:         48
        .size:           8
        .value_kind:     global_buffer
      - .address_space:  global
        .offset:         56
        .size:           8
        .value_kind:     global_buffer
      - .address_space:  global
        .offset:         64
        .size:           8
        .value_kind:     global_buffer
      - .offset:         72
        .size:           4
        .value_kind:     by_value
      - .offset:         80
        .size:           4
        .value_kind:     hidden_block_count_x
      - .offset:         84
        .size:           4
        .value_kind:     hidden_block_count_y
      - .offset:         88
        .size:           4
        .value_kind:     hidden_block_count_z
      - .offset:         92
        .size:           2
        .value_kind:     hidden_group_size_x
      - .offset:         94
        .size:           2
        .value_kind:     hidden_group_size_y
      - .offset:         96
        .size:           2
        .value_kind:     hidden_group_size_z
      - .offset:         98
        .size:           2
        .value_kind:     hidden_remainder_x
      - .offset:         100
        .size:           2
        .value_kind:     hidden_remainder_y
      - .offset:         102
        .size:           2
        .value_kind:     hidden_remainder_z
      - .offset:         120
        .size:           8
        .value_kind:     hidden_global_offset_x
      - .offset:         128
        .size:           8
        .value_kind:     hidden_global_offset_y
      - .offset:         136
        .size:           8
        .value_kind:     hidden_global_offset_z
      - .offset:         144
        .size:           2
        .value_kind:     hidden_grid_dims
      - .offset:         200
        .size:           4
        .value_kind:     hidden_dynamic_lds_size
    .group_segment_fixed_size: 0
    .kernarg_segment_align: 8
    .kernarg_segment_size: 336
    .language:       OpenCL C
    .language_version:
      - 2
      - 0
    .max_flat_workgroup_size: 1024
    .name:           _ZN9rocsolver6v33100L17syevj_offd_rotateILb1E19rocblas_complex_numIfEfPS3_EEvbiiT2_iilPT0_PiS8_S8_i
    .private_segment_fixed_size: 0
    .sgpr_count:     82
    .sgpr_spill_count: 0
    .symbol:         _ZN9rocsolver6v33100L17syevj_offd_rotateILb1E19rocblas_complex_numIfEfPS3_EEvbiiT2_iilPT0_PiS8_S8_i.kd
    .uniform_work_group_size: 1
    .uses_dynamic_stack: false
    .vgpr_count:     26
    .vgpr_spill_count: 0
    .wavefront_size: 64
  - .agpr_count:     0
    .args:
      - .offset:         0
        .size:           4
        .value_kind:     by_value
      - .address_space:  global
        .offset:         8
        .size:           8
        .value_kind:     global_buffer
      - .address_space:  global
        .offset:         16
        .size:           8
        .value_kind:     global_buffer
      - .offset:         24
        .size:           4
        .value_kind:     hidden_block_count_x
      - .offset:         28
        .size:           4
        .value_kind:     hidden_block_count_y
      - .offset:         32
        .size:           4
        .value_kind:     hidden_block_count_z
      - .offset:         36
        .size:           2
        .value_kind:     hidden_group_size_x
      - .offset:         38
        .size:           2
        .value_kind:     hidden_group_size_y
      - .offset:         40
        .size:           2
        .value_kind:     hidden_group_size_z
      - .offset:         42
        .size:           2
        .value_kind:     hidden_remainder_x
      - .offset:         44
        .size:           2
        .value_kind:     hidden_remainder_y
      - .offset:         46
        .size:           2
        .value_kind:     hidden_remainder_z
      - .offset:         64
        .size:           8
        .value_kind:     hidden_global_offset_x
      - .offset:         72
        .size:           8
        .value_kind:     hidden_global_offset_y
      - .offset:         80
        .size:           8
        .value_kind:     hidden_global_offset_z
      - .offset:         88
        .size:           2
        .value_kind:     hidden_grid_dims
    .group_segment_fixed_size: 0
    .kernarg_segment_align: 8
    .kernarg_segment_size: 280
    .language:       OpenCL C
    .language_version:
      - 2
      - 0
    .max_flat_workgroup_size: 1024
    .name:           _ZN9rocsolver6v33100L17syevj_cycle_pairsI19rocblas_complex_numIfEEEviPiS4_
    .private_segment_fixed_size: 0
    .sgpr_count:     20
    .sgpr_spill_count: 0
    .symbol:         _ZN9rocsolver6v33100L17syevj_cycle_pairsI19rocblas_complex_numIfEEEviPiS4_.kd
    .uniform_work_group_size: 1
    .uses_dynamic_stack: false
    .vgpr_count:     12
    .vgpr_spill_count: 0
    .wavefront_size: 64
  - .agpr_count:     0
    .args:
      - .offset:         0
        .size:           4
        .value_kind:     by_value
      - .offset:         4
        .size:           4
        .value_kind:     by_value
      - .address_space:  global
        .offset:         8
        .size:           8
        .value_kind:     global_buffer
      - .address_space:  global
        .offset:         16
        .size:           8
        .value_kind:     global_buffer
      - .address_space:  global
        .offset:         24
        .size:           8
        .value_kind:     global_buffer
      - .address_space:  global
        .offset:         32
        .size:           8
        .value_kind:     global_buffer
      - .offset:         40
        .size:           4
        .value_kind:     hidden_block_count_x
      - .offset:         44
        .size:           4
        .value_kind:     hidden_block_count_y
      - .offset:         48
        .size:           4
        .value_kind:     hidden_block_count_z
      - .offset:         52
        .size:           2
        .value_kind:     hidden_group_size_x
      - .offset:         54
        .size:           2
        .value_kind:     hidden_group_size_y
      - .offset:         56
        .size:           2
        .value_kind:     hidden_group_size_z
      - .offset:         58
        .size:           2
        .value_kind:     hidden_remainder_x
      - .offset:         60
        .size:           2
        .value_kind:     hidden_remainder_y
      - .offset:         62
        .size:           2
        .value_kind:     hidden_remainder_z
      - .offset:         80
        .size:           8
        .value_kind:     hidden_global_offset_x
      - .offset:         88
        .size:           8
        .value_kind:     hidden_global_offset_y
      - .offset:         96
        .size:           8
        .value_kind:     hidden_global_offset_z
      - .offset:         104
        .size:           2
        .value_kind:     hidden_grid_dims
      - .offset:         160
        .size:           4
        .value_kind:     hidden_dynamic_lds_size
    .group_segment_fixed_size: 0
    .kernarg_segment_align: 8
    .kernarg_segment_size: 296
    .language:       OpenCL C
    .language_version:
      - 2
      - 0
    .max_flat_workgroup_size: 1024
    .name:           _ZN9rocsolver6v33100L15syevj_calc_normI19rocblas_complex_numIfEfEEviiPT0_PT_S5_Pi
    .private_segment_fixed_size: 0
    .sgpr_count:     28
    .sgpr_spill_count: 0
    .symbol:         _ZN9rocsolver6v33100L15syevj_calc_normI19rocblas_complex_numIfEfEEviiPT0_PT_S5_Pi.kd
    .uniform_work_group_size: 1
    .uses_dynamic_stack: false
    .vgpr_count:     12
    .vgpr_spill_count: 0
    .wavefront_size: 64
  - .agpr_count:     0
    .args:
      - .offset:         0
        .size:           4
        .value_kind:     by_value
      - .offset:         4
        .size:           4
        .value_kind:     by_value
      - .offset:         8
        .size:           4
        .value_kind:     by_value
      - .address_space:  global
        .offset:         16
        .size:           8
        .value_kind:     global_buffer
      - .offset:         24
        .size:           4
        .value_kind:     by_value
      - .offset:         28
        .size:           4
        .value_kind:     by_value
      - .offset:         32
        .size:           8
        .value_kind:     by_value
      - .address_space:  global
        .offset:         40
        .size:           8
        .value_kind:     global_buffer
      - .offset:         48
        .size:           4
        .value_kind:     by_value
      - .address_space:  global
        .offset:         56
        .size:           8
        .value_kind:     global_buffer
      - .address_space:  global
        .offset:         64
        .size:           8
        .value_kind:     global_buffer
      - .offset:         72
        .size:           8
        .value_kind:     by_value
      - .address_space:  global
        .offset:         80
        .size:           8
        .value_kind:     global_buffer
      - .address_space:  global
        .offset:         88
        .size:           8
        .value_kind:     global_buffer
      - .address_space:  global
        .offset:         96
        .size:           8
        .value_kind:     global_buffer
      - .offset:         104
        .size:           4
        .value_kind:     hidden_block_count_x
      - .offset:         108
        .size:           4
        .value_kind:     hidden_block_count_y
      - .offset:         112
        .size:           4
        .value_kind:     hidden_block_count_z
      - .offset:         116
        .size:           2
        .value_kind:     hidden_group_size_x
      - .offset:         118
        .size:           2
        .value_kind:     hidden_group_size_y
      - .offset:         120
        .size:           2
        .value_kind:     hidden_group_size_z
      - .offset:         122
        .size:           2
        .value_kind:     hidden_remainder_x
      - .offset:         124
        .size:           2
        .value_kind:     hidden_remainder_y
      - .offset:         126
        .size:           2
        .value_kind:     hidden_remainder_z
      - .offset:         144
        .size:           8
        .value_kind:     hidden_global_offset_x
      - .offset:         152
        .size:           8
        .value_kind:     hidden_global_offset_y
      - .offset:         160
        .size:           8
        .value_kind:     hidden_global_offset_z
      - .offset:         168
        .size:           2
        .value_kind:     hidden_grid_dims
    .group_segment_fixed_size: 0
    .kernarg_segment_align: 8
    .kernarg_segment_size: 360
    .language:       OpenCL C
    .language_version:
      - 2
      - 0
    .max_flat_workgroup_size: 1024
    .name:           _ZN9rocsolver6v33100L14syevj_finalizeI19rocblas_complex_numIfEfPS3_EEv14rocblas_esort_14rocblas_evect_iT1_iilPT0_iPiS9_lSA_PT_SA_
    .private_segment_fixed_size: 0
    .sgpr_count:     34
    .sgpr_spill_count: 0
    .symbol:         _ZN9rocsolver6v33100L14syevj_finalizeI19rocblas_complex_numIfEfPS3_EEv14rocblas_esort_14rocblas_evect_iT1_iilPT0_iPiS9_lSA_PT_SA_.kd
    .uniform_work_group_size: 1
    .uses_dynamic_stack: false
    .vgpr_count:     12
    .vgpr_spill_count: 0
    .wavefront_size: 64
  - .agpr_count:     0
    .args:
      - .offset:         0
        .size:           4
        .value_kind:     by_value
      - .offset:         4
        .size:           4
        .value_kind:     by_value
      - .address_space:  global
        .offset:         8
        .size:           8
        .value_kind:     global_buffer
      - .offset:         16
        .size:           8
        .value_kind:     by_value
      - .offset:         24
        .size:           4
        .value_kind:     by_value
      - .offset:         32
        .size:           8
        .value_kind:     by_value
      - .address_space:  global
        .offset:         40
        .size:           8
        .value_kind:     global_buffer
      - .offset:         48
        .size:           8
        .value_kind:     by_value
      - .address_space:  global
        .offset:         56
        .size:           8
        .value_kind:     global_buffer
      - .offset:         64
        .size:           8
        .value_kind:     by_value
    .group_segment_fixed_size: 0
    .kernarg_segment_align: 8
    .kernarg_segment_size: 72
    .language:       OpenCL C
    .language_version:
      - 2
      - 0
    .max_flat_workgroup_size: 256
    .name:           _ZN9rocsolver6v33100L18geqr2_kernel_smallILi256E19rocblas_complex_numIfEifPS3_EEvT1_S5_T3_lS5_lPT2_lPT0_l
    .private_segment_fixed_size: 0
    .sgpr_count:     53
    .sgpr_spill_count: 0
    .symbol:         _ZN9rocsolver6v33100L18geqr2_kernel_smallILi256E19rocblas_complex_numIfEifPS3_EEvT1_S5_T3_lS5_lPT2_lPT0_l.kd
    .uniform_work_group_size: 1
    .uses_dynamic_stack: false
    .vgpr_count:     32
    .vgpr_spill_count: 0
    .wavefront_size: 64
  - .agpr_count:     0
    .args:
      - .address_space:  global
        .offset:         0
        .size:           8
        .value_kind:     global_buffer
      - .offset:         8
        .size:           8
        .value_kind:     by_value
      - .offset:         16
        .size:           4
        .value_kind:     by_value
      - .offset:         20
        .size:           4
        .value_kind:     by_value
      - .offset:         24
        .size:           4
        .value_kind:     hidden_block_count_x
      - .offset:         28
        .size:           4
        .value_kind:     hidden_block_count_y
      - .offset:         32
        .size:           4
        .value_kind:     hidden_block_count_z
      - .offset:         36
        .size:           2
        .value_kind:     hidden_group_size_x
      - .offset:         38
        .size:           2
        .value_kind:     hidden_group_size_y
      - .offset:         40
        .size:           2
        .value_kind:     hidden_group_size_z
      - .offset:         42
        .size:           2
        .value_kind:     hidden_remainder_x
      - .offset:         44
        .size:           2
        .value_kind:     hidden_remainder_y
      - .offset:         46
        .size:           2
        .value_kind:     hidden_remainder_z
      - .offset:         64
        .size:           8
        .value_kind:     hidden_global_offset_x
      - .offset:         72
        .size:           8
        .value_kind:     hidden_global_offset_y
      - .offset:         80
        .size:           8
        .value_kind:     hidden_global_offset_z
      - .offset:         88
        .size:           2
        .value_kind:     hidden_grid_dims
    .group_segment_fixed_size: 0
    .kernarg_segment_align: 8
    .kernarg_segment_size: 280
    .language:       OpenCL C
    .language_version:
      - 2
      - 0
    .max_flat_workgroup_size: 1024
    .name:           _ZN9rocsolver6v33100L16reset_batch_infoI19rocblas_complex_numIfEiiPS3_EEvT2_lT0_T1_
    .private_segment_fixed_size: 0
    .sgpr_count:     16
    .sgpr_spill_count: 0
    .symbol:         _ZN9rocsolver6v33100L16reset_batch_infoI19rocblas_complex_numIfEiiPS3_EEvT2_lT0_T1_.kd
    .uniform_work_group_size: 1
    .uses_dynamic_stack: false
    .vgpr_count:     4
    .vgpr_spill_count: 0
    .wavefront_size: 64
  - .agpr_count:     0
    .args:
      - .address_space:  global
        .offset:         0
        .size:           8
        .value_kind:     global_buffer
      - .offset:         8
        .size:           8
        .value_kind:     by_value
      - .offset:         16
        .size:           8
        .value_kind:     by_value
      - .address_space:  global
        .offset:         24
        .size:           8
        .value_kind:     global_buffer
      - .offset:         32
        .size:           8
        .value_kind:     by_value
      - .offset:         40
        .size:           4
        .value_kind:     by_value
      - .offset:         48
        .size:           8
        .value_kind:     by_value
      - .offset:         56
        .size:           4
        .value_kind:     by_value
      - .offset:         60
        .size:           1
        .value_kind:     by_value
      - .offset:         64
        .size:           4
        .value_kind:     hidden_block_count_x
      - .offset:         68
        .size:           4
        .value_kind:     hidden_block_count_y
      - .offset:         72
        .size:           4
        .value_kind:     hidden_block_count_z
      - .offset:         76
        .size:           2
        .value_kind:     hidden_group_size_x
      - .offset:         78
        .size:           2
        .value_kind:     hidden_group_size_y
      - .offset:         80
        .size:           2
        .value_kind:     hidden_group_size_z
      - .offset:         82
        .size:           2
        .value_kind:     hidden_remainder_x
      - .offset:         84
        .size:           2
        .value_kind:     hidden_remainder_y
      - .offset:         86
        .size:           2
        .value_kind:     hidden_remainder_z
      - .offset:         104
        .size:           8
        .value_kind:     hidden_global_offset_x
      - .offset:         112
        .size:           8
        .value_kind:     hidden_global_offset_y
      - .offset:         120
        .size:           8
        .value_kind:     hidden_global_offset_z
      - .offset:         128
        .size:           2
        .value_kind:     hidden_grid_dims
    .group_segment_fixed_size: 0
    .kernarg_segment_align: 8
    .kernarg_segment_size: 320
    .language:       OpenCL C
    .language_version:
      - 2
      - 0
    .max_flat_workgroup_size: 1024
    .name:           _ZN9rocsolver6v33100L8set_diagI19rocblas_complex_numIfEifPS3_TnNSt9enable_ifIXaa18rocblas_is_complexIT_Ent18rocblas_is_complexIT1_EEiE4typeELi0EEEvPS7_llT2_lT0_lSC_b
    .private_segment_fixed_size: 0
    .sgpr_count:     23
    .sgpr_spill_count: 0
    .symbol:         _ZN9rocsolver6v33100L8set_diagI19rocblas_complex_numIfEifPS3_TnNSt9enable_ifIXaa18rocblas_is_complexIT_Ent18rocblas_is_complexIT1_EEiE4typeELi0EEEvPS7_llT2_lT0_lSC_b.kd
    .uniform_work_group_size: 1
    .uses_dynamic_stack: false
    .vgpr_count:     6
    .vgpr_spill_count: 0
    .wavefront_size: 64
  - .agpr_count:     0
    .args:
      - .address_space:  global
        .offset:         0
        .size:           8
        .value_kind:     global_buffer
      - .offset:         8
        .size:           8
        .value_kind:     by_value
      - .address_space:  global
        .offset:         16
        .size:           8
        .value_kind:     global_buffer
      - .address_space:  global
        .offset:         24
        .size:           8
        .value_kind:     global_buffer
      - .offset:         32
        .size:           8
        .value_kind:     by_value
      - .offset:         40
        .size:           8
        .value_kind:     by_value
      - .address_space:  global
        .offset:         48
        .size:           8
        .value_kind:     global_buffer
      - .offset:         56
        .size:           8
        .value_kind:     by_value
      - .offset:         64
        .size:           8
        .value_kind:     by_value
    .group_segment_fixed_size: 0
    .kernarg_segment_align: 8
    .kernarg_segment_size: 72
    .language:       OpenCL C
    .language_version:
      - 2
      - 0
    .max_flat_workgroup_size: 1024
    .name:           _ZN9rocsolver6v33100L11set_taubetaI19rocblas_complex_numIfEifPS3_EEvPT_lS6_T2_llPT1_ll
    .private_segment_fixed_size: 0
    .sgpr_count:     30
    .sgpr_spill_count: 0
    .symbol:         _ZN9rocsolver6v33100L11set_taubetaI19rocblas_complex_numIfEifPS3_EEvPT_lS6_T2_llPT1_ll.kd
    .uniform_work_group_size: 1
    .uses_dynamic_stack: false
    .vgpr_count:     8
    .vgpr_spill_count: 0
    .wavefront_size: 64
  - .agpr_count:     0
    .args:
      - .offset:         0
        .size:           4
        .value_kind:     by_value
      - .offset:         4
        .size:           4
        .value_kind:     by_value
      - .address_space:  global
        .offset:         8
        .size:           8
        .value_kind:     global_buffer
      - .offset:         16
        .size:           8
        .value_kind:     by_value
      - .offset:         24
        .size:           4
        .value_kind:     by_value
      - .offset:         32
        .size:           8
        .value_kind:     by_value
      - .offset:         40
        .size:           4
        .value_kind:     hidden_block_count_x
      - .offset:         44
        .size:           4
        .value_kind:     hidden_block_count_y
      - .offset:         48
        .size:           4
        .value_kind:     hidden_block_count_z
      - .offset:         52
        .size:           2
        .value_kind:     hidden_group_size_x
      - .offset:         54
        .size:           2
        .value_kind:     hidden_group_size_y
      - .offset:         56
        .size:           2
        .value_kind:     hidden_group_size_z
      - .offset:         58
        .size:           2
        .value_kind:     hidden_remainder_x
      - .offset:         60
        .size:           2
        .value_kind:     hidden_remainder_y
      - .offset:         62
        .size:           2
        .value_kind:     hidden_remainder_z
      - .offset:         80
        .size:           8
        .value_kind:     hidden_global_offset_x
      - .offset:         88
        .size:           8
        .value_kind:     hidden_global_offset_y
      - .offset:         96
        .size:           8
        .value_kind:     hidden_global_offset_z
      - .offset:         104
        .size:           2
        .value_kind:     hidden_grid_dims
    .group_segment_fixed_size: 0
    .kernarg_segment_align: 8
    .kernarg_segment_size: 296
    .language:       OpenCL C
    .language_version:
      - 2
      - 0
    .max_flat_workgroup_size: 1024
    .name:           _ZN9rocsolver6v33100L13conj_in_placeI19rocblas_complex_numIfEiPS3_TnNSt9enable_ifIX18rocblas_is_complexIT_EEiE4typeELi0EEEvT0_S9_T1_lS9_l
    .private_segment_fixed_size: 0
    .sgpr_count:     14
    .sgpr_spill_count: 0
    .symbol:         _ZN9rocsolver6v33100L13conj_in_placeI19rocblas_complex_numIfEiPS3_TnNSt9enable_ifIX18rocblas_is_complexIT_EEiE4typeELi0EEEvT0_S9_T1_lS9_l.kd
    .uniform_work_group_size: 1
    .uses_dynamic_stack: false
    .vgpr_count:     7
    .vgpr_spill_count: 0
    .wavefront_size: 64
  - .agpr_count:     0
    .args:
      - .offset:         0
        .size:           4
        .value_kind:     by_value
      - .offset:         4
        .size:           4
        .value_kind:     by_value
      - .address_space:  global
        .offset:         8
        .size:           8
        .value_kind:     global_buffer
      - .offset:         16
        .size:           8
        .value_kind:     by_value
      - .offset:         24
        .size:           4
        .value_kind:     by_value
      - .offset:         32
        .size:           8
        .value_kind:     by_value
      - .address_space:  global
        .offset:         40
        .size:           8
        .value_kind:     global_buffer
      - .offset:         48
        .size:           8
        .value_kind:     by_value
      - .address_space:  global
        .offset:         56
        .size:           8
        .value_kind:     global_buffer
      - .offset:         64
        .size:           8
        .value_kind:     by_value
      - .offset:         72
        .size:           4
        .value_kind:     by_value
      - .offset:         80
        .size:           8
        .value_kind:     by_value
    .group_segment_fixed_size: 0
    .kernarg_segment_align: 8
    .kernarg_segment_size: 88
    .language:       OpenCL C
    .language_version:
      - 2
      - 0
    .max_flat_workgroup_size: 1024
    .name:           _ZN9rocsolver6v33100L16larf_left_kernelILi1024E19rocblas_complex_numIfEiPS3_EEvT1_S5_T2_lS5_lPKT0_lS6_lS5_l
    .private_segment_fixed_size: 0
    .sgpr_count:     36
    .sgpr_spill_count: 0
    .symbol:         _ZN9rocsolver6v33100L16larf_left_kernelILi1024E19rocblas_complex_numIfEiPS3_EEvT1_S5_T2_lS5_lPKT0_lS6_lS5_l.kd
    .uniform_work_group_size: 1
    .uses_dynamic_stack: false
    .vgpr_count:     30
    .vgpr_spill_count: 0
    .wavefront_size: 64
  - .agpr_count:     0
    .args:
      - .offset:         0
        .size:           4
        .value_kind:     by_value
      - .offset:         4
        .size:           4
        .value_kind:     by_value
      - .address_space:  global
        .offset:         8
        .size:           8
        .value_kind:     global_buffer
      - .offset:         16
        .size:           8
        .value_kind:     by_value
      - .offset:         24
        .size:           4
        .value_kind:     by_value
      - .offset:         32
        .size:           8
        .value_kind:     by_value
      - .address_space:  global
        .offset:         40
        .size:           8
        .value_kind:     global_buffer
      - .offset:         48
        .size:           8
        .value_kind:     by_value
      - .address_space:  global
        .offset:         56
        .size:           8
        .value_kind:     global_buffer
      - .offset:         64
        .size:           8
        .value_kind:     by_value
      - .offset:         72
        .size:           4
        .value_kind:     by_value
      - .offset:         80
        .size:           8
        .value_kind:     by_value
    .group_segment_fixed_size: 0
    .kernarg_segment_align: 8
    .kernarg_segment_size: 88
    .language:       OpenCL C
    .language_version:
      - 2
      - 0
    .max_flat_workgroup_size: 1024
    .name:           _ZN9rocsolver6v33100L17larf_right_kernelILi1024E19rocblas_complex_numIfEiPS3_EEvT1_S5_T2_lS5_lPKT0_lS6_lS5_l
    .private_segment_fixed_size: 0
    .sgpr_count:     40
    .sgpr_spill_count: 0
    .symbol:         _ZN9rocsolver6v33100L17larf_right_kernelILi1024E19rocblas_complex_numIfEiPS3_EEvT1_S5_T2_lS5_lPKT0_lS6_lS5_l.kd
    .uniform_work_group_size: 1
    .uses_dynamic_stack: false
    .vgpr_count:     21
    .vgpr_spill_count: 0
    .wavefront_size: 64
  - .agpr_count:     0
    .args:
      - .address_space:  global
        .offset:         0
        .size:           8
        .value_kind:     global_buffer
      - .offset:         8
        .size:           8
        .value_kind:     by_value
      - .offset:         16
        .size:           8
        .value_kind:     by_value
      - .address_space:  global
        .offset:         24
        .size:           8
        .value_kind:     global_buffer
      - .offset:         32
        .size:           8
        .value_kind:     by_value
      - .offset:         40
        .size:           4
        .value_kind:     by_value
      - .offset:         48
        .size:           8
        .value_kind:     by_value
      - .offset:         56
        .size:           4
        .value_kind:     by_value
      - .offset:         64
        .size:           4
        .value_kind:     hidden_block_count_x
      - .offset:         68
        .size:           4
        .value_kind:     hidden_block_count_y
      - .offset:         72
        .size:           4
        .value_kind:     hidden_block_count_z
      - .offset:         76
        .size:           2
        .value_kind:     hidden_group_size_x
      - .offset:         78
        .size:           2
        .value_kind:     hidden_group_size_y
      - .offset:         80
        .size:           2
        .value_kind:     hidden_group_size_z
      - .offset:         82
        .size:           2
        .value_kind:     hidden_remainder_x
      - .offset:         84
        .size:           2
        .value_kind:     hidden_remainder_y
      - .offset:         86
        .size:           2
        .value_kind:     hidden_remainder_z
      - .offset:         104
        .size:           8
        .value_kind:     hidden_global_offset_x
      - .offset:         112
        .size:           8
        .value_kind:     hidden_global_offset_y
      - .offset:         120
        .size:           8
        .value_kind:     hidden_global_offset_z
      - .offset:         128
        .size:           2
        .value_kind:     hidden_grid_dims
    .group_segment_fixed_size: 0
    .kernarg_segment_align: 8
    .kernarg_segment_size: 320
    .language:       OpenCL C
    .language_version:
      - 2
      - 0
    .max_flat_workgroup_size: 1024
    .name:           _ZN9rocsolver6v33100L12restore_diagI19rocblas_complex_numIfEifPS3_EEvPT1_llT2_lT0_lS8_
    .private_segment_fixed_size: 0
    .sgpr_count:     20
    .sgpr_spill_count: 0
    .symbol:         _ZN9rocsolver6v33100L12restore_diagI19rocblas_complex_numIfEifPS3_EEvPT1_llT2_lT0_lS8_.kd
    .uniform_work_group_size: 1
    .uses_dynamic_stack: false
    .vgpr_count:     4
    .vgpr_spill_count: 0
    .wavefront_size: 64
  - .agpr_count:     0
    .args:
      - .offset:         0
        .size:           4
        .value_kind:     by_value
      - .offset:         4
        .size:           4
        .value_kind:     by_value
      - .address_space:  global
        .offset:         8
        .size:           8
        .value_kind:     global_buffer
      - .offset:         16
        .size:           4
        .value_kind:     by_value
      - .offset:         20
        .size:           4
        .value_kind:     by_value
      - .offset:         24
        .size:           8
        .value_kind:     by_value
      - .address_space:  global
        .offset:         32
        .size:           8
        .value_kind:     global_buffer
      - .offset:         40
        .size:           8
        .value_kind:     by_value
      - .address_space:  global
        .offset:         48
        .size:           8
        .value_kind:     global_buffer
      - .offset:         56
        .size:           4
        .value_kind:     by_value
      - .offset:         64
        .size:           8
        .value_kind:     by_value
      - .offset:         72
        .size:           4
        .value_kind:     by_value
      - .offset:         76
        .size:           4
        .value_kind:     by_value
      - .offset:         80
        .size:           1
        .value_kind:     by_value
      - .offset:         88
        .size:           4
        .value_kind:     hidden_block_count_x
      - .offset:         92
        .size:           4
        .value_kind:     hidden_block_count_y
      - .offset:         96
        .size:           4
        .value_kind:     hidden_block_count_z
      - .offset:         100
        .size:           2
        .value_kind:     hidden_group_size_x
      - .offset:         102
        .size:           2
        .value_kind:     hidden_group_size_y
      - .offset:         104
        .size:           2
        .value_kind:     hidden_group_size_z
      - .offset:         106
        .size:           2
        .value_kind:     hidden_remainder_x
      - .offset:         108
        .size:           2
        .value_kind:     hidden_remainder_y
      - .offset:         110
        .size:           2
        .value_kind:     hidden_remainder_z
      - .offset:         128
        .size:           8
        .value_kind:     hidden_global_offset_x
      - .offset:         136
        .size:           8
        .value_kind:     hidden_global_offset_y
      - .offset:         144
        .size:           8
        .value_kind:     hidden_global_offset_z
      - .offset:         152
        .size:           2
        .value_kind:     hidden_grid_dims
    .group_segment_fixed_size: 0
    .kernarg_segment_align: 8
    .kernarg_segment_size: 344
    .language:       OpenCL C
    .language_version:
      - 2
      - 0
    .max_flat_workgroup_size: 1024
    .name:           _ZN9rocsolver6v33100L14set_triangularI19rocblas_complex_numIfEPS3_TnNSt9enable_ifIX18rocblas_is_complexIT_EEiE4typeELi0EEEviiT0_iilPS6_lSA_il15rocblas_direct_15rocblas_storev_b
    .private_segment_fixed_size: 0
    .sgpr_count:     27
    .sgpr_spill_count: 0
    .symbol:         _ZN9rocsolver6v33100L14set_triangularI19rocblas_complex_numIfEPS3_TnNSt9enable_ifIX18rocblas_is_complexIT_EEiE4typeELi0EEEviiT0_iilPS6_lSA_il15rocblas_direct_15rocblas_storev_b.kd
    .uniform_work_group_size: 1
    .uses_dynamic_stack: false
    .vgpr_count:     18
    .vgpr_spill_count: 0
    .wavefront_size: 64
  - .agpr_count:     0
    .args:
      - .offset:         0
        .size:           4
        .value_kind:     by_value
      - .address_space:  global
        .offset:         8
        .size:           8
        .value_kind:     global_buffer
      - .offset:         16
        .size:           8
        .value_kind:     by_value
      - .offset:         24
        .size:           4
        .value_kind:     hidden_block_count_x
      - .offset:         28
        .size:           4
        .value_kind:     hidden_block_count_y
      - .offset:         32
        .size:           4
        .value_kind:     hidden_block_count_z
      - .offset:         36
        .size:           2
        .value_kind:     hidden_group_size_x
      - .offset:         38
        .size:           2
        .value_kind:     hidden_group_size_y
      - .offset:         40
        .size:           2
        .value_kind:     hidden_group_size_z
      - .offset:         42
        .size:           2
        .value_kind:     hidden_remainder_x
      - .offset:         44
        .size:           2
        .value_kind:     hidden_remainder_y
      - .offset:         46
        .size:           2
        .value_kind:     hidden_remainder_z
      - .offset:         64
        .size:           8
        .value_kind:     hidden_global_offset_x
      - .offset:         72
        .size:           8
        .value_kind:     hidden_global_offset_y
      - .offset:         80
        .size:           8
        .value_kind:     hidden_global_offset_z
      - .offset:         88
        .size:           2
        .value_kind:     hidden_grid_dims
    .group_segment_fixed_size: 0
    .kernarg_segment_align: 8
    .kernarg_segment_size: 280
    .language:       OpenCL C
    .language_version:
      - 2
      - 0
    .max_flat_workgroup_size: 1024
    .name:           _ZN9rocsolver6v33100L7set_tauI19rocblas_complex_numIfEEEviPT_l
    .private_segment_fixed_size: 0
    .sgpr_count:     12
    .sgpr_spill_count: 0
    .symbol:         _ZN9rocsolver6v33100L7set_tauI19rocblas_complex_numIfEEEviPT_l.kd
    .uniform_work_group_size: 1
    .uses_dynamic_stack: false
    .vgpr_count:     4
    .vgpr_spill_count: 0
    .wavefront_size: 64
  - .agpr_count:     0
    .args:
      - .offset:         0
        .size:           4
        .value_kind:     by_value
      - .offset:         4
        .size:           4
        .value_kind:     by_value
      - .offset:         8
        .size:           4
        .value_kind:     by_value
      - .address_space:  global
        .offset:         16
        .size:           8
        .value_kind:     global_buffer
      - .offset:         24
        .size:           4
        .value_kind:     by_value
      - .offset:         28
        .size:           4
        .value_kind:     by_value
      - .offset:         32
        .size:           8
        .value_kind:     by_value
      - .address_space:  global
        .offset:         40
        .size:           8
        .value_kind:     global_buffer
      - .offset:         48
        .size:           8
        .value_kind:     by_value
      - .address_space:  global
        .offset:         56
        .size:           8
        .value_kind:     global_buffer
      - .offset:         64
        .size:           4
        .value_kind:     by_value
      - .offset:         72
        .size:           8
        .value_kind:     by_value
      - .offset:         80
        .size:           4
        .value_kind:     hidden_block_count_x
      - .offset:         84
        .size:           4
        .value_kind:     hidden_block_count_y
      - .offset:         88
        .size:           4
        .value_kind:     hidden_block_count_z
      - .offset:         92
        .size:           2
        .value_kind:     hidden_group_size_x
      - .offset:         94
        .size:           2
        .value_kind:     hidden_group_size_y
      - .offset:         96
        .size:           2
        .value_kind:     hidden_group_size_z
      - .offset:         98
        .size:           2
        .value_kind:     hidden_remainder_x
      - .offset:         100
        .size:           2
        .value_kind:     hidden_remainder_y
      - .offset:         102
        .size:           2
        .value_kind:     hidden_remainder_z
      - .offset:         120
        .size:           8
        .value_kind:     hidden_global_offset_x
      - .offset:         128
        .size:           8
        .value_kind:     hidden_global_offset_y
      - .offset:         136
        .size:           8
        .value_kind:     hidden_global_offset_z
      - .offset:         144
        .size:           2
        .value_kind:     hidden_grid_dims
      - .offset:         200
        .size:           4
        .value_kind:     hidden_dynamic_lds_size
    .group_segment_fixed_size: 0
    .kernarg_segment_align: 8
    .kernarg_segment_size: 336
    .language:       OpenCL C
    .language_version:
      - 2
      - 0
    .max_flat_workgroup_size: 1024
    .name:           _ZN9rocsolver6v33100L20larft_kernel_forwardI19rocblas_complex_numIfEPS3_EEv15rocblas_storev_iiT0_iilPT_lS8_il
    .private_segment_fixed_size: 0
    .sgpr_count:     56
    .sgpr_spill_count: 0
    .symbol:         _ZN9rocsolver6v33100L20larft_kernel_forwardI19rocblas_complex_numIfEPS3_EEv15rocblas_storev_iiT0_iilPT_lS8_il.kd
    .uniform_work_group_size: 1
    .uses_dynamic_stack: false
    .vgpr_count:     24
    .vgpr_spill_count: 0
    .wavefront_size: 64
  - .agpr_count:     0
    .args:
      - .offset:         0
        .size:           4
        .value_kind:     by_value
      - .offset:         4
        .size:           4
        .value_kind:     by_value
      - .offset:         8
        .size:           4
        .value_kind:     by_value
      - .address_space:  global
        .offset:         16
        .size:           8
        .value_kind:     global_buffer
      - .offset:         24
        .size:           4
        .value_kind:     by_value
      - .offset:         28
        .size:           4
        .value_kind:     by_value
      - .offset:         32
        .size:           8
        .value_kind:     by_value
      - .address_space:  global
        .offset:         40
        .size:           8
        .value_kind:     global_buffer
      - .offset:         48
        .size:           8
        .value_kind:     by_value
      - .address_space:  global
        .offset:         56
        .size:           8
        .value_kind:     global_buffer
      - .offset:         64
        .size:           4
        .value_kind:     by_value
      - .offset:         72
        .size:           8
        .value_kind:     by_value
      - .offset:         80
        .size:           4
        .value_kind:     hidden_block_count_x
      - .offset:         84
        .size:           4
        .value_kind:     hidden_block_count_y
      - .offset:         88
        .size:           4
        .value_kind:     hidden_block_count_z
      - .offset:         92
        .size:           2
        .value_kind:     hidden_group_size_x
      - .offset:         94
        .size:           2
        .value_kind:     hidden_group_size_y
      - .offset:         96
        .size:           2
        .value_kind:     hidden_group_size_z
      - .offset:         98
        .size:           2
        .value_kind:     hidden_remainder_x
      - .offset:         100
        .size:           2
        .value_kind:     hidden_remainder_y
      - .offset:         102
        .size:           2
        .value_kind:     hidden_remainder_z
      - .offset:         120
        .size:           8
        .value_kind:     hidden_global_offset_x
      - .offset:         128
        .size:           8
        .value_kind:     hidden_global_offset_y
      - .offset:         136
        .size:           8
        .value_kind:     hidden_global_offset_z
      - .offset:         144
        .size:           2
        .value_kind:     hidden_grid_dims
      - .offset:         200
        .size:           4
        .value_kind:     hidden_dynamic_lds_size
    .group_segment_fixed_size: 0
    .kernarg_segment_align: 8
    .kernarg_segment_size: 336
    .language:       OpenCL C
    .language_version:
      - 2
      - 0
    .max_flat_workgroup_size: 1024
    .name:           _ZN9rocsolver6v33100L21larft_kernel_backwardI19rocblas_complex_numIfEPS3_EEv15rocblas_storev_iiT0_iilPT_lS8_il
    .private_segment_fixed_size: 0
    .sgpr_count:     60
    .sgpr_spill_count: 0
    .symbol:         _ZN9rocsolver6v33100L21larft_kernel_backwardI19rocblas_complex_numIfEPS3_EEv15rocblas_storev_iiT0_iilPT_lS8_il.kd
    .uniform_work_group_size: 1
    .uses_dynamic_stack: false
    .vgpr_count:     20
    .vgpr_spill_count: 0
    .wavefront_size: 64
  - .agpr_count:     0
    .args:
      - .offset:         0
        .size:           4
        .value_kind:     by_value
      - .offset:         4
        .size:           4
        .value_kind:     by_value
      - .address_space:  global
        .offset:         8
        .size:           8
        .value_kind:     global_buffer
      - .offset:         16
        .size:           4
        .value_kind:     by_value
      - .offset:         20
        .size:           4
        .value_kind:     by_value
      - .offset:         24
        .size:           8
        .value_kind:     by_value
      - .address_space:  global
        .offset:         32
        .size:           8
        .value_kind:     global_buffer
      - .offset:         40
        .size:           4
        .value_kind:     hidden_block_count_x
      - .offset:         44
        .size:           4
        .value_kind:     hidden_block_count_y
      - .offset:         48
        .size:           4
        .value_kind:     hidden_block_count_z
      - .offset:         52
        .size:           2
        .value_kind:     hidden_group_size_x
      - .offset:         54
        .size:           2
        .value_kind:     hidden_group_size_y
      - .offset:         56
        .size:           2
        .value_kind:     hidden_group_size_z
      - .offset:         58
        .size:           2
        .value_kind:     hidden_remainder_x
      - .offset:         60
        .size:           2
        .value_kind:     hidden_remainder_y
      - .offset:         62
        .size:           2
        .value_kind:     hidden_remainder_z
      - .offset:         80
        .size:           8
        .value_kind:     hidden_global_offset_x
      - .offset:         88
        .size:           8
        .value_kind:     hidden_global_offset_y
      - .offset:         96
        .size:           8
        .value_kind:     hidden_global_offset_z
      - .offset:         104
        .size:           2
        .value_kind:     hidden_grid_dims
    .group_segment_fixed_size: 0
    .kernarg_segment_align: 8
    .kernarg_segment_size: 296
    .language:       OpenCL C
    .language_version:
      - 2
      - 0
    .max_flat_workgroup_size: 1024
    .name:           _ZN9rocsolver6v33100L9copymatA1I19rocblas_complex_numIfEPS3_EEviiT0_iilPT_
    .private_segment_fixed_size: 0
    .sgpr_count:     24
    .sgpr_spill_count: 0
    .symbol:         _ZN9rocsolver6v33100L9copymatA1I19rocblas_complex_numIfEPS3_EEviiT0_iilPT_.kd
    .uniform_work_group_size: 1
    .uses_dynamic_stack: false
    .vgpr_count:     6
    .vgpr_spill_count: 0
    .wavefront_size: 64
  - .agpr_count:     0
    .args:
      - .offset:         0
        .size:           4
        .value_kind:     by_value
      - .offset:         4
        .size:           4
        .value_kind:     by_value
      - .address_space:  global
        .offset:         8
        .size:           8
        .value_kind:     global_buffer
      - .offset:         16
        .size:           4
        .value_kind:     by_value
      - .offset:         20
        .size:           4
        .value_kind:     by_value
      - .offset:         24
        .size:           8
        .value_kind:     by_value
      - .address_space:  global
        .offset:         32
        .size:           8
        .value_kind:     global_buffer
      - .offset:         40
        .size:           4
        .value_kind:     hidden_block_count_x
      - .offset:         44
        .size:           4
        .value_kind:     hidden_block_count_y
      - .offset:         48
        .size:           4
        .value_kind:     hidden_block_count_z
      - .offset:         52
        .size:           2
        .value_kind:     hidden_group_size_x
      - .offset:         54
        .size:           2
        .value_kind:     hidden_group_size_y
      - .offset:         56
        .size:           2
        .value_kind:     hidden_group_size_z
      - .offset:         58
        .size:           2
        .value_kind:     hidden_remainder_x
      - .offset:         60
        .size:           2
        .value_kind:     hidden_remainder_y
      - .offset:         62
        .size:           2
        .value_kind:     hidden_remainder_z
      - .offset:         80
        .size:           8
        .value_kind:     hidden_global_offset_x
      - .offset:         88
        .size:           8
        .value_kind:     hidden_global_offset_y
      - .offset:         96
        .size:           8
        .value_kind:     hidden_global_offset_z
      - .offset:         104
        .size:           2
        .value_kind:     hidden_grid_dims
    .group_segment_fixed_size: 0
    .kernarg_segment_align: 8
    .kernarg_segment_size: 296
    .language:       OpenCL C
    .language_version:
      - 2
      - 0
    .max_flat_workgroup_size: 1024
    .name:           _ZN9rocsolver6v33100L8addmatA1I19rocblas_complex_numIfEPS3_EEviiT0_iilPT_
    .private_segment_fixed_size: 0
    .sgpr_count:     19
    .sgpr_spill_count: 0
    .symbol:         _ZN9rocsolver6v33100L8addmatA1I19rocblas_complex_numIfEPS3_EEviiT0_iilPT_.kd
    .uniform_work_group_size: 1
    .uses_dynamic_stack: false
    .vgpr_count:     8
    .vgpr_spill_count: 0
    .wavefront_size: 64
  - .agpr_count:     0
    .args:
      - .offset:         0
        .size:           4
        .value_kind:     by_value
      - .address_space:  global
        .offset:         8
        .size:           8
        .value_kind:     global_buffer
      - .offset:         16
        .size:           8
        .value_kind:     by_value
      - .address_space:  global
        .offset:         24
        .size:           8
        .value_kind:     global_buffer
      - .offset:         32
        .size:           4
        .value_kind:     by_value
      - .offset:         40
        .size:           8
        .value_kind:     by_value
      - .address_space:  global
        .offset:         48
        .size:           8
        .value_kind:     global_buffer
      - .offset:         56
        .size:           4
        .value_kind:     by_value
      - .offset:         64
        .size:           8
        .value_kind:     by_value
      - .offset:         72
        .size:           4
        .value_kind:     hidden_block_count_x
      - .offset:         76
        .size:           4
        .value_kind:     hidden_block_count_y
      - .offset:         80
        .size:           4
        .value_kind:     hidden_block_count_z
      - .offset:         84
        .size:           2
        .value_kind:     hidden_group_size_x
      - .offset:         86
        .size:           2
        .value_kind:     hidden_group_size_y
      - .offset:         88
        .size:           2
        .value_kind:     hidden_group_size_z
      - .offset:         90
        .size:           2
        .value_kind:     hidden_remainder_x
      - .offset:         92
        .size:           2
        .value_kind:     hidden_remainder_y
      - .offset:         94
        .size:           2
        .value_kind:     hidden_remainder_z
      - .offset:         112
        .size:           8
        .value_kind:     hidden_global_offset_x
      - .offset:         120
        .size:           8
        .value_kind:     hidden_global_offset_y
      - .offset:         128
        .size:           8
        .value_kind:     hidden_global_offset_z
      - .offset:         136
        .size:           2
        .value_kind:     hidden_grid_dims
    .group_segment_fixed_size: 0
    .kernarg_segment_align: 8
    .kernarg_segment_size: 328
    .language:       OpenCL C
    .language_version:
      - 2
      - 0
    .max_flat_workgroup_size: 1024
    .name:           _ZN9rocsolver6v33100L15gesvdj_finalizeI19rocblas_complex_numIfEfEEviPT0_lPT_ilS7_il
    .private_segment_fixed_size: 0
    .sgpr_count:     26
    .sgpr_spill_count: 0
    .symbol:         _ZN9rocsolver6v33100L15gesvdj_finalizeI19rocblas_complex_numIfEfEEviPT0_lPT_ilS7_il.kd
    .uniform_work_group_size: 1
    .uses_dynamic_stack: false
    .vgpr_count:     8
    .vgpr_spill_count: 0
    .wavefront_size: 64
  - .agpr_count:     0
    .args:
      - .offset:         0
        .size:           4
        .value_kind:     by_value
      - .offset:         4
        .size:           4
        .value_kind:     by_value
      - .offset:         8
        .size:           4
        .value_kind:     by_value
      - .address_space:  global
        .offset:         16
        .size:           8
        .value_kind:     global_buffer
      - .offset:         24
        .size:           4
        .value_kind:     by_value
      - .offset:         28
        .size:           4
        .value_kind:     by_value
      - .offset:         32
        .size:           8
        .value_kind:     by_value
      - .offset:         40
        .size:           4
        .value_kind:     hidden_block_count_x
      - .offset:         44
        .size:           4
        .value_kind:     hidden_block_count_y
      - .offset:         48
        .size:           4
        .value_kind:     hidden_block_count_z
      - .offset:         52
        .size:           2
        .value_kind:     hidden_group_size_x
      - .offset:         54
        .size:           2
        .value_kind:     hidden_group_size_y
      - .offset:         56
        .size:           2
        .value_kind:     hidden_group_size_z
      - .offset:         58
        .size:           2
        .value_kind:     hidden_remainder_x
      - .offset:         60
        .size:           2
        .value_kind:     hidden_remainder_y
      - .offset:         62
        .size:           2
        .value_kind:     hidden_remainder_z
      - .offset:         80
        .size:           8
        .value_kind:     hidden_global_offset_x
      - .offset:         88
        .size:           8
        .value_kind:     hidden_global_offset_y
      - .offset:         96
        .size:           8
        .value_kind:     hidden_global_offset_z
      - .offset:         104
        .size:           2
        .value_kind:     hidden_grid_dims
    .group_segment_fixed_size: 0
    .kernarg_segment_align: 8
    .kernarg_segment_size: 296
    .language:       OpenCL C
    .language_version:
      - 2
      - 0
    .max_flat_workgroup_size: 1024
    .name:           _ZN9rocsolver6v33100L16org2r_init_identI19rocblas_complex_numIfEPS3_EEviiiT0_iil
    .private_segment_fixed_size: 0
    .sgpr_count:     20
    .sgpr_spill_count: 0
    .symbol:         _ZN9rocsolver6v33100L16org2r_init_identI19rocblas_complex_numIfEPS3_EEviiiT0_iil.kd
    .uniform_work_group_size: 1
    .uses_dynamic_stack: false
    .vgpr_count:     6
    .vgpr_spill_count: 0
    .wavefront_size: 64
  - .agpr_count:     0
    .args:
      - .offset:         0
        .size:           4
        .value_kind:     by_value
      - .offset:         4
        .size:           4
        .value_kind:     by_value
      - .address_space:  global
        .offset:         8
        .size:           8
        .value_kind:     global_buffer
      - .offset:         16
        .size:           4
        .value_kind:     by_value
      - .offset:         20
        .size:           4
        .value_kind:     by_value
      - .offset:         24
        .size:           8
        .value_kind:     by_value
      - .address_space:  global
        .offset:         32
        .size:           8
        .value_kind:     global_buffer
      - .offset:         40
        .size:           8
        .value_kind:     by_value
    .group_segment_fixed_size: 0
    .kernarg_segment_align: 8
    .kernarg_segment_size: 48
    .language:       OpenCL C
    .language_version:
      - 2
      - 0
    .max_flat_workgroup_size: 1024
    .name:           _ZN9rocsolver6v33100L12subtract_tauI19rocblas_complex_numIfEPS3_EEviiT0_iilPT_l
    .private_segment_fixed_size: 0
    .sgpr_count:     20
    .sgpr_spill_count: 0
    .symbol:         _ZN9rocsolver6v33100L12subtract_tauI19rocblas_complex_numIfEPS3_EEviiT0_iilPT_l.kd
    .uniform_work_group_size: 1
    .uses_dynamic_stack: false
    .vgpr_count:     3
    .vgpr_spill_count: 0
    .wavefront_size: 64
  - .agpr_count:     0
    .args:
      - .offset:         0
        .size:           4
        .value_kind:     by_value
      - .address_space:  global
        .offset:         8
        .size:           8
        .value_kind:     global_buffer
      - .offset:         16
        .size:           8
        .value_kind:     by_value
      - .offset:         24
        .size:           4
        .value_kind:     hidden_block_count_x
      - .offset:         28
        .size:           4
        .value_kind:     hidden_block_count_y
      - .offset:         32
        .size:           4
        .value_kind:     hidden_block_count_z
      - .offset:         36
        .size:           2
        .value_kind:     hidden_group_size_x
      - .offset:         38
        .size:           2
        .value_kind:     hidden_group_size_y
      - .offset:         40
        .size:           2
        .value_kind:     hidden_group_size_z
      - .offset:         42
        .size:           2
        .value_kind:     hidden_remainder_x
      - .offset:         44
        .size:           2
        .value_kind:     hidden_remainder_y
      - .offset:         46
        .size:           2
        .value_kind:     hidden_remainder_z
      - .offset:         64
        .size:           8
        .value_kind:     hidden_global_offset_x
      - .offset:         72
        .size:           8
        .value_kind:     hidden_global_offset_y
      - .offset:         80
        .size:           8
        .value_kind:     hidden_global_offset_z
      - .offset:         88
        .size:           2
        .value_kind:     hidden_grid_dims
    .group_segment_fixed_size: 0
    .kernarg_segment_align: 8
    .kernarg_segment_size: 280
    .language:       OpenCL C
    .language_version:
      - 2
      - 0
    .max_flat_workgroup_size: 1024
    .name:           _ZN9rocsolver6v33100L6restauI19rocblas_complex_numIfEEEviPT_l
    .private_segment_fixed_size: 0
    .sgpr_count:     12
    .sgpr_spill_count: 0
    .symbol:         _ZN9rocsolver6v33100L6restauI19rocblas_complex_numIfEEEviPT_l.kd
    .uniform_work_group_size: 1
    .uses_dynamic_stack: false
    .vgpr_count:     4
    .vgpr_spill_count: 0
    .wavefront_size: 64
  - .agpr_count:     0
    .args:
      - .offset:         0
        .size:           4
        .value_kind:     by_value
      - .offset:         4
        .size:           4
        .value_kind:     by_value
      - .address_space:  global
        .offset:         8
        .size:           8
        .value_kind:     global_buffer
      - .offset:         16
        .size:           4
        .value_kind:     by_value
      - .offset:         20
        .size:           4
        .value_kind:     by_value
      - .offset:         24
        .size:           8
        .value_kind:     by_value
      - .offset:         32
        .size:           4
        .value_kind:     by_value
      - .offset:         40
        .size:           4
        .value_kind:     hidden_block_count_x
      - .offset:         44
        .size:           4
        .value_kind:     hidden_block_count_y
      - .offset:         48
        .size:           4
        .value_kind:     hidden_block_count_z
      - .offset:         52
        .size:           2
        .value_kind:     hidden_group_size_x
      - .offset:         54
        .size:           2
        .value_kind:     hidden_group_size_y
      - .offset:         56
        .size:           2
        .value_kind:     hidden_group_size_z
      - .offset:         58
        .size:           2
        .value_kind:     hidden_remainder_x
      - .offset:         60
        .size:           2
        .value_kind:     hidden_remainder_y
      - .offset:         62
        .size:           2
        .value_kind:     hidden_remainder_z
      - .offset:         80
        .size:           8
        .value_kind:     hidden_global_offset_x
      - .offset:         88
        .size:           8
        .value_kind:     hidden_global_offset_y
      - .offset:         96
        .size:           8
        .value_kind:     hidden_global_offset_z
      - .offset:         104
        .size:           2
        .value_kind:     hidden_grid_dims
    .group_segment_fixed_size: 0
    .kernarg_segment_align: 8
    .kernarg_segment_size: 296
    .language:       OpenCL C
    .language_version:
      - 2
      - 0
    .max_flat_workgroup_size: 1024
    .name:           _ZN9rocsolver6v33100L8set_zeroI19rocblas_complex_numIfEPS3_EEviiT0_iil13rocblas_fill_
    .private_segment_fixed_size: 0
    .sgpr_count:     13
    .sgpr_spill_count: 0
    .symbol:         _ZN9rocsolver6v33100L8set_zeroI19rocblas_complex_numIfEPS3_EEviiT0_iil13rocblas_fill_.kd
    .uniform_work_group_size: 1
    .uses_dynamic_stack: false
    .vgpr_count:     4
    .vgpr_spill_count: 0
    .wavefront_size: 64
  - .agpr_count:     0
    .args:
      - .address_space:  global
        .offset:         0
        .size:           8
        .value_kind:     global_buffer
      - .offset:         8
        .size:           4
        .value_kind:     by_value
      - .offset:         16
        .size:           16
        .value_kind:     by_value
    .group_segment_fixed_size: 0
    .kernarg_segment_align: 8
    .kernarg_segment_size: 32
    .language:       OpenCL C
    .language_version:
      - 2
      - 0
    .max_flat_workgroup_size: 32
    .name:           _ZN9rocsolver6v33100L6iota_nI19rocblas_complex_numIdEEEvPT_jS4_
    .private_segment_fixed_size: 0
    .sgpr_count:     12
    .sgpr_spill_count: 0
    .symbol:         _ZN9rocsolver6v33100L6iota_nI19rocblas_complex_numIdEEEvPT_jS4_.kd
    .uniform_work_group_size: 1
    .uses_dynamic_stack: false
    .vgpr_count:     5
    .vgpr_spill_count: 0
    .wavefront_size: 64
  - .agpr_count:     0
    .args:
      - .offset:         0
        .size:           4
        .value_kind:     by_value
      - .address_space:  global
        .offset:         8
        .size:           8
        .value_kind:     global_buffer
      - .offset:         16
        .size:           8
        .value_kind:     by_value
      - .address_space:  global
        .offset:         24
        .size:           8
        .value_kind:     global_buffer
      - .offset:         32
        .size:           8
        .value_kind:     by_value
      - .offset:         40
        .size:           4
        .value_kind:     by_value
      - .offset:         48
        .size:           4
        .value_kind:     hidden_block_count_x
      - .offset:         52
        .size:           4
        .value_kind:     hidden_block_count_y
      - .offset:         56
        .size:           4
        .value_kind:     hidden_block_count_z
      - .offset:         60
        .size:           2
        .value_kind:     hidden_group_size_x
      - .offset:         62
        .size:           2
        .value_kind:     hidden_group_size_y
      - .offset:         64
        .size:           2
        .value_kind:     hidden_group_size_z
      - .offset:         66
        .size:           2
        .value_kind:     hidden_remainder_x
      - .offset:         68
        .size:           2
        .value_kind:     hidden_remainder_y
      - .offset:         70
        .size:           2
        .value_kind:     hidden_remainder_z
      - .offset:         88
        .size:           8
        .value_kind:     hidden_global_offset_x
      - .offset:         96
        .size:           8
        .value_kind:     hidden_global_offset_y
      - .offset:         104
        .size:           8
        .value_kind:     hidden_global_offset_z
      - .offset:         112
        .size:           2
        .value_kind:     hidden_grid_dims
    .group_segment_fixed_size: 0
    .kernarg_segment_align: 8
    .kernarg_segment_size: 304
    .language:       OpenCL C
    .language_version:
      - 2
      - 0
    .max_flat_workgroup_size: 1024
    .name:           _ZN9rocsolver6v33100L16syev_scalar_caseI19rocblas_complex_numIdEdPS3_TnNSt9enable_ifIX18rocblas_is_complexIT_EEiE4typeELi0EEEv14rocblas_evect_T1_lPT0_li
    .private_segment_fixed_size: 0
    .sgpr_count:     20
    .sgpr_spill_count: 0
    .symbol:         _ZN9rocsolver6v33100L16syev_scalar_caseI19rocblas_complex_numIdEdPS3_TnNSt9enable_ifIX18rocblas_is_complexIT_EEiE4typeELi0EEEv14rocblas_evect_T1_lPT0_li.kd
    .uniform_work_group_size: 1
    .uses_dynamic_stack: false
    .vgpr_count:     8
    .vgpr_spill_count: 0
    .wavefront_size: 64
  - .agpr_count:     0
    .args:
      - .offset:         0
        .size:           4
        .value_kind:     by_value
      - .offset:         4
        .size:           4
        .value_kind:     by_value
      - .offset:         8
        .size:           4
        .value_kind:     by_value
      - .offset:         12
        .size:           4
        .value_kind:     by_value
      - .address_space:  global
        .offset:         16
        .size:           8
        .value_kind:     global_buffer
      - .offset:         24
        .size:           4
        .value_kind:     by_value
      - .offset:         28
        .size:           4
        .value_kind:     by_value
      - .offset:         32
        .size:           8
        .value_kind:     by_value
      - .offset:         40
        .size:           8
        .value_kind:     by_value
      - .offset:         48
        .size:           8
        .value_kind:     by_value
      - .address_space:  global
        .offset:         56
        .size:           8
        .value_kind:     global_buffer
      - .offset:         64
        .size:           4
        .value_kind:     by_value
      - .address_space:  global
        .offset:         72
        .size:           8
        .value_kind:     global_buffer
      - .address_space:  global
        .offset:         80
        .size:           8
        .value_kind:     global_buffer
      - .offset:         88
        .size:           8
        .value_kind:     by_value
      - .address_space:  global
        .offset:         96
        .size:           8
        .value_kind:     global_buffer
      - .address_space:  global
        .offset:         104
        .size:           8
        .value_kind:     global_buffer
    .group_segment_fixed_size: 0
    .kernarg_segment_align: 8
    .kernarg_segment_size: 112
    .language:       OpenCL C
    .language_version:
      - 2
      - 0
    .max_flat_workgroup_size: 1024
    .name:           _ZN9rocsolver6v33100L18syevj_small_kernelI19rocblas_complex_numIdEdPS3_EEv14rocblas_esort_14rocblas_evect_13rocblas_fill_iT1_iilT0_S9_PS9_iPiSA_lSB_PT_
    .private_segment_fixed_size: 24
    .sgpr_count:     96
    .sgpr_spill_count: 0
    .symbol:         _ZN9rocsolver6v33100L18syevj_small_kernelI19rocblas_complex_numIdEdPS3_EEv14rocblas_esort_14rocblas_evect_13rocblas_fill_iT1_iilT0_S9_PS9_iPiSA_lSB_PT_.kd
    .uniform_work_group_size: 1
    .uses_dynamic_stack: false
    .vgpr_count:     60
    .vgpr_spill_count: 0
    .wavefront_size: 64
  - .agpr_count:     0
    .args:
      - .offset:         0
        .size:           4
        .value_kind:     by_value
      - .offset:         4
        .size:           4
        .value_kind:     by_value
      - .offset:         8
        .size:           4
        .value_kind:     by_value
      - .offset:         12
        .size:           4
        .value_kind:     by_value
      - .address_space:  global
        .offset:         16
        .size:           8
        .value_kind:     global_buffer
      - .offset:         24
        .size:           4
        .value_kind:     by_value
      - .offset:         28
        .size:           4
        .value_kind:     by_value
      - .offset:         32
        .size:           8
        .value_kind:     by_value
      - .offset:         40
        .size:           8
        .value_kind:     by_value
      - .address_space:  global
        .offset:         48
        .size:           8
        .value_kind:     global_buffer
      - .address_space:  global
        .offset:         56
        .size:           8
        .value_kind:     global_buffer
      - .address_space:  global
        .offset:         64
        .size:           8
        .value_kind:     global_buffer
      - .address_space:  global
        .offset:         72
        .size:           8
        .value_kind:     global_buffer
      - .address_space:  global
        .offset:         80
        .size:           8
        .value_kind:     global_buffer
      - .address_space:  global
        .offset:         88
        .size:           8
        .value_kind:     global_buffer
      - .offset:         96
        .size:           4
        .value_kind:     hidden_block_count_x
      - .offset:         100
        .size:           4
        .value_kind:     hidden_block_count_y
      - .offset:         104
        .size:           4
        .value_kind:     hidden_block_count_z
      - .offset:         108
        .size:           2
        .value_kind:     hidden_group_size_x
      - .offset:         110
        .size:           2
        .value_kind:     hidden_group_size_y
      - .offset:         112
        .size:           2
        .value_kind:     hidden_group_size_z
      - .offset:         114
        .size:           2
        .value_kind:     hidden_remainder_x
      - .offset:         116
        .size:           2
        .value_kind:     hidden_remainder_y
      - .offset:         118
        .size:           2
        .value_kind:     hidden_remainder_z
      - .offset:         136
        .size:           8
        .value_kind:     hidden_global_offset_x
      - .offset:         144
        .size:           8
        .value_kind:     hidden_global_offset_y
      - .offset:         152
        .size:           8
        .value_kind:     hidden_global_offset_z
      - .offset:         160
        .size:           2
        .value_kind:     hidden_grid_dims
      - .offset:         216
        .size:           4
        .value_kind:     hidden_dynamic_lds_size
    .group_segment_fixed_size: 0
    .kernarg_segment_align: 8
    .kernarg_segment_size: 352
    .language:       OpenCL C
    .language_version:
      - 2
      - 0
    .max_flat_workgroup_size: 1024
    .name:           _ZN9rocsolver6v33100L10syevj_initI19rocblas_complex_numIdEdPS3_EEv14rocblas_evect_13rocblas_fill_iiT1_iilT0_PS8_PT_S9_PiSC_SC_
    .private_segment_fixed_size: 0
    .sgpr_count:     61
    .sgpr_spill_count: 0
    .symbol:         _ZN9rocsolver6v33100L10syevj_initI19rocblas_complex_numIdEdPS3_EEv14rocblas_evect_13rocblas_fill_iiT1_iilT0_PS8_PT_S9_PiSC_SC_.kd
    .uniform_work_group_size: 1
    .uses_dynamic_stack: false
    .vgpr_count:     38
    .vgpr_spill_count: 0
    .wavefront_size: 64
  - .agpr_count:     0
    .args:
      - .offset:         0
        .size:           4
        .value_kind:     by_value
      - .address_space:  global
        .offset:         8
        .size:           8
        .value_kind:     global_buffer
      - .offset:         16
        .size:           4
        .value_kind:     by_value
      - .offset:         20
        .size:           4
        .value_kind:     by_value
      - .offset:         24
        .size:           8
        .value_kind:     by_value
      - .offset:         32
        .size:           8
        .value_kind:     by_value
      - .address_space:  global
        .offset:         40
        .size:           8
        .value_kind:     global_buffer
      - .address_space:  global
        .offset:         48
        .size:           8
        .value_kind:     global_buffer
      - .offset:         56
        .size:           4
        .value_kind:     hidden_block_count_x
      - .offset:         60
        .size:           4
        .value_kind:     hidden_block_count_y
      - .offset:         64
        .size:           4
        .value_kind:     hidden_block_count_z
      - .offset:         68
        .size:           2
        .value_kind:     hidden_group_size_x
      - .offset:         70
        .size:           2
        .value_kind:     hidden_group_size_y
      - .offset:         72
        .size:           2
        .value_kind:     hidden_group_size_z
      - .offset:         74
        .size:           2
        .value_kind:     hidden_remainder_x
      - .offset:         76
        .size:           2
        .value_kind:     hidden_remainder_y
      - .offset:         78
        .size:           2
        .value_kind:     hidden_remainder_z
      - .offset:         96
        .size:           8
        .value_kind:     hidden_global_offset_x
      - .offset:         104
        .size:           8
        .value_kind:     hidden_global_offset_y
      - .offset:         112
        .size:           8
        .value_kind:     hidden_global_offset_z
      - .offset:         120
        .size:           2
        .value_kind:     hidden_grid_dims
      - .offset:         176
        .size:           4
        .value_kind:     hidden_dynamic_lds_size
    .group_segment_fixed_size: 0
    .kernarg_segment_align: 8
    .kernarg_segment_size: 312
    .language:       OpenCL C
    .language_version:
      - 2
      - 0
    .max_flat_workgroup_size: 1024
    .name:           _ZN9rocsolver6v33100L17syevj_diag_kernelI19rocblas_complex_numIdEdPS3_EEviT1_iilT0_PT_Pi
    .private_segment_fixed_size: 0
    .sgpr_count:     44
    .sgpr_spill_count: 0
    .symbol:         _ZN9rocsolver6v33100L17syevj_diag_kernelI19rocblas_complex_numIdEdPS3_EEviT1_iilT0_PT_Pi.kd
    .uniform_work_group_size: 1
    .uses_dynamic_stack: false
    .vgpr_count:     52
    .vgpr_spill_count: 0
    .wavefront_size: 64
  - .agpr_count:     0
    .args:
      - .offset:         0
        .size:           1
        .value_kind:     by_value
      - .offset:         4
        .size:           4
        .value_kind:     by_value
      - .address_space:  global
        .offset:         8
        .size:           8
        .value_kind:     global_buffer
      - .offset:         16
        .size:           4
        .value_kind:     by_value
      - .offset:         20
        .size:           4
        .value_kind:     by_value
      - .offset:         24
        .size:           8
        .value_kind:     by_value
      - .address_space:  global
        .offset:         32
        .size:           8
        .value_kind:     global_buffer
      - .address_space:  global
        .offset:         40
        .size:           8
        .value_kind:     global_buffer
      - .offset:         48
        .size:           4
        .value_kind:     hidden_block_count_x
      - .offset:         52
        .size:           4
        .value_kind:     hidden_block_count_y
      - .offset:         56
        .size:           4
        .value_kind:     hidden_block_count_z
      - .offset:         60
        .size:           2
        .value_kind:     hidden_group_size_x
      - .offset:         62
        .size:           2
        .value_kind:     hidden_group_size_y
      - .offset:         64
        .size:           2
        .value_kind:     hidden_group_size_z
      - .offset:         66
        .size:           2
        .value_kind:     hidden_remainder_x
      - .offset:         68
        .size:           2
        .value_kind:     hidden_remainder_y
      - .offset:         70
        .size:           2
        .value_kind:     hidden_remainder_z
      - .offset:         88
        .size:           8
        .value_kind:     hidden_global_offset_x
      - .offset:         96
        .size:           8
        .value_kind:     hidden_global_offset_y
      - .offset:         104
        .size:           8
        .value_kind:     hidden_global_offset_z
      - .offset:         112
        .size:           2
        .value_kind:     hidden_grid_dims
    .group_segment_fixed_size: 0
    .kernarg_segment_align: 8
    .kernarg_segment_size: 304
    .language:       OpenCL C
    .language_version:
      - 2
      - 0
    .max_flat_workgroup_size: 1024
    .name:           _ZN9rocsolver6v33100L21syevj_diag_rotate_orgILb0E19rocblas_complex_numIdEdPS3_EEvbiT2_iilPT0_Pi
    .private_segment_fixed_size: 0
    .sgpr_count:     24
    .sgpr_spill_count: 0
    .symbol:         _ZN9rocsolver6v33100L21syevj_diag_rotate_orgILb0E19rocblas_complex_numIdEdPS3_EEvbiT2_iilPT0_Pi.kd
    .uniform_work_group_size: 1
    .uses_dynamic_stack: false
    .vgpr_count:     22
    .vgpr_spill_count: 0
    .wavefront_size: 64
  - .agpr_count:     0
    .args:
      - .offset:         0
        .size:           1
        .value_kind:     by_value
      - .offset:         4
        .size:           4
        .value_kind:     by_value
      - .address_space:  global
        .offset:         8
        .size:           8
        .value_kind:     global_buffer
      - .offset:         16
        .size:           4
        .value_kind:     by_value
      - .offset:         20
        .size:           4
        .value_kind:     by_value
      - .offset:         24
        .size:           8
        .value_kind:     by_value
      - .address_space:  global
        .offset:         32
        .size:           8
        .value_kind:     global_buffer
      - .address_space:  global
        .offset:         40
        .size:           8
        .value_kind:     global_buffer
      - .offset:         48
        .size:           4
        .value_kind:     hidden_block_count_x
      - .offset:         52
        .size:           4
        .value_kind:     hidden_block_count_y
      - .offset:         56
        .size:           4
        .value_kind:     hidden_block_count_z
      - .offset:         60
        .size:           2
        .value_kind:     hidden_group_size_x
      - .offset:         62
        .size:           2
        .value_kind:     hidden_group_size_y
      - .offset:         64
        .size:           2
        .value_kind:     hidden_group_size_z
      - .offset:         66
        .size:           2
        .value_kind:     hidden_remainder_x
      - .offset:         68
        .size:           2
        .value_kind:     hidden_remainder_y
      - .offset:         70
        .size:           2
        .value_kind:     hidden_remainder_z
      - .offset:         88
        .size:           8
        .value_kind:     hidden_global_offset_x
      - .offset:         96
        .size:           8
        .value_kind:     hidden_global_offset_y
      - .offset:         104
        .size:           8
        .value_kind:     hidden_global_offset_z
      - .offset:         112
        .size:           2
        .value_kind:     hidden_grid_dims
    .group_segment_fixed_size: 0
    .kernarg_segment_align: 8
    .kernarg_segment_size: 304
    .language:       OpenCL C
    .language_version:
      - 2
      - 0
    .max_flat_workgroup_size: 1024
    .name:           _ZN9rocsolver6v33100L21syevj_diag_rotate_orgILb1E19rocblas_complex_numIdEdPS3_EEvbiT2_iilPT0_Pi
    .private_segment_fixed_size: 0
    .sgpr_count:     24
    .sgpr_spill_count: 0
    .symbol:         _ZN9rocsolver6v33100L21syevj_diag_rotate_orgILb1E19rocblas_complex_numIdEdPS3_EEvbiT2_iilPT0_Pi.kd
    .uniform_work_group_size: 1
    .uses_dynamic_stack: false
    .vgpr_count:     22
    .vgpr_spill_count: 0
    .wavefront_size: 64
  - .agpr_count:     0
    .args:
      - .offset:         0
        .size:           1
        .value_kind:     by_value
      - .offset:         4
        .size:           4
        .value_kind:     by_value
      - .offset:         8
        .size:           4
        .value_kind:     by_value
      - .address_space:  global
        .offset:         16
        .size:           8
        .value_kind:     global_buffer
      - .offset:         24
        .size:           4
        .value_kind:     by_value
      - .offset:         28
        .size:           4
        .value_kind:     by_value
      - .offset:         32
        .size:           8
        .value_kind:     by_value
      - .address_space:  global
        .offset:         40
        .size:           8
        .value_kind:     global_buffer
      - .address_space:  global
        .offset:         48
        .size:           8
        .value_kind:     global_buffer
      - .offset:         56
        .size:           4
        .value_kind:     by_value
      - .offset:         64
        .size:           4
        .value_kind:     hidden_block_count_x
      - .offset:         68
        .size:           4
        .value_kind:     hidden_block_count_y
      - .offset:         72
        .size:           4
        .value_kind:     hidden_block_count_z
      - .offset:         76
        .size:           2
        .value_kind:     hidden_group_size_x
      - .offset:         78
        .size:           2
        .value_kind:     hidden_group_size_y
      - .offset:         80
        .size:           2
        .value_kind:     hidden_group_size_z
      - .offset:         82
        .size:           2
        .value_kind:     hidden_remainder_x
      - .offset:         84
        .size:           2
        .value_kind:     hidden_remainder_y
      - .offset:         86
        .size:           2
        .value_kind:     hidden_remainder_z
      - .offset:         104
        .size:           8
        .value_kind:     hidden_global_offset_x
      - .offset:         112
        .size:           8
        .value_kind:     hidden_global_offset_y
      - .offset:         120
        .size:           8
        .value_kind:     hidden_global_offset_z
      - .offset:         128
        .size:           2
        .value_kind:     hidden_grid_dims
      - .offset:         144
        .size:           8
        .value_kind:     hidden_hostcall_buffer
      - .offset:         184
        .size:           4
        .value_kind:     hidden_dynamic_lds_size
    .group_segment_fixed_size: 0
    .kernarg_segment_align: 8
    .kernarg_segment_size: 320
    .language:       OpenCL C
    .language_version:
      - 2
      - 0
    .max_flat_workgroup_size: 1024
    .name:           _ZN9rocsolver6v33100L17syevj_diag_rotateILb0E19rocblas_complex_numIdEdPS3_EEvbiiT2_iilPT0_Pii
    .private_segment_fixed_size: 64
    .sgpr_count:     81
    .sgpr_spill_count: 0
    .symbol:         _ZN9rocsolver6v33100L17syevj_diag_rotateILb0E19rocblas_complex_numIdEdPS3_EEvbiiT2_iilPT0_Pii.kd
    .uniform_work_group_size: 1
    .uses_dynamic_stack: false
    .vgpr_count:     42
    .vgpr_spill_count: 0
    .wavefront_size: 64
  - .agpr_count:     0
    .args:
      - .offset:         0
        .size:           1
        .value_kind:     by_value
      - .offset:         4
        .size:           4
        .value_kind:     by_value
      - .offset:         8
        .size:           4
        .value_kind:     by_value
      - .address_space:  global
        .offset:         16
        .size:           8
        .value_kind:     global_buffer
      - .offset:         24
        .size:           4
        .value_kind:     by_value
      - .offset:         28
        .size:           4
        .value_kind:     by_value
      - .offset:         32
        .size:           8
        .value_kind:     by_value
      - .address_space:  global
        .offset:         40
        .size:           8
        .value_kind:     global_buffer
      - .address_space:  global
        .offset:         48
        .size:           8
        .value_kind:     global_buffer
      - .offset:         56
        .size:           4
        .value_kind:     by_value
      - .offset:         64
        .size:           4
        .value_kind:     hidden_block_count_x
      - .offset:         68
        .size:           4
        .value_kind:     hidden_block_count_y
      - .offset:         72
        .size:           4
        .value_kind:     hidden_block_count_z
      - .offset:         76
        .size:           2
        .value_kind:     hidden_group_size_x
      - .offset:         78
        .size:           2
        .value_kind:     hidden_group_size_y
      - .offset:         80
        .size:           2
        .value_kind:     hidden_group_size_z
      - .offset:         82
        .size:           2
        .value_kind:     hidden_remainder_x
      - .offset:         84
        .size:           2
        .value_kind:     hidden_remainder_y
      - .offset:         86
        .size:           2
        .value_kind:     hidden_remainder_z
      - .offset:         104
        .size:           8
        .value_kind:     hidden_global_offset_x
      - .offset:         112
        .size:           8
        .value_kind:     hidden_global_offset_y
      - .offset:         120
        .size:           8
        .value_kind:     hidden_global_offset_z
      - .offset:         128
        .size:           2
        .value_kind:     hidden_grid_dims
      - .offset:         144
        .size:           8
        .value_kind:     hidden_hostcall_buffer
      - .offset:         184
        .size:           4
        .value_kind:     hidden_dynamic_lds_size
    .group_segment_fixed_size: 0
    .kernarg_segment_align: 8
    .kernarg_segment_size: 320
    .language:       OpenCL C
    .language_version:
      - 2
      - 0
    .max_flat_workgroup_size: 1024
    .name:           _ZN9rocsolver6v33100L17syevj_diag_rotateILb1E19rocblas_complex_numIdEdPS3_EEvbiiT2_iilPT0_Pii
    .private_segment_fixed_size: 64
    .sgpr_count:     80
    .sgpr_spill_count: 0
    .symbol:         _ZN9rocsolver6v33100L17syevj_diag_rotateILb1E19rocblas_complex_numIdEdPS3_EEvbiiT2_iilPT0_Pii.kd
    .uniform_work_group_size: 1
    .uses_dynamic_stack: false
    .vgpr_count:     42
    .vgpr_spill_count: 0
    .wavefront_size: 64
  - .agpr_count:     0
    .args:
      - .offset:         0
        .size:           4
        .value_kind:     by_value
      - .offset:         4
        .size:           4
        .value_kind:     by_value
      - .address_space:  global
        .offset:         8
        .size:           8
        .value_kind:     global_buffer
      - .offset:         16
        .size:           4
        .value_kind:     by_value
      - .offset:         20
        .size:           4
        .value_kind:     by_value
      - .offset:         24
        .size:           8
        .value_kind:     by_value
      - .offset:         32
        .size:           8
        .value_kind:     by_value
      - .address_space:  global
        .offset:         40
        .size:           8
        .value_kind:     global_buffer
      - .address_space:  global
        .offset:         48
        .size:           8
        .value_kind:     global_buffer
      - .address_space:  global
        .offset:         56
        .size:           8
        .value_kind:     global_buffer
      - .address_space:  global
        .offset:         64
        .size:           8
        .value_kind:     global_buffer
      - .offset:         72
        .size:           4
        .value_kind:     hidden_block_count_x
      - .offset:         76
        .size:           4
        .value_kind:     hidden_block_count_y
      - .offset:         80
        .size:           4
        .value_kind:     hidden_block_count_z
      - .offset:         84
        .size:           2
        .value_kind:     hidden_group_size_x
      - .offset:         86
        .size:           2
        .value_kind:     hidden_group_size_y
      - .offset:         88
        .size:           2
        .value_kind:     hidden_group_size_z
      - .offset:         90
        .size:           2
        .value_kind:     hidden_remainder_x
      - .offset:         92
        .size:           2
        .value_kind:     hidden_remainder_y
      - .offset:         94
        .size:           2
        .value_kind:     hidden_remainder_z
      - .offset:         112
        .size:           8
        .value_kind:     hidden_global_offset_x
      - .offset:         120
        .size:           8
        .value_kind:     hidden_global_offset_y
      - .offset:         128
        .size:           8
        .value_kind:     hidden_global_offset_z
      - .offset:         136
        .size:           2
        .value_kind:     hidden_grid_dims
      - .offset:         192
        .size:           4
        .value_kind:     hidden_dynamic_lds_size
    .group_segment_fixed_size: 0
    .kernarg_segment_align: 8
    .kernarg_segment_size: 328
    .language:       OpenCL C
    .language_version:
      - 2
      - 0
    .max_flat_workgroup_size: 1024
    .name:           _ZN9rocsolver6v33100L21syevj_offd_kernel_orgI19rocblas_complex_numIdEdPS3_EEviiT1_iilT0_PT_PiS9_S9_
    .private_segment_fixed_size: 0
    .sgpr_count:     44
    .sgpr_spill_count: 0
    .symbol:         _ZN9rocsolver6v33100L21syevj_offd_kernel_orgI19rocblas_complex_numIdEdPS3_EEviiT1_iilT0_PT_PiS9_S9_.kd
    .uniform_work_group_size: 1
    .uses_dynamic_stack: false
    .vgpr_count:     68
    .vgpr_spill_count: 0
    .wavefront_size: 64
  - .agpr_count:     0
    .args:
      - .offset:         0
        .size:           4
        .value_kind:     by_value
      - .offset:         4
        .size:           4
        .value_kind:     by_value
      - .address_space:  global
        .offset:         8
        .size:           8
        .value_kind:     global_buffer
      - .offset:         16
        .size:           4
        .value_kind:     by_value
      - .offset:         20
        .size:           4
        .value_kind:     by_value
      - .offset:         24
        .size:           8
        .value_kind:     by_value
      - .offset:         32
        .size:           8
        .value_kind:     by_value
      - .address_space:  global
        .offset:         40
        .size:           8
        .value_kind:     global_buffer
      - .address_space:  global
        .offset:         48
        .size:           8
        .value_kind:     global_buffer
      - .address_space:  global
        .offset:         56
        .size:           8
        .value_kind:     global_buffer
      - .address_space:  global
        .offset:         64
        .size:           8
        .value_kind:     global_buffer
      - .offset:         72
        .size:           4
        .value_kind:     by_value
      - .offset:         80
        .size:           4
        .value_kind:     hidden_block_count_x
      - .offset:         84
        .size:           4
        .value_kind:     hidden_block_count_y
      - .offset:         88
        .size:           4
        .value_kind:     hidden_block_count_z
      - .offset:         92
        .size:           2
        .value_kind:     hidden_group_size_x
      - .offset:         94
        .size:           2
        .value_kind:     hidden_group_size_y
      - .offset:         96
        .size:           2
        .value_kind:     hidden_group_size_z
      - .offset:         98
        .size:           2
        .value_kind:     hidden_remainder_x
      - .offset:         100
        .size:           2
        .value_kind:     hidden_remainder_y
      - .offset:         102
        .size:           2
        .value_kind:     hidden_remainder_z
      - .offset:         120
        .size:           8
        .value_kind:     hidden_global_offset_x
      - .offset:         128
        .size:           8
        .value_kind:     hidden_global_offset_y
      - .offset:         136
        .size:           8
        .value_kind:     hidden_global_offset_z
      - .offset:         144
        .size:           2
        .value_kind:     hidden_grid_dims
      - .offset:         200
        .size:           4
        .value_kind:     hidden_dynamic_lds_size
    .group_segment_fixed_size: 0
    .kernarg_segment_align: 8
    .kernarg_segment_size: 336
    .language:       OpenCL C
    .language_version:
      - 2
      - 0
    .max_flat_workgroup_size: 1024
    .name:           _ZN9rocsolver6v33100L17syevj_offd_kernelI19rocblas_complex_numIdEdPS3_EEviiT1_iilT0_PT_PiS9_S9_i
    .private_segment_fixed_size: 0
    .sgpr_count:     92
    .sgpr_spill_count: 0
    .symbol:         _ZN9rocsolver6v33100L17syevj_offd_kernelI19rocblas_complex_numIdEdPS3_EEviiT1_iilT0_PT_PiS9_S9_i.kd
    .uniform_work_group_size: 1
    .uses_dynamic_stack: false
    .vgpr_count:     62
    .vgpr_spill_count: 0
    .wavefront_size: 64
  - .agpr_count:     0
    .args:
      - .offset:         0
        .size:           1
        .value_kind:     by_value
      - .offset:         4
        .size:           4
        .value_kind:     by_value
      - .offset:         8
        .size:           4
        .value_kind:     by_value
      - .address_space:  global
        .offset:         16
        .size:           8
        .value_kind:     global_buffer
      - .offset:         24
        .size:           4
        .value_kind:     by_value
      - .offset:         28
        .size:           4
        .value_kind:     by_value
      - .offset:         32
        .size:           8
        .value_kind:     by_value
      - .address_space:  global
        .offset:         40
        .size:           8
        .value_kind:     global_buffer
      - .address_space:  global
        .offset:         48
        .size:           8
        .value_kind:     global_buffer
      - .address_space:  global
        .offset:         56
        .size:           8
        .value_kind:     global_buffer
      - .address_space:  global
        .offset:         64
        .size:           8
        .value_kind:     global_buffer
      - .offset:         72
        .size:           4
        .value_kind:     hidden_block_count_x
      - .offset:         76
        .size:           4
        .value_kind:     hidden_block_count_y
      - .offset:         80
        .size:           4
        .value_kind:     hidden_block_count_z
      - .offset:         84
        .size:           2
        .value_kind:     hidden_group_size_x
      - .offset:         86
        .size:           2
        .value_kind:     hidden_group_size_y
      - .offset:         88
        .size:           2
        .value_kind:     hidden_group_size_z
      - .offset:         90
        .size:           2
        .value_kind:     hidden_remainder_x
      - .offset:         92
        .size:           2
        .value_kind:     hidden_remainder_y
      - .offset:         94
        .size:           2
        .value_kind:     hidden_remainder_z
      - .offset:         112
        .size:           8
        .value_kind:     hidden_global_offset_x
      - .offset:         120
        .size:           8
        .value_kind:     hidden_global_offset_y
      - .offset:         128
        .size:           8
        .value_kind:     hidden_global_offset_z
      - .offset:         136
        .size:           2
        .value_kind:     hidden_grid_dims
    .group_segment_fixed_size: 0
    .kernarg_segment_align: 8
    .kernarg_segment_size: 328
    .language:       OpenCL C
    .language_version:
      - 2
      - 0
    .max_flat_workgroup_size: 1024
    .name:           _ZN9rocsolver6v33100L21syevj_offd_rotate_orgILb0E19rocblas_complex_numIdEdPS3_EEvbiiT2_iilPT0_PiS8_S8_
    .private_segment_fixed_size: 0
    .sgpr_count:     26
    .sgpr_spill_count: 0
    .symbol:         _ZN9rocsolver6v33100L21syevj_offd_rotate_orgILb0E19rocblas_complex_numIdEdPS3_EEvbiiT2_iilPT0_PiS8_S8_.kd
    .uniform_work_group_size: 1
    .uses_dynamic_stack: false
    .vgpr_count:     26
    .vgpr_spill_count: 0
    .wavefront_size: 64
  - .agpr_count:     0
    .args:
      - .offset:         0
        .size:           1
        .value_kind:     by_value
      - .offset:         4
        .size:           4
        .value_kind:     by_value
      - .offset:         8
        .size:           4
        .value_kind:     by_value
      - .address_space:  global
        .offset:         16
        .size:           8
        .value_kind:     global_buffer
      - .offset:         24
        .size:           4
        .value_kind:     by_value
      - .offset:         28
        .size:           4
        .value_kind:     by_value
      - .offset:         32
        .size:           8
        .value_kind:     by_value
      - .address_space:  global
        .offset:         40
        .size:           8
        .value_kind:     global_buffer
      - .address_space:  global
        .offset:         48
        .size:           8
        .value_kind:     global_buffer
      - .address_space:  global
        .offset:         56
        .size:           8
        .value_kind:     global_buffer
      - .address_space:  global
        .offset:         64
        .size:           8
        .value_kind:     global_buffer
      - .offset:         72
        .size:           4
        .value_kind:     by_value
      - .offset:         80
        .size:           4
        .value_kind:     hidden_block_count_x
      - .offset:         84
        .size:           4
        .value_kind:     hidden_block_count_y
      - .offset:         88
        .size:           4
        .value_kind:     hidden_block_count_z
      - .offset:         92
        .size:           2
        .value_kind:     hidden_group_size_x
      - .offset:         94
        .size:           2
        .value_kind:     hidden_group_size_y
      - .offset:         96
        .size:           2
        .value_kind:     hidden_group_size_z
      - .offset:         98
        .size:           2
        .value_kind:     hidden_remainder_x
      - .offset:         100
        .size:           2
        .value_kind:     hidden_remainder_y
      - .offset:         102
        .size:           2
        .value_kind:     hidden_remainder_z
      - .offset:         120
        .size:           8
        .value_kind:     hidden_global_offset_x
      - .offset:         128
        .size:           8
        .value_kind:     hidden_global_offset_y
      - .offset:         136
        .size:           8
        .value_kind:     hidden_global_offset_z
      - .offset:         144
        .size:           2
        .value_kind:     hidden_grid_dims
      - .offset:         200
        .size:           4
        .value_kind:     hidden_dynamic_lds_size
    .group_segment_fixed_size: 0
    .kernarg_segment_align: 8
    .kernarg_segment_size: 336
    .language:       OpenCL C
    .language_version:
      - 2
      - 0
    .max_flat_workgroup_size: 1024
    .name:           _ZN9rocsolver6v33100L17syevj_offd_rotateILb0E19rocblas_complex_numIdEdPS3_EEvbiiT2_iilPT0_PiS8_S8_i
    .private_segment_fixed_size: 0
    .sgpr_count:     85
    .sgpr_spill_count: 0
    .symbol:         _ZN9rocsolver6v33100L17syevj_offd_rotateILb0E19rocblas_complex_numIdEdPS3_EEvbiiT2_iilPT0_PiS8_S8_i.kd
    .uniform_work_group_size: 1
    .uses_dynamic_stack: false
    .vgpr_count:     30
    .vgpr_spill_count: 0
    .wavefront_size: 64
  - .agpr_count:     0
    .args:
      - .offset:         0
        .size:           1
        .value_kind:     by_value
      - .offset:         4
        .size:           4
        .value_kind:     by_value
      - .offset:         8
        .size:           4
        .value_kind:     by_value
      - .address_space:  global
        .offset:         16
        .size:           8
        .value_kind:     global_buffer
      - .offset:         24
        .size:           4
        .value_kind:     by_value
      - .offset:         28
        .size:           4
        .value_kind:     by_value
      - .offset:         32
        .size:           8
        .value_kind:     by_value
      - .address_space:  global
        .offset:         40
        .size:           8
        .value_kind:     global_buffer
      - .address_space:  global
        .offset:         48
        .size:           8
        .value_kind:     global_buffer
      - .address_space:  global
        .offset:         56
        .size:           8
        .value_kind:     global_buffer
      - .address_space:  global
        .offset:         64
        .size:           8
        .value_kind:     global_buffer
      - .offset:         72
        .size:           4
        .value_kind:     hidden_block_count_x
      - .offset:         76
        .size:           4
        .value_kind:     hidden_block_count_y
      - .offset:         80
        .size:           4
        .value_kind:     hidden_block_count_z
      - .offset:         84
        .size:           2
        .value_kind:     hidden_group_size_x
      - .offset:         86
        .size:           2
        .value_kind:     hidden_group_size_y
      - .offset:         88
        .size:           2
        .value_kind:     hidden_group_size_z
      - .offset:         90
        .size:           2
        .value_kind:     hidden_remainder_x
      - .offset:         92
        .size:           2
        .value_kind:     hidden_remainder_y
      - .offset:         94
        .size:           2
        .value_kind:     hidden_remainder_z
      - .offset:         112
        .size:           8
        .value_kind:     hidden_global_offset_x
      - .offset:         120
        .size:           8
        .value_kind:     hidden_global_offset_y
      - .offset:         128
        .size:           8
        .value_kind:     hidden_global_offset_z
      - .offset:         136
        .size:           2
        .value_kind:     hidden_grid_dims
    .group_segment_fixed_size: 0
    .kernarg_segment_align: 8
    .kernarg_segment_size: 328
    .language:       OpenCL C
    .language_version:
      - 2
      - 0
    .max_flat_workgroup_size: 1024
    .name:           _ZN9rocsolver6v33100L21syevj_offd_rotate_orgILb1E19rocblas_complex_numIdEdPS3_EEvbiiT2_iilPT0_PiS8_S8_
    .private_segment_fixed_size: 0
    .sgpr_count:     26
    .sgpr_spill_count: 0
    .symbol:         _ZN9rocsolver6v33100L21syevj_offd_rotate_orgILb1E19rocblas_complex_numIdEdPS3_EEvbiiT2_iilPT0_PiS8_S8_.kd
    .uniform_work_group_size: 1
    .uses_dynamic_stack: false
    .vgpr_count:     24
    .vgpr_spill_count: 0
    .wavefront_size: 64
  - .agpr_count:     0
    .args:
      - .offset:         0
        .size:           1
        .value_kind:     by_value
      - .offset:         4
        .size:           4
        .value_kind:     by_value
      - .offset:         8
        .size:           4
        .value_kind:     by_value
      - .address_space:  global
        .offset:         16
        .size:           8
        .value_kind:     global_buffer
      - .offset:         24
        .size:           4
        .value_kind:     by_value
      - .offset:         28
        .size:           4
        .value_kind:     by_value
      - .offset:         32
        .size:           8
        .value_kind:     by_value
      - .address_space:  global
        .offset:         40
        .size:           8
        .value_kind:     global_buffer
      - .address_space:  global
        .offset:         48
        .size:           8
        .value_kind:     global_buffer
      - .address_space:  global
        .offset:         56
        .size:           8
        .value_kind:     global_buffer
      - .address_space:  global
        .offset:         64
        .size:           8
        .value_kind:     global_buffer
      - .offset:         72
        .size:           4
        .value_kind:     by_value
      - .offset:         80
        .size:           4
        .value_kind:     hidden_block_count_x
      - .offset:         84
        .size:           4
        .value_kind:     hidden_block_count_y
      - .offset:         88
        .size:           4
        .value_kind:     hidden_block_count_z
      - .offset:         92
        .size:           2
        .value_kind:     hidden_group_size_x
      - .offset:         94
        .size:           2
        .value_kind:     hidden_group_size_y
      - .offset:         96
        .size:           2
        .value_kind:     hidden_group_size_z
      - .offset:         98
        .size:           2
        .value_kind:     hidden_remainder_x
      - .offset:         100
        .size:           2
        .value_kind:     hidden_remainder_y
      - .offset:         102
        .size:           2
        .value_kind:     hidden_remainder_z
      - .offset:         120
        .size:           8
        .value_kind:     hidden_global_offset_x
      - .offset:         128
        .size:           8
        .value_kind:     hidden_global_offset_y
      - .offset:         136
        .size:           8
        .value_kind:     hidden_global_offset_z
      - .offset:         144
        .size:           2
        .value_kind:     hidden_grid_dims
      - .offset:         200
        .size:           4
        .value_kind:     hidden_dynamic_lds_size
    .group_segment_fixed_size: 0
    .kernarg_segment_align: 8
    .kernarg_segment_size: 336
    .language:       OpenCL C
    .language_version:
      - 2
      - 0
    .max_flat_workgroup_size: 1024
    .name:           _ZN9rocsolver6v33100L17syevj_offd_rotateILb1E19rocblas_complex_numIdEdPS3_EEvbiiT2_iilPT0_PiS8_S8_i
    .private_segment_fixed_size: 0
    .sgpr_count:     82
    .sgpr_spill_count: 0
    .symbol:         _ZN9rocsolver6v33100L17syevj_offd_rotateILb1E19rocblas_complex_numIdEdPS3_EEvbiiT2_iilPT0_PiS8_S8_i.kd
    .uniform_work_group_size: 1
    .uses_dynamic_stack: false
    .vgpr_count:     30
    .vgpr_spill_count: 0
    .wavefront_size: 64
  - .agpr_count:     0
    .args:
      - .offset:         0
        .size:           4
        .value_kind:     by_value
      - .address_space:  global
        .offset:         8
        .size:           8
        .value_kind:     global_buffer
      - .address_space:  global
        .offset:         16
        .size:           8
        .value_kind:     global_buffer
      - .offset:         24
        .size:           4
        .value_kind:     hidden_block_count_x
      - .offset:         28
        .size:           4
        .value_kind:     hidden_block_count_y
      - .offset:         32
        .size:           4
        .value_kind:     hidden_block_count_z
      - .offset:         36
        .size:           2
        .value_kind:     hidden_group_size_x
      - .offset:         38
        .size:           2
        .value_kind:     hidden_group_size_y
      - .offset:         40
        .size:           2
        .value_kind:     hidden_group_size_z
      - .offset:         42
        .size:           2
        .value_kind:     hidden_remainder_x
      - .offset:         44
        .size:           2
        .value_kind:     hidden_remainder_y
      - .offset:         46
        .size:           2
        .value_kind:     hidden_remainder_z
      - .offset:         64
        .size:           8
        .value_kind:     hidden_global_offset_x
      - .offset:         72
        .size:           8
        .value_kind:     hidden_global_offset_y
      - .offset:         80
        .size:           8
        .value_kind:     hidden_global_offset_z
      - .offset:         88
        .size:           2
        .value_kind:     hidden_grid_dims
    .group_segment_fixed_size: 0
    .kernarg_segment_align: 8
    .kernarg_segment_size: 280
    .language:       OpenCL C
    .language_version:
      - 2
      - 0
    .max_flat_workgroup_size: 1024
    .name:           _ZN9rocsolver6v33100L17syevj_cycle_pairsI19rocblas_complex_numIdEEEviPiS4_
    .private_segment_fixed_size: 0
    .sgpr_count:     20
    .sgpr_spill_count: 0
    .symbol:         _ZN9rocsolver6v33100L17syevj_cycle_pairsI19rocblas_complex_numIdEEEviPiS4_.kd
    .uniform_work_group_size: 1
    .uses_dynamic_stack: false
    .vgpr_count:     12
    .vgpr_spill_count: 0
    .wavefront_size: 64
  - .agpr_count:     0
    .args:
      - .offset:         0
        .size:           4
        .value_kind:     by_value
      - .offset:         4
        .size:           4
        .value_kind:     by_value
      - .address_space:  global
        .offset:         8
        .size:           8
        .value_kind:     global_buffer
      - .address_space:  global
        .offset:         16
        .size:           8
        .value_kind:     global_buffer
      - .address_space:  global
        .offset:         24
        .size:           8
        .value_kind:     global_buffer
      - .address_space:  global
        .offset:         32
        .size:           8
        .value_kind:     global_buffer
      - .offset:         40
        .size:           4
        .value_kind:     hidden_block_count_x
      - .offset:         44
        .size:           4
        .value_kind:     hidden_block_count_y
      - .offset:         48
        .size:           4
        .value_kind:     hidden_block_count_z
      - .offset:         52
        .size:           2
        .value_kind:     hidden_group_size_x
      - .offset:         54
        .size:           2
        .value_kind:     hidden_group_size_y
      - .offset:         56
        .size:           2
        .value_kind:     hidden_group_size_z
      - .offset:         58
        .size:           2
        .value_kind:     hidden_remainder_x
      - .offset:         60
        .size:           2
        .value_kind:     hidden_remainder_y
      - .offset:         62
        .size:           2
        .value_kind:     hidden_remainder_z
      - .offset:         80
        .size:           8
        .value_kind:     hidden_global_offset_x
      - .offset:         88
        .size:           8
        .value_kind:     hidden_global_offset_y
      - .offset:         96
        .size:           8
        .value_kind:     hidden_global_offset_z
      - .offset:         104
        .size:           2
        .value_kind:     hidden_grid_dims
      - .offset:         160
        .size:           4
        .value_kind:     hidden_dynamic_lds_size
    .group_segment_fixed_size: 0
    .kernarg_segment_align: 8
    .kernarg_segment_size: 296
    .language:       OpenCL C
    .language_version:
      - 2
      - 0
    .max_flat_workgroup_size: 1024
    .name:           _ZN9rocsolver6v33100L15syevj_calc_normI19rocblas_complex_numIdEdEEviiPT0_PT_S5_Pi
    .private_segment_fixed_size: 0
    .sgpr_count:     28
    .sgpr_spill_count: 0
    .symbol:         _ZN9rocsolver6v33100L15syevj_calc_normI19rocblas_complex_numIdEdEEviiPT0_PT_S5_Pi.kd
    .uniform_work_group_size: 1
    .uses_dynamic_stack: false
    .vgpr_count:     20
    .vgpr_spill_count: 0
    .wavefront_size: 64
  - .agpr_count:     0
    .args:
      - .offset:         0
        .size:           4
        .value_kind:     by_value
      - .offset:         4
        .size:           4
        .value_kind:     by_value
      - .offset:         8
        .size:           4
        .value_kind:     by_value
      - .address_space:  global
        .offset:         16
        .size:           8
        .value_kind:     global_buffer
      - .offset:         24
        .size:           4
        .value_kind:     by_value
      - .offset:         28
        .size:           4
        .value_kind:     by_value
      - .offset:         32
        .size:           8
        .value_kind:     by_value
      - .address_space:  global
        .offset:         40
        .size:           8
        .value_kind:     global_buffer
      - .offset:         48
        .size:           4
        .value_kind:     by_value
      - .address_space:  global
        .offset:         56
        .size:           8
        .value_kind:     global_buffer
      - .address_space:  global
        .offset:         64
        .size:           8
        .value_kind:     global_buffer
      - .offset:         72
        .size:           8
        .value_kind:     by_value
      - .address_space:  global
        .offset:         80
        .size:           8
        .value_kind:     global_buffer
      - .address_space:  global
        .offset:         88
        .size:           8
        .value_kind:     global_buffer
      - .address_space:  global
        .offset:         96
        .size:           8
        .value_kind:     global_buffer
      - .offset:         104
        .size:           4
        .value_kind:     hidden_block_count_x
      - .offset:         108
        .size:           4
        .value_kind:     hidden_block_count_y
      - .offset:         112
        .size:           4
        .value_kind:     hidden_block_count_z
      - .offset:         116
        .size:           2
        .value_kind:     hidden_group_size_x
      - .offset:         118
        .size:           2
        .value_kind:     hidden_group_size_y
      - .offset:         120
        .size:           2
        .value_kind:     hidden_group_size_z
      - .offset:         122
        .size:           2
        .value_kind:     hidden_remainder_x
      - .offset:         124
        .size:           2
        .value_kind:     hidden_remainder_y
      - .offset:         126
        .size:           2
        .value_kind:     hidden_remainder_z
      - .offset:         144
        .size:           8
        .value_kind:     hidden_global_offset_x
      - .offset:         152
        .size:           8
        .value_kind:     hidden_global_offset_y
      - .offset:         160
        .size:           8
        .value_kind:     hidden_global_offset_z
      - .offset:         168
        .size:           2
        .value_kind:     hidden_grid_dims
    .group_segment_fixed_size: 16384
    .kernarg_segment_align: 8
    .kernarg_segment_size: 360
    .language:       OpenCL C
    .language_version:
      - 2
      - 0
    .max_flat_workgroup_size: 1024
    .name:           _ZN9rocsolver6v33100L14syevj_finalizeI19rocblas_complex_numIdEdPS3_EEv14rocblas_esort_14rocblas_evect_iT1_iilPT0_iPiS9_lSA_PT_SA_
    .private_segment_fixed_size: 0
    .sgpr_count:     34
    .sgpr_spill_count: 0
    .symbol:         _ZN9rocsolver6v33100L14syevj_finalizeI19rocblas_complex_numIdEdPS3_EEv14rocblas_esort_14rocblas_evect_iT1_iilPT0_iPiS9_lSA_PT_SA_.kd
    .uniform_work_group_size: 1
    .uses_dynamic_stack: false
    .vgpr_count:     18
    .vgpr_spill_count: 0
    .wavefront_size: 64
  - .agpr_count:     0
    .args:
      - .offset:         0
        .size:           4
        .value_kind:     by_value
      - .offset:         4
        .size:           4
        .value_kind:     by_value
      - .address_space:  global
        .offset:         8
        .size:           8
        .value_kind:     global_buffer
      - .offset:         16
        .size:           8
        .value_kind:     by_value
      - .offset:         24
        .size:           4
        .value_kind:     by_value
      - .offset:         32
        .size:           8
        .value_kind:     by_value
      - .address_space:  global
        .offset:         40
        .size:           8
        .value_kind:     global_buffer
      - .offset:         48
        .size:           8
        .value_kind:     by_value
      - .address_space:  global
        .offset:         56
        .size:           8
        .value_kind:     global_buffer
      - .offset:         64
        .size:           8
        .value_kind:     by_value
    .group_segment_fixed_size: 0
    .kernarg_segment_align: 8
    .kernarg_segment_size: 72
    .language:       OpenCL C
    .language_version:
      - 2
      - 0
    .max_flat_workgroup_size: 256
    .name:           _ZN9rocsolver6v33100L18geqr2_kernel_smallILi256E19rocblas_complex_numIdEidPS3_EEvT1_S5_T3_lS5_lPT2_lPT0_l
    .private_segment_fixed_size: 0
    .sgpr_count:     56
    .sgpr_spill_count: 0
    .symbol:         _ZN9rocsolver6v33100L18geqr2_kernel_smallILi256E19rocblas_complex_numIdEidPS3_EEvT1_S5_T3_lS5_lPT2_lPT0_l.kd
    .uniform_work_group_size: 1
    .uses_dynamic_stack: false
    .vgpr_count:     40
    .vgpr_spill_count: 0
    .wavefront_size: 64
  - .agpr_count:     0
    .args:
      - .address_space:  global
        .offset:         0
        .size:           8
        .value_kind:     global_buffer
      - .offset:         8
        .size:           8
        .value_kind:     by_value
      - .offset:         16
        .size:           4
        .value_kind:     by_value
      - .offset:         20
        .size:           4
        .value_kind:     by_value
      - .offset:         24
        .size:           4
        .value_kind:     hidden_block_count_x
      - .offset:         28
        .size:           4
        .value_kind:     hidden_block_count_y
      - .offset:         32
        .size:           4
        .value_kind:     hidden_block_count_z
      - .offset:         36
        .size:           2
        .value_kind:     hidden_group_size_x
      - .offset:         38
        .size:           2
        .value_kind:     hidden_group_size_y
      - .offset:         40
        .size:           2
        .value_kind:     hidden_group_size_z
      - .offset:         42
        .size:           2
        .value_kind:     hidden_remainder_x
      - .offset:         44
        .size:           2
        .value_kind:     hidden_remainder_y
      - .offset:         46
        .size:           2
        .value_kind:     hidden_remainder_z
      - .offset:         64
        .size:           8
        .value_kind:     hidden_global_offset_x
      - .offset:         72
        .size:           8
        .value_kind:     hidden_global_offset_y
      - .offset:         80
        .size:           8
        .value_kind:     hidden_global_offset_z
      - .offset:         88
        .size:           2
        .value_kind:     hidden_grid_dims
    .group_segment_fixed_size: 0
    .kernarg_segment_align: 8
    .kernarg_segment_size: 280
    .language:       OpenCL C
    .language_version:
      - 2
      - 0
    .max_flat_workgroup_size: 1024
    .name:           _ZN9rocsolver6v33100L16reset_batch_infoI19rocblas_complex_numIdEiiPS3_EEvT2_lT0_T1_
    .private_segment_fixed_size: 0
    .sgpr_count:     16
    .sgpr_spill_count: 0
    .symbol:         _ZN9rocsolver6v33100L16reset_batch_infoI19rocblas_complex_numIdEiiPS3_EEvT2_lT0_T1_.kd
    .uniform_work_group_size: 1
    .uses_dynamic_stack: false
    .vgpr_count:     6
    .vgpr_spill_count: 0
    .wavefront_size: 64
  - .agpr_count:     0
    .args:
      - .address_space:  global
        .offset:         0
        .size:           8
        .value_kind:     global_buffer
      - .offset:         8
        .size:           8
        .value_kind:     by_value
      - .offset:         16
        .size:           8
        .value_kind:     by_value
      - .address_space:  global
        .offset:         24
        .size:           8
        .value_kind:     global_buffer
      - .offset:         32
        .size:           8
        .value_kind:     by_value
      - .offset:         40
        .size:           4
        .value_kind:     by_value
      - .offset:         48
        .size:           8
        .value_kind:     by_value
      - .offset:         56
        .size:           4
        .value_kind:     by_value
      - .offset:         60
        .size:           1
        .value_kind:     by_value
      - .offset:         64
        .size:           4
        .value_kind:     hidden_block_count_x
      - .offset:         68
        .size:           4
        .value_kind:     hidden_block_count_y
      - .offset:         72
        .size:           4
        .value_kind:     hidden_block_count_z
      - .offset:         76
        .size:           2
        .value_kind:     hidden_group_size_x
      - .offset:         78
        .size:           2
        .value_kind:     hidden_group_size_y
      - .offset:         80
        .size:           2
        .value_kind:     hidden_group_size_z
      - .offset:         82
        .size:           2
        .value_kind:     hidden_remainder_x
      - .offset:         84
        .size:           2
        .value_kind:     hidden_remainder_y
      - .offset:         86
        .size:           2
        .value_kind:     hidden_remainder_z
      - .offset:         104
        .size:           8
        .value_kind:     hidden_global_offset_x
      - .offset:         112
        .size:           8
        .value_kind:     hidden_global_offset_y
      - .offset:         120
        .size:           8
        .value_kind:     hidden_global_offset_z
      - .offset:         128
        .size:           2
        .value_kind:     hidden_grid_dims
    .group_segment_fixed_size: 0
    .kernarg_segment_align: 8
    .kernarg_segment_size: 320
    .language:       OpenCL C
    .language_version:
      - 2
      - 0
    .max_flat_workgroup_size: 1024
    .name:           _ZN9rocsolver6v33100L8set_diagI19rocblas_complex_numIdEidPS3_TnNSt9enable_ifIXaa18rocblas_is_complexIT_Ent18rocblas_is_complexIT1_EEiE4typeELi0EEEvPS7_llT2_lT0_lSC_b
    .private_segment_fixed_size: 0
    .sgpr_count:     23
    .sgpr_spill_count: 0
    .symbol:         _ZN9rocsolver6v33100L8set_diagI19rocblas_complex_numIdEidPS3_TnNSt9enable_ifIXaa18rocblas_is_complexIT_Ent18rocblas_is_complexIT1_EEiE4typeELi0EEEvPS7_llT2_lT0_lSC_b.kd
    .uniform_work_group_size: 1
    .uses_dynamic_stack: false
    .vgpr_count:     7
    .vgpr_spill_count: 0
    .wavefront_size: 64
  - .agpr_count:     0
    .args:
      - .address_space:  global
        .offset:         0
        .size:           8
        .value_kind:     global_buffer
      - .offset:         8
        .size:           8
        .value_kind:     by_value
      - .address_space:  global
        .offset:         16
        .size:           8
        .value_kind:     global_buffer
      - .address_space:  global
        .offset:         24
        .size:           8
        .value_kind:     global_buffer
      - .offset:         32
        .size:           8
        .value_kind:     by_value
      - .offset:         40
        .size:           8
        .value_kind:     by_value
      - .address_space:  global
        .offset:         48
        .size:           8
        .value_kind:     global_buffer
      - .offset:         56
        .size:           8
        .value_kind:     by_value
      - .offset:         64
        .size:           8
        .value_kind:     by_value
    .group_segment_fixed_size: 0
    .kernarg_segment_align: 8
    .kernarg_segment_size: 72
    .language:       OpenCL C
    .language_version:
      - 2
      - 0
    .max_flat_workgroup_size: 1024
    .name:           _ZN9rocsolver6v33100L11set_taubetaI19rocblas_complex_numIdEidPS3_EEvPT_lS6_T2_llPT1_ll
    .private_segment_fixed_size: 0
    .sgpr_count:     30
    .sgpr_spill_count: 0
    .symbol:         _ZN9rocsolver6v33100L11set_taubetaI19rocblas_complex_numIdEidPS3_EEvPT_lS6_T2_llPT1_ll.kd
    .uniform_work_group_size: 1
    .uses_dynamic_stack: false
    .vgpr_count:     16
    .vgpr_spill_count: 0
    .wavefront_size: 64
  - .agpr_count:     0
    .args:
      - .offset:         0
        .size:           4
        .value_kind:     by_value
      - .offset:         4
        .size:           4
        .value_kind:     by_value
      - .address_space:  global
        .offset:         8
        .size:           8
        .value_kind:     global_buffer
      - .offset:         16
        .size:           8
        .value_kind:     by_value
      - .offset:         24
        .size:           4
        .value_kind:     by_value
      - .offset:         32
        .size:           8
        .value_kind:     by_value
      - .offset:         40
        .size:           4
        .value_kind:     hidden_block_count_x
      - .offset:         44
        .size:           4
        .value_kind:     hidden_block_count_y
      - .offset:         48
        .size:           4
        .value_kind:     hidden_block_count_z
      - .offset:         52
        .size:           2
        .value_kind:     hidden_group_size_x
      - .offset:         54
        .size:           2
        .value_kind:     hidden_group_size_y
      - .offset:         56
        .size:           2
        .value_kind:     hidden_group_size_z
      - .offset:         58
        .size:           2
        .value_kind:     hidden_remainder_x
      - .offset:         60
        .size:           2
        .value_kind:     hidden_remainder_y
      - .offset:         62
        .size:           2
        .value_kind:     hidden_remainder_z
      - .offset:         80
        .size:           8
        .value_kind:     hidden_global_offset_x
      - .offset:         88
        .size:           8
        .value_kind:     hidden_global_offset_y
      - .offset:         96
        .size:           8
        .value_kind:     hidden_global_offset_z
      - .offset:         104
        .size:           2
        .value_kind:     hidden_grid_dims
    .group_segment_fixed_size: 0
    .kernarg_segment_align: 8
    .kernarg_segment_size: 296
    .language:       OpenCL C
    .language_version:
      - 2
      - 0
    .max_flat_workgroup_size: 1024
    .name:           _ZN9rocsolver6v33100L13conj_in_placeI19rocblas_complex_numIdEiPS3_TnNSt9enable_ifIX18rocblas_is_complexIT_EEiE4typeELi0EEEvT0_S9_T1_lS9_l
    .private_segment_fixed_size: 0
    .sgpr_count:     14
    .sgpr_spill_count: 0
    .symbol:         _ZN9rocsolver6v33100L13conj_in_placeI19rocblas_complex_numIdEiPS3_TnNSt9enable_ifIX18rocblas_is_complexIT_EEiE4typeELi0EEEvT0_S9_T1_lS9_l.kd
    .uniform_work_group_size: 1
    .uses_dynamic_stack: false
    .vgpr_count:     8
    .vgpr_spill_count: 0
    .wavefront_size: 64
  - .agpr_count:     0
    .args:
      - .offset:         0
        .size:           4
        .value_kind:     by_value
      - .offset:         4
        .size:           4
        .value_kind:     by_value
      - .address_space:  global
        .offset:         8
        .size:           8
        .value_kind:     global_buffer
      - .offset:         16
        .size:           8
        .value_kind:     by_value
      - .offset:         24
        .size:           4
        .value_kind:     by_value
      - .offset:         32
        .size:           8
        .value_kind:     by_value
      - .address_space:  global
        .offset:         40
        .size:           8
        .value_kind:     global_buffer
      - .offset:         48
        .size:           8
        .value_kind:     by_value
      - .address_space:  global
        .offset:         56
        .size:           8
        .value_kind:     global_buffer
      - .offset:         64
        .size:           8
        .value_kind:     by_value
      - .offset:         72
        .size:           4
        .value_kind:     by_value
      - .offset:         80
        .size:           8
        .value_kind:     by_value
    .group_segment_fixed_size: 0
    .kernarg_segment_align: 8
    .kernarg_segment_size: 88
    .language:       OpenCL C
    .language_version:
      - 2
      - 0
    .max_flat_workgroup_size: 1024
    .name:           _ZN9rocsolver6v33100L16larf_left_kernelILi1024E19rocblas_complex_numIdEiPS3_EEvT1_S5_T2_lS5_lPKT0_lS6_lS5_l
    .private_segment_fixed_size: 0
    .sgpr_count:     42
    .sgpr_spill_count: 0
    .symbol:         _ZN9rocsolver6v33100L16larf_left_kernelILi1024E19rocblas_complex_numIdEiPS3_EEvT1_S5_T2_lS5_lPKT0_lS6_lS5_l.kd
    .uniform_work_group_size: 1
    .uses_dynamic_stack: false
    .vgpr_count:     22
    .vgpr_spill_count: 0
    .wavefront_size: 64
  - .agpr_count:     0
    .args:
      - .offset:         0
        .size:           4
        .value_kind:     by_value
      - .offset:         4
        .size:           4
        .value_kind:     by_value
      - .address_space:  global
        .offset:         8
        .size:           8
        .value_kind:     global_buffer
      - .offset:         16
        .size:           8
        .value_kind:     by_value
      - .offset:         24
        .size:           4
        .value_kind:     by_value
      - .offset:         32
        .size:           8
        .value_kind:     by_value
      - .address_space:  global
        .offset:         40
        .size:           8
        .value_kind:     global_buffer
      - .offset:         48
        .size:           8
        .value_kind:     by_value
      - .address_space:  global
        .offset:         56
        .size:           8
        .value_kind:     global_buffer
      - .offset:         64
        .size:           8
        .value_kind:     by_value
      - .offset:         72
        .size:           4
        .value_kind:     by_value
      - .offset:         80
        .size:           8
        .value_kind:     by_value
    .group_segment_fixed_size: 0
    .kernarg_segment_align: 8
    .kernarg_segment_size: 88
    .language:       OpenCL C
    .language_version:
      - 2
      - 0
    .max_flat_workgroup_size: 1024
    .name:           _ZN9rocsolver6v33100L17larf_right_kernelILi1024E19rocblas_complex_numIdEiPS3_EEvT1_S5_T2_lS5_lPKT0_lS6_lS5_l
    .private_segment_fixed_size: 0
    .sgpr_count:     44
    .sgpr_spill_count: 0
    .symbol:         _ZN9rocsolver6v33100L17larf_right_kernelILi1024E19rocblas_complex_numIdEiPS3_EEvT1_S5_T2_lS5_lPKT0_lS6_lS5_l.kd
    .uniform_work_group_size: 1
    .uses_dynamic_stack: false
    .vgpr_count:     23
    .vgpr_spill_count: 0
    .wavefront_size: 64
  - .agpr_count:     0
    .args:
      - .address_space:  global
        .offset:         0
        .size:           8
        .value_kind:     global_buffer
      - .offset:         8
        .size:           8
        .value_kind:     by_value
      - .offset:         16
        .size:           8
        .value_kind:     by_value
      - .address_space:  global
        .offset:         24
        .size:           8
        .value_kind:     global_buffer
      - .offset:         32
        .size:           8
        .value_kind:     by_value
      - .offset:         40
        .size:           4
        .value_kind:     by_value
      - .offset:         48
        .size:           8
        .value_kind:     by_value
      - .offset:         56
        .size:           4
        .value_kind:     by_value
      - .offset:         64
        .size:           4
        .value_kind:     hidden_block_count_x
      - .offset:         68
        .size:           4
        .value_kind:     hidden_block_count_y
      - .offset:         72
        .size:           4
        .value_kind:     hidden_block_count_z
      - .offset:         76
        .size:           2
        .value_kind:     hidden_group_size_x
      - .offset:         78
        .size:           2
        .value_kind:     hidden_group_size_y
      - .offset:         80
        .size:           2
        .value_kind:     hidden_group_size_z
      - .offset:         82
        .size:           2
        .value_kind:     hidden_remainder_x
      - .offset:         84
        .size:           2
        .value_kind:     hidden_remainder_y
      - .offset:         86
        .size:           2
        .value_kind:     hidden_remainder_z
      - .offset:         104
        .size:           8
        .value_kind:     hidden_global_offset_x
      - .offset:         112
        .size:           8
        .value_kind:     hidden_global_offset_y
      - .offset:         120
        .size:           8
        .value_kind:     hidden_global_offset_z
      - .offset:         128
        .size:           2
        .value_kind:     hidden_grid_dims
    .group_segment_fixed_size: 0
    .kernarg_segment_align: 8
    .kernarg_segment_size: 320
    .language:       OpenCL C
    .language_version:
      - 2
      - 0
    .max_flat_workgroup_size: 1024
    .name:           _ZN9rocsolver6v33100L12restore_diagI19rocblas_complex_numIdEidPS3_EEvPT1_llT2_lT0_lS8_
    .private_segment_fixed_size: 0
    .sgpr_count:     20
    .sgpr_spill_count: 0
    .symbol:         _ZN9rocsolver6v33100L12restore_diagI19rocblas_complex_numIdEidPS3_EEvPT1_llT2_lT0_lS8_.kd
    .uniform_work_group_size: 1
    .uses_dynamic_stack: false
    .vgpr_count:     6
    .vgpr_spill_count: 0
    .wavefront_size: 64
  - .agpr_count:     0
    .args:
      - .offset:         0
        .size:           4
        .value_kind:     by_value
      - .offset:         4
        .size:           4
        .value_kind:     by_value
      - .address_space:  global
        .offset:         8
        .size:           8
        .value_kind:     global_buffer
      - .offset:         16
        .size:           4
        .value_kind:     by_value
      - .offset:         20
        .size:           4
        .value_kind:     by_value
      - .offset:         24
        .size:           8
        .value_kind:     by_value
      - .address_space:  global
        .offset:         32
        .size:           8
        .value_kind:     global_buffer
      - .offset:         40
        .size:           8
        .value_kind:     by_value
      - .address_space:  global
        .offset:         48
        .size:           8
        .value_kind:     global_buffer
      - .offset:         56
        .size:           4
        .value_kind:     by_value
      - .offset:         64
        .size:           8
        .value_kind:     by_value
      - .offset:         72
        .size:           4
        .value_kind:     by_value
      - .offset:         76
        .size:           4
        .value_kind:     by_value
      - .offset:         80
        .size:           1
        .value_kind:     by_value
      - .offset:         88
        .size:           4
        .value_kind:     hidden_block_count_x
      - .offset:         92
        .size:           4
        .value_kind:     hidden_block_count_y
      - .offset:         96
        .size:           4
        .value_kind:     hidden_block_count_z
      - .offset:         100
        .size:           2
        .value_kind:     hidden_group_size_x
      - .offset:         102
        .size:           2
        .value_kind:     hidden_group_size_y
      - .offset:         104
        .size:           2
        .value_kind:     hidden_group_size_z
      - .offset:         106
        .size:           2
        .value_kind:     hidden_remainder_x
      - .offset:         108
        .size:           2
        .value_kind:     hidden_remainder_y
      - .offset:         110
        .size:           2
        .value_kind:     hidden_remainder_z
      - .offset:         128
        .size:           8
        .value_kind:     hidden_global_offset_x
      - .offset:         136
        .size:           8
        .value_kind:     hidden_global_offset_y
      - .offset:         144
        .size:           8
        .value_kind:     hidden_global_offset_z
      - .offset:         152
        .size:           2
        .value_kind:     hidden_grid_dims
    .group_segment_fixed_size: 0
    .kernarg_segment_align: 8
    .kernarg_segment_size: 344
    .language:       OpenCL C
    .language_version:
      - 2
      - 0
    .max_flat_workgroup_size: 1024
    .name:           _ZN9rocsolver6v33100L14set_triangularI19rocblas_complex_numIdEPS3_TnNSt9enable_ifIX18rocblas_is_complexIT_EEiE4typeELi0EEEviiT0_iilPS6_lSA_il15rocblas_direct_15rocblas_storev_b
    .private_segment_fixed_size: 0
    .sgpr_count:     27
    .sgpr_spill_count: 0
    .symbol:         _ZN9rocsolver6v33100L14set_triangularI19rocblas_complex_numIdEPS3_TnNSt9enable_ifIX18rocblas_is_complexIT_EEiE4typeELi0EEEviiT0_iilPS6_lSA_il15rocblas_direct_15rocblas_storev_b.kd
    .uniform_work_group_size: 1
    .uses_dynamic_stack: false
    .vgpr_count:     22
    .vgpr_spill_count: 0
    .wavefront_size: 64
  - .agpr_count:     0
    .args:
      - .offset:         0
        .size:           4
        .value_kind:     by_value
      - .address_space:  global
        .offset:         8
        .size:           8
        .value_kind:     global_buffer
      - .offset:         16
        .size:           8
        .value_kind:     by_value
      - .offset:         24
        .size:           4
        .value_kind:     hidden_block_count_x
      - .offset:         28
        .size:           4
        .value_kind:     hidden_block_count_y
      - .offset:         32
        .size:           4
        .value_kind:     hidden_block_count_z
      - .offset:         36
        .size:           2
        .value_kind:     hidden_group_size_x
      - .offset:         38
        .size:           2
        .value_kind:     hidden_group_size_y
      - .offset:         40
        .size:           2
        .value_kind:     hidden_group_size_z
      - .offset:         42
        .size:           2
        .value_kind:     hidden_remainder_x
      - .offset:         44
        .size:           2
        .value_kind:     hidden_remainder_y
      - .offset:         46
        .size:           2
        .value_kind:     hidden_remainder_z
      - .offset:         64
        .size:           8
        .value_kind:     hidden_global_offset_x
      - .offset:         72
        .size:           8
        .value_kind:     hidden_global_offset_y
      - .offset:         80
        .size:           8
        .value_kind:     hidden_global_offset_z
      - .offset:         88
        .size:           2
        .value_kind:     hidden_grid_dims
    .group_segment_fixed_size: 0
    .kernarg_segment_align: 8
    .kernarg_segment_size: 280
    .language:       OpenCL C
    .language_version:
      - 2
      - 0
    .max_flat_workgroup_size: 1024
    .name:           _ZN9rocsolver6v33100L7set_tauI19rocblas_complex_numIdEEEviPT_l
    .private_segment_fixed_size: 0
    .sgpr_count:     12
    .sgpr_spill_count: 0
    .symbol:         _ZN9rocsolver6v33100L7set_tauI19rocblas_complex_numIdEEEviPT_l.kd
    .uniform_work_group_size: 1
    .uses_dynamic_stack: false
    .vgpr_count:     6
    .vgpr_spill_count: 0
    .wavefront_size: 64
  - .agpr_count:     0
    .args:
      - .offset:         0
        .size:           4
        .value_kind:     by_value
      - .offset:         4
        .size:           4
        .value_kind:     by_value
      - .offset:         8
        .size:           4
        .value_kind:     by_value
      - .address_space:  global
        .offset:         16
        .size:           8
        .value_kind:     global_buffer
      - .offset:         24
        .size:           4
        .value_kind:     by_value
      - .offset:         28
        .size:           4
        .value_kind:     by_value
      - .offset:         32
        .size:           8
        .value_kind:     by_value
      - .address_space:  global
        .offset:         40
        .size:           8
        .value_kind:     global_buffer
      - .offset:         48
        .size:           8
        .value_kind:     by_value
      - .address_space:  global
        .offset:         56
        .size:           8
        .value_kind:     global_buffer
      - .offset:         64
        .size:           4
        .value_kind:     by_value
      - .offset:         72
        .size:           8
        .value_kind:     by_value
      - .offset:         80
        .size:           4
        .value_kind:     hidden_block_count_x
      - .offset:         84
        .size:           4
        .value_kind:     hidden_block_count_y
      - .offset:         88
        .size:           4
        .value_kind:     hidden_block_count_z
      - .offset:         92
        .size:           2
        .value_kind:     hidden_group_size_x
      - .offset:         94
        .size:           2
        .value_kind:     hidden_group_size_y
      - .offset:         96
        .size:           2
        .value_kind:     hidden_group_size_z
      - .offset:         98
        .size:           2
        .value_kind:     hidden_remainder_x
      - .offset:         100
        .size:           2
        .value_kind:     hidden_remainder_y
      - .offset:         102
        .size:           2
        .value_kind:     hidden_remainder_z
      - .offset:         120
        .size:           8
        .value_kind:     hidden_global_offset_x
      - .offset:         128
        .size:           8
        .value_kind:     hidden_global_offset_y
      - .offset:         136
        .size:           8
        .value_kind:     hidden_global_offset_z
      - .offset:         144
        .size:           2
        .value_kind:     hidden_grid_dims
      - .offset:         200
        .size:           4
        .value_kind:     hidden_dynamic_lds_size
    .group_segment_fixed_size: 0
    .kernarg_segment_align: 8
    .kernarg_segment_size: 336
    .language:       OpenCL C
    .language_version:
      - 2
      - 0
    .max_flat_workgroup_size: 1024
    .name:           _ZN9rocsolver6v33100L20larft_kernel_forwardI19rocblas_complex_numIdEPS3_EEv15rocblas_storev_iiT0_iilPT_lS8_il
    .private_segment_fixed_size: 0
    .sgpr_count:     60
    .sgpr_spill_count: 0
    .symbol:         _ZN9rocsolver6v33100L20larft_kernel_forwardI19rocblas_complex_numIdEPS3_EEv15rocblas_storev_iiT0_iilPT_lS8_il.kd
    .uniform_work_group_size: 1
    .uses_dynamic_stack: false
    .vgpr_count:     28
    .vgpr_spill_count: 0
    .wavefront_size: 64
  - .agpr_count:     0
    .args:
      - .offset:         0
        .size:           4
        .value_kind:     by_value
      - .offset:         4
        .size:           4
        .value_kind:     by_value
      - .offset:         8
        .size:           4
        .value_kind:     by_value
      - .address_space:  global
        .offset:         16
        .size:           8
        .value_kind:     global_buffer
      - .offset:         24
        .size:           4
        .value_kind:     by_value
      - .offset:         28
        .size:           4
        .value_kind:     by_value
      - .offset:         32
        .size:           8
        .value_kind:     by_value
      - .address_space:  global
        .offset:         40
        .size:           8
        .value_kind:     global_buffer
      - .offset:         48
        .size:           8
        .value_kind:     by_value
      - .address_space:  global
        .offset:         56
        .size:           8
        .value_kind:     global_buffer
      - .offset:         64
        .size:           4
        .value_kind:     by_value
      - .offset:         72
        .size:           8
        .value_kind:     by_value
      - .offset:         80
        .size:           4
        .value_kind:     hidden_block_count_x
      - .offset:         84
        .size:           4
        .value_kind:     hidden_block_count_y
      - .offset:         88
        .size:           4
        .value_kind:     hidden_block_count_z
      - .offset:         92
        .size:           2
        .value_kind:     hidden_group_size_x
      - .offset:         94
        .size:           2
        .value_kind:     hidden_group_size_y
      - .offset:         96
        .size:           2
        .value_kind:     hidden_group_size_z
      - .offset:         98
        .size:           2
        .value_kind:     hidden_remainder_x
      - .offset:         100
        .size:           2
        .value_kind:     hidden_remainder_y
      - .offset:         102
        .size:           2
        .value_kind:     hidden_remainder_z
      - .offset:         120
        .size:           8
        .value_kind:     hidden_global_offset_x
      - .offset:         128
        .size:           8
        .value_kind:     hidden_global_offset_y
      - .offset:         136
        .size:           8
        .value_kind:     hidden_global_offset_z
      - .offset:         144
        .size:           2
        .value_kind:     hidden_grid_dims
      - .offset:         200
        .size:           4
        .value_kind:     hidden_dynamic_lds_size
    .group_segment_fixed_size: 0
    .kernarg_segment_align: 8
    .kernarg_segment_size: 336
    .language:       OpenCL C
    .language_version:
      - 2
      - 0
    .max_flat_workgroup_size: 1024
    .name:           _ZN9rocsolver6v33100L21larft_kernel_backwardI19rocblas_complex_numIdEPS3_EEv15rocblas_storev_iiT0_iilPT_lS8_il
    .private_segment_fixed_size: 0
    .sgpr_count:     60
    .sgpr_spill_count: 0
    .symbol:         _ZN9rocsolver6v33100L21larft_kernel_backwardI19rocblas_complex_numIdEPS3_EEv15rocblas_storev_iiT0_iilPT_lS8_il.kd
    .uniform_work_group_size: 1
    .uses_dynamic_stack: false
    .vgpr_count:     24
    .vgpr_spill_count: 0
    .wavefront_size: 64
  - .agpr_count:     0
    .args:
      - .offset:         0
        .size:           4
        .value_kind:     by_value
      - .offset:         4
        .size:           4
        .value_kind:     by_value
      - .address_space:  global
        .offset:         8
        .size:           8
        .value_kind:     global_buffer
      - .offset:         16
        .size:           4
        .value_kind:     by_value
      - .offset:         20
        .size:           4
        .value_kind:     by_value
      - .offset:         24
        .size:           8
        .value_kind:     by_value
      - .address_space:  global
        .offset:         32
        .size:           8
        .value_kind:     global_buffer
      - .offset:         40
        .size:           4
        .value_kind:     hidden_block_count_x
      - .offset:         44
        .size:           4
        .value_kind:     hidden_block_count_y
      - .offset:         48
        .size:           4
        .value_kind:     hidden_block_count_z
      - .offset:         52
        .size:           2
        .value_kind:     hidden_group_size_x
      - .offset:         54
        .size:           2
        .value_kind:     hidden_group_size_y
      - .offset:         56
        .size:           2
        .value_kind:     hidden_group_size_z
      - .offset:         58
        .size:           2
        .value_kind:     hidden_remainder_x
      - .offset:         60
        .size:           2
        .value_kind:     hidden_remainder_y
      - .offset:         62
        .size:           2
        .value_kind:     hidden_remainder_z
      - .offset:         80
        .size:           8
        .value_kind:     hidden_global_offset_x
      - .offset:         88
        .size:           8
        .value_kind:     hidden_global_offset_y
      - .offset:         96
        .size:           8
        .value_kind:     hidden_global_offset_z
      - .offset:         104
        .size:           2
        .value_kind:     hidden_grid_dims
    .group_segment_fixed_size: 0
    .kernarg_segment_align: 8
    .kernarg_segment_size: 296
    .language:       OpenCL C
    .language_version:
      - 2
      - 0
    .max_flat_workgroup_size: 1024
    .name:           _ZN9rocsolver6v33100L9copymatA1I19rocblas_complex_numIdEPS3_EEviiT0_iilPT_
    .private_segment_fixed_size: 0
    .sgpr_count:     24
    .sgpr_spill_count: 0
    .symbol:         _ZN9rocsolver6v33100L9copymatA1I19rocblas_complex_numIdEPS3_EEviiT0_iilPT_.kd
    .uniform_work_group_size: 1
    .uses_dynamic_stack: false
    .vgpr_count:     8
    .vgpr_spill_count: 0
    .wavefront_size: 64
  - .agpr_count:     0
    .args:
      - .offset:         0
        .size:           4
        .value_kind:     by_value
      - .offset:         4
        .size:           4
        .value_kind:     by_value
      - .address_space:  global
        .offset:         8
        .size:           8
        .value_kind:     global_buffer
      - .offset:         16
        .size:           4
        .value_kind:     by_value
      - .offset:         20
        .size:           4
        .value_kind:     by_value
      - .offset:         24
        .size:           8
        .value_kind:     by_value
      - .address_space:  global
        .offset:         32
        .size:           8
        .value_kind:     global_buffer
      - .offset:         40
        .size:           4
        .value_kind:     hidden_block_count_x
      - .offset:         44
        .size:           4
        .value_kind:     hidden_block_count_y
      - .offset:         48
        .size:           4
        .value_kind:     hidden_block_count_z
      - .offset:         52
        .size:           2
        .value_kind:     hidden_group_size_x
      - .offset:         54
        .size:           2
        .value_kind:     hidden_group_size_y
      - .offset:         56
        .size:           2
        .value_kind:     hidden_group_size_z
      - .offset:         58
        .size:           2
        .value_kind:     hidden_remainder_x
      - .offset:         60
        .size:           2
        .value_kind:     hidden_remainder_y
      - .offset:         62
        .size:           2
        .value_kind:     hidden_remainder_z
      - .offset:         80
        .size:           8
        .value_kind:     hidden_global_offset_x
      - .offset:         88
        .size:           8
        .value_kind:     hidden_global_offset_y
      - .offset:         96
        .size:           8
        .value_kind:     hidden_global_offset_z
      - .offset:         104
        .size:           2
        .value_kind:     hidden_grid_dims
    .group_segment_fixed_size: 0
    .kernarg_segment_align: 8
    .kernarg_segment_size: 296
    .language:       OpenCL C
    .language_version:
      - 2
      - 0
    .max_flat_workgroup_size: 1024
    .name:           _ZN9rocsolver6v33100L8addmatA1I19rocblas_complex_numIdEPS3_EEviiT0_iilPT_
    .private_segment_fixed_size: 0
    .sgpr_count:     19
    .sgpr_spill_count: 0
    .symbol:         _ZN9rocsolver6v33100L8addmatA1I19rocblas_complex_numIdEPS3_EEviiT0_iilPT_.kd
    .uniform_work_group_size: 1
    .uses_dynamic_stack: false
    .vgpr_count:     12
    .vgpr_spill_count: 0
    .wavefront_size: 64
  - .agpr_count:     0
    .args:
      - .offset:         0
        .size:           4
        .value_kind:     by_value
      - .address_space:  global
        .offset:         8
        .size:           8
        .value_kind:     global_buffer
      - .offset:         16
        .size:           8
        .value_kind:     by_value
      - .address_space:  global
        .offset:         24
        .size:           8
        .value_kind:     global_buffer
      - .offset:         32
        .size:           4
        .value_kind:     by_value
      - .offset:         40
        .size:           8
        .value_kind:     by_value
      - .address_space:  global
        .offset:         48
        .size:           8
        .value_kind:     global_buffer
      - .offset:         56
        .size:           4
        .value_kind:     by_value
      - .offset:         64
        .size:           8
        .value_kind:     by_value
      - .offset:         72
        .size:           4
        .value_kind:     hidden_block_count_x
      - .offset:         76
        .size:           4
        .value_kind:     hidden_block_count_y
      - .offset:         80
        .size:           4
        .value_kind:     hidden_block_count_z
      - .offset:         84
        .size:           2
        .value_kind:     hidden_group_size_x
      - .offset:         86
        .size:           2
        .value_kind:     hidden_group_size_y
      - .offset:         88
        .size:           2
        .value_kind:     hidden_group_size_z
      - .offset:         90
        .size:           2
        .value_kind:     hidden_remainder_x
      - .offset:         92
        .size:           2
        .value_kind:     hidden_remainder_y
      - .offset:         94
        .size:           2
        .value_kind:     hidden_remainder_z
      - .offset:         112
        .size:           8
        .value_kind:     hidden_global_offset_x
      - .offset:         120
        .size:           8
        .value_kind:     hidden_global_offset_y
      - .offset:         128
        .size:           8
        .value_kind:     hidden_global_offset_z
      - .offset:         136
        .size:           2
        .value_kind:     hidden_grid_dims
    .group_segment_fixed_size: 0
    .kernarg_segment_align: 8
    .kernarg_segment_size: 328
    .language:       OpenCL C
    .language_version:
      - 2
      - 0
    .max_flat_workgroup_size: 1024
    .name:           _ZN9rocsolver6v33100L15gesvdj_finalizeI19rocblas_complex_numIdEdEEviPT0_lPT_ilS7_il
    .private_segment_fixed_size: 0
    .sgpr_count:     26
    .sgpr_spill_count: 0
    .symbol:         _ZN9rocsolver6v33100L15gesvdj_finalizeI19rocblas_complex_numIdEdEEviPT0_lPT_ilS7_il.kd
    .uniform_work_group_size: 1
    .uses_dynamic_stack: false
    .vgpr_count:     10
    .vgpr_spill_count: 0
    .wavefront_size: 64
  - .agpr_count:     0
    .args:
      - .offset:         0
        .size:           4
        .value_kind:     by_value
      - .offset:         4
        .size:           4
        .value_kind:     by_value
      - .offset:         8
        .size:           4
        .value_kind:     by_value
      - .address_space:  global
        .offset:         16
        .size:           8
        .value_kind:     global_buffer
      - .offset:         24
        .size:           4
        .value_kind:     by_value
      - .offset:         28
        .size:           4
        .value_kind:     by_value
      - .offset:         32
        .size:           8
        .value_kind:     by_value
      - .offset:         40
        .size:           4
        .value_kind:     hidden_block_count_x
      - .offset:         44
        .size:           4
        .value_kind:     hidden_block_count_y
      - .offset:         48
        .size:           4
        .value_kind:     hidden_block_count_z
      - .offset:         52
        .size:           2
        .value_kind:     hidden_group_size_x
      - .offset:         54
        .size:           2
        .value_kind:     hidden_group_size_y
      - .offset:         56
        .size:           2
        .value_kind:     hidden_group_size_z
      - .offset:         58
        .size:           2
        .value_kind:     hidden_remainder_x
      - .offset:         60
        .size:           2
        .value_kind:     hidden_remainder_y
      - .offset:         62
        .size:           2
        .value_kind:     hidden_remainder_z
      - .offset:         80
        .size:           8
        .value_kind:     hidden_global_offset_x
      - .offset:         88
        .size:           8
        .value_kind:     hidden_global_offset_y
      - .offset:         96
        .size:           8
        .value_kind:     hidden_global_offset_z
      - .offset:         104
        .size:           2
        .value_kind:     hidden_grid_dims
    .group_segment_fixed_size: 0
    .kernarg_segment_align: 8
    .kernarg_segment_size: 296
    .language:       OpenCL C
    .language_version:
      - 2
      - 0
    .max_flat_workgroup_size: 1024
    .name:           _ZN9rocsolver6v33100L16org2r_init_identI19rocblas_complex_numIdEPS3_EEviiiT0_iil
    .private_segment_fixed_size: 0
    .sgpr_count:     20
    .sgpr_spill_count: 0
    .symbol:         _ZN9rocsolver6v33100L16org2r_init_identI19rocblas_complex_numIdEPS3_EEviiiT0_iil.kd
    .uniform_work_group_size: 1
    .uses_dynamic_stack: false
    .vgpr_count:     6
    .vgpr_spill_count: 0
    .wavefront_size: 64
  - .agpr_count:     0
    .args:
      - .offset:         0
        .size:           4
        .value_kind:     by_value
      - .offset:         4
        .size:           4
        .value_kind:     by_value
      - .address_space:  global
        .offset:         8
        .size:           8
        .value_kind:     global_buffer
      - .offset:         16
        .size:           4
        .value_kind:     by_value
      - .offset:         20
        .size:           4
        .value_kind:     by_value
      - .offset:         24
        .size:           8
        .value_kind:     by_value
      - .address_space:  global
        .offset:         32
        .size:           8
        .value_kind:     global_buffer
      - .offset:         40
        .size:           8
        .value_kind:     by_value
    .group_segment_fixed_size: 0
    .kernarg_segment_align: 8
    .kernarg_segment_size: 48
    .language:       OpenCL C
    .language_version:
      - 2
      - 0
    .max_flat_workgroup_size: 1024
    .name:           _ZN9rocsolver6v33100L12subtract_tauI19rocblas_complex_numIdEPS3_EEviiT0_iilPT_l
    .private_segment_fixed_size: 0
    .sgpr_count:     20
    .sgpr_spill_count: 0
    .symbol:         _ZN9rocsolver6v33100L12subtract_tauI19rocblas_complex_numIdEPS3_EEviiT0_iilPT_l.kd
    .uniform_work_group_size: 1
    .uses_dynamic_stack: false
    .vgpr_count:     5
    .vgpr_spill_count: 0
    .wavefront_size: 64
  - .agpr_count:     0
    .args:
      - .offset:         0
        .size:           4
        .value_kind:     by_value
      - .address_space:  global
        .offset:         8
        .size:           8
        .value_kind:     global_buffer
      - .offset:         16
        .size:           8
        .value_kind:     by_value
      - .offset:         24
        .size:           4
        .value_kind:     hidden_block_count_x
      - .offset:         28
        .size:           4
        .value_kind:     hidden_block_count_y
      - .offset:         32
        .size:           4
        .value_kind:     hidden_block_count_z
      - .offset:         36
        .size:           2
        .value_kind:     hidden_group_size_x
      - .offset:         38
        .size:           2
        .value_kind:     hidden_group_size_y
      - .offset:         40
        .size:           2
        .value_kind:     hidden_group_size_z
      - .offset:         42
        .size:           2
        .value_kind:     hidden_remainder_x
      - .offset:         44
        .size:           2
        .value_kind:     hidden_remainder_y
      - .offset:         46
        .size:           2
        .value_kind:     hidden_remainder_z
      - .offset:         64
        .size:           8
        .value_kind:     hidden_global_offset_x
      - .offset:         72
        .size:           8
        .value_kind:     hidden_global_offset_y
      - .offset:         80
        .size:           8
        .value_kind:     hidden_global_offset_z
      - .offset:         88
        .size:           2
        .value_kind:     hidden_grid_dims
    .group_segment_fixed_size: 0
    .kernarg_segment_align: 8
    .kernarg_segment_size: 280
    .language:       OpenCL C
    .language_version:
      - 2
      - 0
    .max_flat_workgroup_size: 1024
    .name:           _ZN9rocsolver6v33100L6restauI19rocblas_complex_numIdEEEviPT_l
    .private_segment_fixed_size: 0
    .sgpr_count:     12
    .sgpr_spill_count: 0
    .symbol:         _ZN9rocsolver6v33100L6restauI19rocblas_complex_numIdEEEviPT_l.kd
    .uniform_work_group_size: 1
    .uses_dynamic_stack: false
    .vgpr_count:     6
    .vgpr_spill_count: 0
    .wavefront_size: 64
  - .agpr_count:     0
    .args:
      - .offset:         0
        .size:           4
        .value_kind:     by_value
      - .offset:         4
        .size:           4
        .value_kind:     by_value
      - .address_space:  global
        .offset:         8
        .size:           8
        .value_kind:     global_buffer
      - .offset:         16
        .size:           4
        .value_kind:     by_value
      - .offset:         20
        .size:           4
        .value_kind:     by_value
      - .offset:         24
        .size:           8
        .value_kind:     by_value
      - .offset:         32
        .size:           4
        .value_kind:     by_value
      - .offset:         40
        .size:           4
        .value_kind:     hidden_block_count_x
      - .offset:         44
        .size:           4
        .value_kind:     hidden_block_count_y
      - .offset:         48
        .size:           4
        .value_kind:     hidden_block_count_z
      - .offset:         52
        .size:           2
        .value_kind:     hidden_group_size_x
      - .offset:         54
        .size:           2
        .value_kind:     hidden_group_size_y
      - .offset:         56
        .size:           2
        .value_kind:     hidden_group_size_z
      - .offset:         58
        .size:           2
        .value_kind:     hidden_remainder_x
      - .offset:         60
        .size:           2
        .value_kind:     hidden_remainder_y
      - .offset:         62
        .size:           2
        .value_kind:     hidden_remainder_z
      - .offset:         80
        .size:           8
        .value_kind:     hidden_global_offset_x
      - .offset:         88
        .size:           8
        .value_kind:     hidden_global_offset_y
      - .offset:         96
        .size:           8
        .value_kind:     hidden_global_offset_z
      - .offset:         104
        .size:           2
        .value_kind:     hidden_grid_dims
    .group_segment_fixed_size: 0
    .kernarg_segment_align: 8
    .kernarg_segment_size: 296
    .language:       OpenCL C
    .language_version:
      - 2
      - 0
    .max_flat_workgroup_size: 1024
    .name:           _ZN9rocsolver6v33100L8set_zeroI19rocblas_complex_numIdEPS3_EEviiT0_iil13rocblas_fill_
    .private_segment_fixed_size: 0
    .sgpr_count:     13
    .sgpr_spill_count: 0
    .symbol:         _ZN9rocsolver6v33100L8set_zeroI19rocblas_complex_numIdEPS3_EEviiT0_iil13rocblas_fill_.kd
    .uniform_work_group_size: 1
    .uses_dynamic_stack: false
    .vgpr_count:     6
    .vgpr_spill_count: 0
    .wavefront_size: 64
amdhsa.target:   amdgcn-amd-amdhsa--gfx90a
amdhsa.version:
  - 1
  - 2
...

	.end_amdgpu_metadata
